;; amdgpu-corpus repo=ROCm/rccl kind=compiled arch=gfx1030 opt=O3
	.amdgcn_target "amdgcn-amd-amdhsa--gfx1030"
	.amdhsa_code_object_version 6
	.text
	.p2align	2                               ; -- Begin function __ockl_fprintf_append_string_n
	.type	__ockl_fprintf_append_string_n,@function
__ockl_fprintf_append_string_n:         ; @__ockl_fprintf_append_string_n
; %bb.0:
	s_waitcnt vmcnt(0) expcnt(0) lgkmcnt(0)
	v_or_b32_e32 v2, 2, v0
	v_cmp_eq_u32_e32 vcc_lo, 0, v6
	v_mbcnt_lo_u32_b32 v35, -1, 0
	s_getpc_b64 s[4:5]
	s_add_u32 s4, s4, .str.3@rel32@lo+4
	s_addc_u32 s5, s5, .str.3@rel32@hi+12
	s_mov_b32 s14, 0
	s_cmp_lg_u64 s[4:5], 0
	v_cndmask_b32_e32 v34, v2, v0, vcc_lo
	s_cbranch_scc0 .LBB0_113
; %bb.1:
	s_load_dwordx2 s[6:7], s[8:9], 0x50
	v_and_b32_e32 v0, -3, v34
	s_getpc_b64 s[4:5]
	s_add_u32 s4, s4, .str.3@rel32@lo+4
	s_addc_u32 s5, s5, .str.3@rel32@hi+12
	v_mov_b32_e32 v11, v1
	v_mov_b32_e32 v2, s4
	v_and_b32_e32 v36, 2, v34
	v_mov_b32_e32 v7, 0
	v_mov_b32_e32 v3, s5
	;; [unrolled: 1-line block ×5, first 2 shown]
	s_mov_b32 s15, 0
	s_branch .LBB0_3
.LBB0_2:                                ;   in Loop: Header=BB0_3 Depth=1
	s_or_b32 exec_lo, exec_lo, s12
	v_sub_co_u32 v4, vcc_lo, v4, v30
	v_sub_co_ci_u32_e64 v5, null, v5, v31, vcc_lo
	v_add_co_u32 v2, s4, v2, v30
	v_add_co_ci_u32_e64 v3, null, v3, v31, s4
	v_cmp_eq_u64_e32 vcc_lo, 0, v[4:5]
	s_or_b32 s15, vcc_lo, s15
	s_andn2_b32 exec_lo, exec_lo, s15
	s_cbranch_execz .LBB0_85
.LBB0_3:                                ; =>This Loop Header: Depth=1
                                        ;     Child Loop BB0_6 Depth 2
                                        ;     Child Loop BB0_14 Depth 2
	;; [unrolled: 1-line block ×11, first 2 shown]
	v_cmp_gt_u64_e32 vcc_lo, 56, v[4:5]
	s_mov_b32 s5, exec_lo
	v_cndmask_b32_e32 v31, 0, v5, vcc_lo
	v_cndmask_b32_e32 v30, 56, v4, vcc_lo
	v_add_co_u32 v16, vcc_lo, v2, 8
	v_add_co_ci_u32_e64 v17, null, 0, v3, vcc_lo
	v_cmpx_gt_u64_e32 8, v[4:5]
	s_xor_b32 s5, exec_lo, s5
	s_cbranch_execz .LBB0_9
; %bb.4:                                ;   in Loop: Header=BB0_3 Depth=1
	s_waitcnt vmcnt(0)
	v_mov_b32_e32 v12, 0
	v_mov_b32_e32 v13, 0
	s_mov_b32 s12, exec_lo
	v_cmpx_ne_u64_e32 0, v[4:5]
	s_cbranch_execz .LBB0_8
; %bb.5:                                ;   in Loop: Header=BB0_3 Depth=1
	v_lshlrev_b64 v[14:15], 3, v[30:31]
	v_mov_b32_e32 v12, 0
	v_mov_b32_e32 v16, v3
	;; [unrolled: 1-line block ×4, first 2 shown]
	s_mov_b64 s[10:11], 0
	s_mov_b32 s13, 0
	.p2align	6
.LBB0_6:                                ;   Parent Loop BB0_3 Depth=1
                                        ; =>  This Inner Loop Header: Depth=2
	global_load_ubyte v0, v[15:16], off
	v_mov_b32_e32 v18, s14
	v_add_co_u32 v15, vcc_lo, v15, 1
	v_add_co_ci_u32_e64 v16, null, 0, v16, vcc_lo
	s_waitcnt vmcnt(0)
	v_and_b32_e32 v17, 0xffff, v0
	v_lshlrev_b64 v[17:18], s10, v[17:18]
	s_add_u32 s10, s10, 8
	s_addc_u32 s11, s11, 0
	v_cmp_eq_u32_e64 s4, s10, v14
	v_or_b32_e32 v13, v18, v13
	v_or_b32_e32 v12, v17, v12
	s_or_b32 s13, s4, s13
	s_andn2_b32 exec_lo, exec_lo, s13
	s_cbranch_execnz .LBB0_6
; %bb.7:                                ;   in Loop: Header=BB0_3 Depth=1
	s_or_b32 exec_lo, exec_lo, s13
.LBB0_8:                                ;   in Loop: Header=BB0_3 Depth=1
	s_or_b32 exec_lo, exec_lo, s12
	v_mov_b32_e32 v17, v3
	v_mov_b32_e32 v16, v2
.LBB0_9:                                ;   in Loop: Header=BB0_3 Depth=1
	s_or_saveexec_b32 s4, s5
	v_mov_b32_e32 v0, 0
	s_xor_b32 exec_lo, exec_lo, s4
	s_cbranch_execz .LBB0_11
; %bb.10:                               ;   in Loop: Header=BB0_3 Depth=1
	global_load_dwordx2 v[12:13], v[2:3], off
	v_add_nc_u32_e32 v0, -8, v30
.LBB0_11:                               ;   in Loop: Header=BB0_3 Depth=1
	s_or_b32 exec_lo, exec_lo, s4
	v_add_co_u32 v18, s4, v16, 8
	v_add_co_ci_u32_e64 v19, null, 0, v17, s4
                                        ; implicit-def: $vgpr14_vgpr15
	s_mov_b32 s4, exec_lo
	v_cmpx_gt_u32_e32 8, v0
	s_xor_b32 s12, exec_lo, s4
	s_cbranch_execz .LBB0_17
; %bb.12:                               ;   in Loop: Header=BB0_3 Depth=1
	v_mov_b32_e32 v14, 0
	v_mov_b32_e32 v15, 0
	s_mov_b32 s13, exec_lo
	v_cmpx_ne_u32_e32 0, v0
	s_cbranch_execz .LBB0_16
; %bb.13:                               ;   in Loop: Header=BB0_3 Depth=1
	v_mov_b32_e32 v14, 0
	v_mov_b32_e32 v15, 0
	s_mov_b64 s[4:5], 0
	s_mov_b32 s16, 0
	s_mov_b64 s[10:11], 0
	.p2align	6
.LBB0_14:                               ;   Parent Loop BB0_3 Depth=1
                                        ; =>  This Inner Loop Header: Depth=2
	v_add_co_u32 v18, vcc_lo, v16, s10
	v_add_co_ci_u32_e64 v19, null, s11, v17, vcc_lo
	s_add_u32 s10, s10, 1
	s_addc_u32 s11, s11, 0
	v_cmp_eq_u32_e32 vcc_lo, s10, v0
	global_load_ubyte v6, v[18:19], off
	v_mov_b32_e32 v19, s14
	s_waitcnt vmcnt(0)
	v_and_b32_e32 v18, 0xffff, v6
	v_lshlrev_b64 v[18:19], s4, v[18:19]
	s_add_u32 s4, s4, 8
	s_addc_u32 s5, s5, 0
	s_or_b32 s16, vcc_lo, s16
	v_or_b32_e32 v15, v19, v15
	v_or_b32_e32 v14, v18, v14
	s_andn2_b32 exec_lo, exec_lo, s16
	s_cbranch_execnz .LBB0_14
; %bb.15:                               ;   in Loop: Header=BB0_3 Depth=1
	s_or_b32 exec_lo, exec_lo, s16
.LBB0_16:                               ;   in Loop: Header=BB0_3 Depth=1
	s_or_b32 exec_lo, exec_lo, s13
	v_mov_b32_e32 v19, v17
	v_mov_b32_e32 v18, v16
                                        ; implicit-def: $vgpr0
.LBB0_17:                               ;   in Loop: Header=BB0_3 Depth=1
	s_or_saveexec_b32 s4, s12
	v_mov_b32_e32 v6, 0
	s_xor_b32 exec_lo, exec_lo, s4
	s_cbranch_execz .LBB0_19
; %bb.18:                               ;   in Loop: Header=BB0_3 Depth=1
	global_load_dwordx2 v[14:15], v[16:17], off
	v_add_nc_u32_e32 v6, -8, v0
.LBB0_19:                               ;   in Loop: Header=BB0_3 Depth=1
	s_or_b32 exec_lo, exec_lo, s4
	v_add_co_u32 v20, s4, v18, 8
	v_add_co_ci_u32_e64 v21, null, 0, v19, s4
	s_mov_b32 s4, exec_lo
	v_cmpx_gt_u32_e32 8, v6
	s_xor_b32 s12, exec_lo, s4
	s_cbranch_execz .LBB0_25
; %bb.20:                               ;   in Loop: Header=BB0_3 Depth=1
	v_mov_b32_e32 v16, 0
	v_mov_b32_e32 v17, 0
	s_mov_b32 s13, exec_lo
	v_cmpx_ne_u32_e32 0, v6
	s_cbranch_execz .LBB0_24
; %bb.21:                               ;   in Loop: Header=BB0_3 Depth=1
	v_mov_b32_e32 v16, 0
	v_mov_b32_e32 v17, 0
	s_mov_b64 s[4:5], 0
	s_mov_b32 s16, 0
	s_mov_b64 s[10:11], 0
	.p2align	6
.LBB0_22:                               ;   Parent Loop BB0_3 Depth=1
                                        ; =>  This Inner Loop Header: Depth=2
	v_add_co_u32 v20, vcc_lo, v18, s10
	v_add_co_ci_u32_e64 v21, null, s11, v19, vcc_lo
	s_add_u32 s10, s10, 1
	s_addc_u32 s11, s11, 0
	v_cmp_eq_u32_e32 vcc_lo, s10, v6
	global_load_ubyte v0, v[20:21], off
	v_mov_b32_e32 v21, s14
	s_waitcnt vmcnt(0)
	v_and_b32_e32 v20, 0xffff, v0
	v_lshlrev_b64 v[20:21], s4, v[20:21]
	s_add_u32 s4, s4, 8
	s_addc_u32 s5, s5, 0
	s_or_b32 s16, vcc_lo, s16
	v_or_b32_e32 v17, v21, v17
	v_or_b32_e32 v16, v20, v16
	s_andn2_b32 exec_lo, exec_lo, s16
	s_cbranch_execnz .LBB0_22
; %bb.23:                               ;   in Loop: Header=BB0_3 Depth=1
	s_or_b32 exec_lo, exec_lo, s16
.LBB0_24:                               ;   in Loop: Header=BB0_3 Depth=1
	s_or_b32 exec_lo, exec_lo, s13
	v_mov_b32_e32 v21, v19
	v_mov_b32_e32 v20, v18
                                        ; implicit-def: $vgpr6
.LBB0_25:                               ;   in Loop: Header=BB0_3 Depth=1
	s_or_saveexec_b32 s4, s12
	v_mov_b32_e32 v0, 0
	s_xor_b32 exec_lo, exec_lo, s4
	s_cbranch_execz .LBB0_27
; %bb.26:                               ;   in Loop: Header=BB0_3 Depth=1
	global_load_dwordx2 v[16:17], v[18:19], off
	v_add_nc_u32_e32 v0, -8, v6
.LBB0_27:                               ;   in Loop: Header=BB0_3 Depth=1
	s_or_b32 exec_lo, exec_lo, s4
	v_add_co_u32 v22, s4, v20, 8
	v_add_co_ci_u32_e64 v23, null, 0, v21, s4
                                        ; implicit-def: $vgpr18_vgpr19
	s_mov_b32 s4, exec_lo
	v_cmpx_gt_u32_e32 8, v0
	s_xor_b32 s12, exec_lo, s4
	s_cbranch_execz .LBB0_33
; %bb.28:                               ;   in Loop: Header=BB0_3 Depth=1
	v_mov_b32_e32 v18, 0
	v_mov_b32_e32 v19, 0
	s_mov_b32 s13, exec_lo
	v_cmpx_ne_u32_e32 0, v0
	s_cbranch_execz .LBB0_32
; %bb.29:                               ;   in Loop: Header=BB0_3 Depth=1
	v_mov_b32_e32 v18, 0
	v_mov_b32_e32 v19, 0
	s_mov_b64 s[4:5], 0
	s_mov_b32 s16, 0
	s_mov_b64 s[10:11], 0
	.p2align	6
.LBB0_30:                               ;   Parent Loop BB0_3 Depth=1
                                        ; =>  This Inner Loop Header: Depth=2
	v_add_co_u32 v22, vcc_lo, v20, s10
	v_add_co_ci_u32_e64 v23, null, s11, v21, vcc_lo
	s_add_u32 s10, s10, 1
	s_addc_u32 s11, s11, 0
	v_cmp_eq_u32_e32 vcc_lo, s10, v0
	global_load_ubyte v6, v[22:23], off
	v_mov_b32_e32 v23, s14
	s_waitcnt vmcnt(0)
	v_and_b32_e32 v22, 0xffff, v6
	v_lshlrev_b64 v[22:23], s4, v[22:23]
	s_add_u32 s4, s4, 8
	s_addc_u32 s5, s5, 0
	s_or_b32 s16, vcc_lo, s16
	v_or_b32_e32 v19, v23, v19
	v_or_b32_e32 v18, v22, v18
	s_andn2_b32 exec_lo, exec_lo, s16
	s_cbranch_execnz .LBB0_30
; %bb.31:                               ;   in Loop: Header=BB0_3 Depth=1
	s_or_b32 exec_lo, exec_lo, s16
.LBB0_32:                               ;   in Loop: Header=BB0_3 Depth=1
	s_or_b32 exec_lo, exec_lo, s13
	v_mov_b32_e32 v23, v21
	v_mov_b32_e32 v22, v20
                                        ; implicit-def: $vgpr0
.LBB0_33:                               ;   in Loop: Header=BB0_3 Depth=1
	s_or_saveexec_b32 s4, s12
	v_mov_b32_e32 v6, 0
	s_xor_b32 exec_lo, exec_lo, s4
	s_cbranch_execz .LBB0_35
; %bb.34:                               ;   in Loop: Header=BB0_3 Depth=1
	global_load_dwordx2 v[18:19], v[20:21], off
	v_add_nc_u32_e32 v6, -8, v0
.LBB0_35:                               ;   in Loop: Header=BB0_3 Depth=1
	s_or_b32 exec_lo, exec_lo, s4
	v_add_co_u32 v24, s4, v22, 8
	v_add_co_ci_u32_e64 v25, null, 0, v23, s4
	s_mov_b32 s4, exec_lo
	v_cmpx_gt_u32_e32 8, v6
	s_xor_b32 s12, exec_lo, s4
	s_cbranch_execz .LBB0_41
; %bb.36:                               ;   in Loop: Header=BB0_3 Depth=1
	v_mov_b32_e32 v20, 0
	v_mov_b32_e32 v21, 0
	s_mov_b32 s13, exec_lo
	v_cmpx_ne_u32_e32 0, v6
	s_cbranch_execz .LBB0_40
; %bb.37:                               ;   in Loop: Header=BB0_3 Depth=1
	v_mov_b32_e32 v20, 0
	v_mov_b32_e32 v21, 0
	s_mov_b64 s[4:5], 0
	s_mov_b32 s16, 0
	s_mov_b64 s[10:11], 0
	.p2align	6
.LBB0_38:                               ;   Parent Loop BB0_3 Depth=1
                                        ; =>  This Inner Loop Header: Depth=2
	v_add_co_u32 v24, vcc_lo, v22, s10
	v_add_co_ci_u32_e64 v25, null, s11, v23, vcc_lo
	s_add_u32 s10, s10, 1
	s_addc_u32 s11, s11, 0
	v_cmp_eq_u32_e32 vcc_lo, s10, v6
	global_load_ubyte v0, v[24:25], off
	v_mov_b32_e32 v25, s14
	s_waitcnt vmcnt(0)
	v_and_b32_e32 v24, 0xffff, v0
	v_lshlrev_b64 v[24:25], s4, v[24:25]
	s_add_u32 s4, s4, 8
	s_addc_u32 s5, s5, 0
	s_or_b32 s16, vcc_lo, s16
	v_or_b32_e32 v21, v25, v21
	v_or_b32_e32 v20, v24, v20
	s_andn2_b32 exec_lo, exec_lo, s16
	s_cbranch_execnz .LBB0_38
; %bb.39:                               ;   in Loop: Header=BB0_3 Depth=1
	s_or_b32 exec_lo, exec_lo, s16
.LBB0_40:                               ;   in Loop: Header=BB0_3 Depth=1
	s_or_b32 exec_lo, exec_lo, s13
	v_mov_b32_e32 v25, v23
	v_mov_b32_e32 v24, v22
                                        ; implicit-def: $vgpr6
.LBB0_41:                               ;   in Loop: Header=BB0_3 Depth=1
	s_or_saveexec_b32 s4, s12
	v_mov_b32_e32 v0, 0
	s_xor_b32 exec_lo, exec_lo, s4
	s_cbranch_execz .LBB0_43
; %bb.42:                               ;   in Loop: Header=BB0_3 Depth=1
	global_load_dwordx2 v[20:21], v[22:23], off
	v_add_nc_u32_e32 v0, -8, v6
.LBB0_43:                               ;   in Loop: Header=BB0_3 Depth=1
	s_or_b32 exec_lo, exec_lo, s4
	v_add_co_u32 v26, s4, v24, 8
	v_add_co_ci_u32_e64 v27, null, 0, v25, s4
                                        ; implicit-def: $vgpr22_vgpr23
	s_mov_b32 s4, exec_lo
	v_cmpx_gt_u32_e32 8, v0
	s_xor_b32 s12, exec_lo, s4
	s_cbranch_execz .LBB0_49
; %bb.44:                               ;   in Loop: Header=BB0_3 Depth=1
	v_mov_b32_e32 v22, 0
	v_mov_b32_e32 v23, 0
	s_mov_b32 s13, exec_lo
	v_cmpx_ne_u32_e32 0, v0
	s_cbranch_execz .LBB0_48
; %bb.45:                               ;   in Loop: Header=BB0_3 Depth=1
	v_mov_b32_e32 v22, 0
	v_mov_b32_e32 v23, 0
	s_mov_b64 s[4:5], 0
	s_mov_b32 s16, 0
	s_mov_b64 s[10:11], 0
	.p2align	6
.LBB0_46:                               ;   Parent Loop BB0_3 Depth=1
                                        ; =>  This Inner Loop Header: Depth=2
	v_add_co_u32 v26, vcc_lo, v24, s10
	v_add_co_ci_u32_e64 v27, null, s11, v25, vcc_lo
	s_add_u32 s10, s10, 1
	s_addc_u32 s11, s11, 0
	v_cmp_eq_u32_e32 vcc_lo, s10, v0
	global_load_ubyte v6, v[26:27], off
	v_mov_b32_e32 v27, s14
	s_waitcnt vmcnt(0)
	v_and_b32_e32 v26, 0xffff, v6
	v_lshlrev_b64 v[26:27], s4, v[26:27]
	s_add_u32 s4, s4, 8
	s_addc_u32 s5, s5, 0
	s_or_b32 s16, vcc_lo, s16
	v_or_b32_e32 v23, v27, v23
	v_or_b32_e32 v22, v26, v22
	s_andn2_b32 exec_lo, exec_lo, s16
	s_cbranch_execnz .LBB0_46
; %bb.47:                               ;   in Loop: Header=BB0_3 Depth=1
	s_or_b32 exec_lo, exec_lo, s16
.LBB0_48:                               ;   in Loop: Header=BB0_3 Depth=1
	s_or_b32 exec_lo, exec_lo, s13
	v_mov_b32_e32 v27, v25
	v_mov_b32_e32 v26, v24
                                        ; implicit-def: $vgpr0
.LBB0_49:                               ;   in Loop: Header=BB0_3 Depth=1
	s_or_saveexec_b32 s4, s12
	v_mov_b32_e32 v6, 0
	s_xor_b32 exec_lo, exec_lo, s4
	s_cbranch_execz .LBB0_51
; %bb.50:                               ;   in Loop: Header=BB0_3 Depth=1
	global_load_dwordx2 v[22:23], v[24:25], off
	v_add_nc_u32_e32 v6, -8, v0
.LBB0_51:                               ;   in Loop: Header=BB0_3 Depth=1
	s_or_b32 exec_lo, exec_lo, s4
	s_mov_b32 s4, exec_lo
	v_cmpx_gt_u32_e32 8, v6
	s_xor_b32 s10, exec_lo, s4
	s_cbranch_execz .LBB0_57
; %bb.52:                               ;   in Loop: Header=BB0_3 Depth=1
	v_mov_b32_e32 v24, 0
	v_mov_b32_e32 v25, 0
	s_mov_b32 s11, exec_lo
	v_cmpx_ne_u32_e32 0, v6
	s_cbranch_execz .LBB0_56
; %bb.53:                               ;   in Loop: Header=BB0_3 Depth=1
	v_mov_b32_e32 v24, 0
	v_mov_b32_e32 v25, 0
	s_mov_b64 s[4:5], 0
	s_mov_b32 s12, 0
	.p2align	6
.LBB0_54:                               ;   Parent Loop BB0_3 Depth=1
                                        ; =>  This Inner Loop Header: Depth=2
	global_load_ubyte v0, v[26:27], off
	v_mov_b32_e32 v29, s14
	v_add_nc_u32_e32 v6, -1, v6
	v_add_co_u32 v26, vcc_lo, v26, 1
	v_add_co_ci_u32_e64 v27, null, 0, v27, vcc_lo
	v_cmp_eq_u32_e32 vcc_lo, 0, v6
	s_waitcnt vmcnt(0)
	v_and_b32_e32 v28, 0xffff, v0
	v_lshlrev_b64 v[28:29], s4, v[28:29]
	s_add_u32 s4, s4, 8
	s_addc_u32 s5, s5, 0
	s_or_b32 s12, vcc_lo, s12
	v_or_b32_e32 v25, v29, v25
	v_or_b32_e32 v24, v28, v24
	s_andn2_b32 exec_lo, exec_lo, s12
	s_cbranch_execnz .LBB0_54
; %bb.55:                               ;   in Loop: Header=BB0_3 Depth=1
	s_or_b32 exec_lo, exec_lo, s12
.LBB0_56:                               ;   in Loop: Header=BB0_3 Depth=1
	s_or_b32 exec_lo, exec_lo, s11
                                        ; implicit-def: $vgpr26_vgpr27
.LBB0_57:                               ;   in Loop: Header=BB0_3 Depth=1
	s_andn2_saveexec_b32 s4, s10
	s_cbranch_execz .LBB0_59
; %bb.58:                               ;   in Loop: Header=BB0_3 Depth=1
	global_load_dwordx2 v[24:25], v[26:27], off
.LBB0_59:                               ;   in Loop: Header=BB0_3 Depth=1
	s_or_b32 exec_lo, exec_lo, s4
	v_readfirstlane_b32 s4, v35
	v_mov_b32_e32 v32, 0
	v_mov_b32_e32 v33, 0
	v_cmp_eq_u32_e64 s4, s4, v35
	s_and_saveexec_b32 s5, s4
	s_cbranch_execz .LBB0_65
; %bb.60:                               ;   in Loop: Header=BB0_3 Depth=1
	s_waitcnt lgkmcnt(0)
	global_load_dwordx2 v[28:29], v7, s[6:7] offset:24 glc dlc
	s_waitcnt vmcnt(0)
	buffer_gl1_inv
	buffer_gl0_inv
	s_clause 0x1
	global_load_dwordx2 v[26:27], v7, s[6:7] offset:40
	global_load_dwordx2 v[32:33], v7, s[6:7]
	s_mov_b32 s10, exec_lo
	s_waitcnt vmcnt(1)
	v_and_b32_e32 v0, v27, v29
	v_and_b32_e32 v6, v26, v28
	v_mul_lo_u32 v0, v0, 24
	v_mul_hi_u32 v26, v6, 24
	v_mul_lo_u32 v6, v6, 24
	v_add_nc_u32_e32 v0, v26, v0
	s_waitcnt vmcnt(0)
	v_add_co_u32 v26, vcc_lo, v32, v6
	v_add_co_ci_u32_e64 v27, null, v33, v0, vcc_lo
	global_load_dwordx2 v[26:27], v[26:27], off glc dlc
	s_waitcnt vmcnt(0)
	global_atomic_cmpswap_x2 v[32:33], v7, v[26:29], s[6:7] offset:24 glc
	s_waitcnt vmcnt(0)
	buffer_gl1_inv
	buffer_gl0_inv
	v_cmpx_ne_u64_e64 v[32:33], v[28:29]
	s_cbranch_execz .LBB0_64
; %bb.61:                               ;   in Loop: Header=BB0_3 Depth=1
	s_mov_b32 s11, 0
	.p2align	6
.LBB0_62:                               ;   Parent Loop BB0_3 Depth=1
                                        ; =>  This Inner Loop Header: Depth=2
	s_sleep 1
	s_clause 0x1
	global_load_dwordx2 v[26:27], v7, s[6:7] offset:40
	global_load_dwordx2 v[37:38], v7, s[6:7]
	v_mov_b32_e32 v28, v32
	v_mov_b32_e32 v29, v33
	s_waitcnt vmcnt(1)
	v_and_b32_e32 v0, v26, v28
	v_and_b32_e32 v6, v27, v29
	s_waitcnt vmcnt(0)
	v_mad_u64_u32 v[32:33], null, v0, 24, v[37:38]
	v_mov_b32_e32 v0, v33
	v_mad_u64_u32 v[26:27], null, v6, 24, v[0:1]
	v_mov_b32_e32 v33, v26
	global_load_dwordx2 v[26:27], v[32:33], off glc dlc
	s_waitcnt vmcnt(0)
	global_atomic_cmpswap_x2 v[32:33], v7, v[26:29], s[6:7] offset:24 glc
	s_waitcnt vmcnt(0)
	buffer_gl1_inv
	buffer_gl0_inv
	v_cmp_eq_u64_e32 vcc_lo, v[32:33], v[28:29]
	s_or_b32 s11, vcc_lo, s11
	s_andn2_b32 exec_lo, exec_lo, s11
	s_cbranch_execnz .LBB0_62
; %bb.63:                               ;   in Loop: Header=BB0_3 Depth=1
	s_or_b32 exec_lo, exec_lo, s11
.LBB0_64:                               ;   in Loop: Header=BB0_3 Depth=1
	s_or_b32 exec_lo, exec_lo, s10
.LBB0_65:                               ;   in Loop: Header=BB0_3 Depth=1
	s_or_b32 exec_lo, exec_lo, s5
	s_waitcnt lgkmcnt(0)
	s_clause 0x1
	global_load_dwordx2 v[37:38], v7, s[6:7] offset:40
	global_load_dwordx4 v[26:29], v7, s[6:7]
	v_readfirstlane_b32 s11, v33
	v_readfirstlane_b32 s10, v32
	s_mov_b32 s5, exec_lo
	s_waitcnt vmcnt(1)
	v_readfirstlane_b32 s12, v37
	v_readfirstlane_b32 s13, v38
	s_and_b64 s[12:13], s[12:13], s[10:11]
	s_mul_i32 s16, s13, 24
	s_mul_hi_u32 s17, s12, 24
	s_mul_i32 s18, s12, 24
	s_add_i32 s17, s17, s16
	s_waitcnt vmcnt(0)
	v_add_co_u32 v32, vcc_lo, v26, s18
	v_add_co_ci_u32_e64 v33, null, s17, v27, vcc_lo
	s_and_saveexec_b32 s16, s4
	s_cbranch_execz .LBB0_67
; %bb.66:                               ;   in Loop: Header=BB0_3 Depth=1
	v_mov_b32_e32 v6, s5
	global_store_dwordx4 v[32:33], v[6:9], off offset:8
.LBB0_67:                               ;   in Loop: Header=BB0_3 Depth=1
	s_or_b32 exec_lo, exec_lo, s16
	v_cmp_gt_u64_e32 vcc_lo, 57, v[4:5]
	s_lshl_b64 s[12:13], s[12:13], 12
	v_and_b32_e32 v10, 0xffffff1f, v10
	v_lshl_add_u32 v37, v30, 2, 28
	v_cndmask_b32_e32 v6, 0, v36, vcc_lo
	v_add_co_u32 v0, vcc_lo, v28, s12
	v_add_co_ci_u32_e64 v28, null, s13, v29, vcc_lo
	v_or_b32_e32 v6, v10, v6
	v_lshlrev_b32_e32 v29, 6, v35
	v_readfirstlane_b32 s12, v0
	v_readfirstlane_b32 s13, v28
	v_and_or_b32 v10, 0x1e0, v37, v6
	global_store_dwordx4 v29, v[14:17], s[12:13] offset:16
	global_store_dwordx4 v29, v[10:13], s[12:13]
	global_store_dwordx4 v29, v[18:21], s[12:13] offset:32
	global_store_dwordx4 v29, v[22:25], s[12:13] offset:48
	s_and_saveexec_b32 s5, s4
	s_cbranch_execz .LBB0_75
; %bb.68:                               ;   in Loop: Header=BB0_3 Depth=1
	s_clause 0x1
	global_load_dwordx2 v[18:19], v7, s[6:7] offset:32 glc dlc
	global_load_dwordx2 v[10:11], v7, s[6:7] offset:40
	v_mov_b32_e32 v16, s10
	v_mov_b32_e32 v17, s11
	s_waitcnt vmcnt(0)
	v_readfirstlane_b32 s12, v10
	v_readfirstlane_b32 s13, v11
	s_and_b64 s[12:13], s[12:13], s[10:11]
	s_mul_i32 s13, s13, 24
	s_mul_hi_u32 s16, s12, 24
	s_mul_i32 s12, s12, 24
	s_add_i32 s16, s16, s13
	v_add_co_u32 v14, vcc_lo, v26, s12
	v_add_co_ci_u32_e64 v15, null, s16, v27, vcc_lo
	s_mov_b32 s12, exec_lo
	global_store_dwordx2 v[14:15], v[18:19], off
	s_waitcnt_vscnt null, 0x0
	global_atomic_cmpswap_x2 v[12:13], v7, v[16:19], s[6:7] offset:32 glc
	s_waitcnt vmcnt(0)
	v_cmpx_ne_u64_e64 v[12:13], v[18:19]
	s_cbranch_execz .LBB0_71
; %bb.69:                               ;   in Loop: Header=BB0_3 Depth=1
	s_mov_b32 s13, 0
.LBB0_70:                               ;   Parent Loop BB0_3 Depth=1
                                        ; =>  This Inner Loop Header: Depth=2
	v_mov_b32_e32 v10, s10
	v_mov_b32_e32 v11, s11
	s_sleep 1
	global_store_dwordx2 v[14:15], v[12:13], off
	s_waitcnt_vscnt null, 0x0
	global_atomic_cmpswap_x2 v[10:11], v7, v[10:13], s[6:7] offset:32 glc
	s_waitcnt vmcnt(0)
	v_cmp_eq_u64_e32 vcc_lo, v[10:11], v[12:13]
	v_mov_b32_e32 v13, v11
	v_mov_b32_e32 v12, v10
	s_or_b32 s13, vcc_lo, s13
	s_andn2_b32 exec_lo, exec_lo, s13
	s_cbranch_execnz .LBB0_70
.LBB0_71:                               ;   in Loop: Header=BB0_3 Depth=1
	s_or_b32 exec_lo, exec_lo, s12
	global_load_dwordx2 v[10:11], v7, s[6:7] offset:16
	s_mov_b32 s13, exec_lo
	s_mov_b32 s12, exec_lo
	v_mbcnt_lo_u32_b32 v6, s13, 0
	v_cmpx_eq_u32_e32 0, v6
	s_cbranch_execz .LBB0_73
; %bb.72:                               ;   in Loop: Header=BB0_3 Depth=1
	s_bcnt1_i32_b32 s13, s13
	v_mov_b32_e32 v6, s13
	s_waitcnt vmcnt(0)
	global_atomic_add_x2 v[10:11], v[6:7], off offset:8
.LBB0_73:                               ;   in Loop: Header=BB0_3 Depth=1
	s_or_b32 exec_lo, exec_lo, s12
	s_waitcnt vmcnt(0)
	global_load_dwordx2 v[12:13], v[10:11], off offset:16
	s_waitcnt vmcnt(0)
	v_cmp_eq_u64_e32 vcc_lo, 0, v[12:13]
	s_cbranch_vccnz .LBB0_75
; %bb.74:                               ;   in Loop: Header=BB0_3 Depth=1
	global_load_dword v6, v[10:11], off offset:24
	s_waitcnt vmcnt(0)
	v_readfirstlane_b32 s12, v6
	s_waitcnt_vscnt null, 0x0
	global_store_dwordx2 v[12:13], v[6:7], off
	s_and_b32 m0, s12, 0x7fffff
	s_sendmsg sendmsg(MSG_INTERRUPT)
.LBB0_75:                               ;   in Loop: Header=BB0_3 Depth=1
	s_or_b32 exec_lo, exec_lo, s5
	v_add_co_u32 v10, vcc_lo, v0, v29
	v_add_co_ci_u32_e64 v11, null, 0, v28, vcc_lo
	s_branch .LBB0_79
	.p2align	6
.LBB0_76:                               ;   in Loop: Header=BB0_79 Depth=2
	s_or_b32 exec_lo, exec_lo, s5
	v_readfirstlane_b32 s5, v0
	s_cmp_eq_u32 s5, 0
	s_cbranch_scc1 .LBB0_78
; %bb.77:                               ;   in Loop: Header=BB0_79 Depth=2
	s_sleep 1
	s_cbranch_execnz .LBB0_79
	s_branch .LBB0_81
	.p2align	6
.LBB0_78:                               ;   in Loop: Header=BB0_3 Depth=1
	s_branch .LBB0_81
.LBB0_79:                               ;   Parent Loop BB0_3 Depth=1
                                        ; =>  This Inner Loop Header: Depth=2
	v_mov_b32_e32 v0, 1
	s_and_saveexec_b32 s5, s4
	s_cbranch_execz .LBB0_76
; %bb.80:                               ;   in Loop: Header=BB0_79 Depth=2
	global_load_dword v0, v[32:33], off offset:20 glc dlc
	s_waitcnt vmcnt(0)
	buffer_gl1_inv
	buffer_gl0_inv
	v_and_b32_e32 v0, 1, v0
	s_branch .LBB0_76
.LBB0_81:                               ;   in Loop: Header=BB0_3 Depth=1
	global_load_dwordx4 v[10:13], v[10:11], off
	s_and_saveexec_b32 s12, s4
	s_cbranch_execz .LBB0_2
; %bb.82:                               ;   in Loop: Header=BB0_3 Depth=1
	s_clause 0x2
	global_load_dwordx2 v[12:13], v7, s[6:7] offset:40
	global_load_dwordx2 v[20:21], v7, s[6:7] offset:24 glc dlc
	global_load_dwordx2 v[14:15], v7, s[6:7]
	s_waitcnt vmcnt(2)
	v_readfirstlane_b32 s16, v12
	v_readfirstlane_b32 s17, v13
	s_add_u32 s13, s16, 1
	s_addc_u32 s18, s17, 0
	s_add_u32 s4, s13, s10
	s_addc_u32 s5, s18, s11
	s_cmp_eq_u64 s[4:5], 0
	s_cselect_b32 s5, s18, s5
	s_cselect_b32 s4, s13, s4
	v_mov_b32_e32 v19, s5
	s_and_b64 s[10:11], s[4:5], s[16:17]
	v_mov_b32_e32 v18, s4
	s_mul_i32 s11, s11, 24
	s_mul_hi_u32 s13, s10, 24
	s_mul_i32 s10, s10, 24
	s_add_i32 s13, s13, s11
	s_waitcnt vmcnt(0)
	v_add_co_u32 v16, vcc_lo, v14, s10
	v_add_co_ci_u32_e64 v17, null, s13, v15, vcc_lo
	global_store_dwordx2 v[16:17], v[20:21], off
	s_waitcnt_vscnt null, 0x0
	global_atomic_cmpswap_x2 v[14:15], v7, v[18:21], s[6:7] offset:24 glc
	s_waitcnt vmcnt(0)
	v_cmp_ne_u64_e32 vcc_lo, v[14:15], v[20:21]
	s_and_b32 exec_lo, exec_lo, vcc_lo
	s_cbranch_execz .LBB0_2
; %bb.83:                               ;   in Loop: Header=BB0_3 Depth=1
	s_mov_b32 s10, 0
.LBB0_84:                               ;   Parent Loop BB0_3 Depth=1
                                        ; =>  This Inner Loop Header: Depth=2
	v_mov_b32_e32 v12, s4
	v_mov_b32_e32 v13, s5
	s_sleep 1
	global_store_dwordx2 v[16:17], v[14:15], off
	s_waitcnt_vscnt null, 0x0
	global_atomic_cmpswap_x2 v[12:13], v7, v[12:15], s[6:7] offset:24 glc
	s_waitcnt vmcnt(0)
	v_cmp_eq_u64_e32 vcc_lo, v[12:13], v[14:15]
	v_mov_b32_e32 v15, v13
	v_mov_b32_e32 v14, v12
	s_or_b32 s10, vcc_lo, s10
	s_andn2_b32 exec_lo, exec_lo, s10
	s_cbranch_execnz .LBB0_84
	s_branch .LBB0_2
.LBB0_85:
	s_or_b32 exec_lo, exec_lo, s15
	s_branch .LBB0_114
.LBB0_86:
	s_load_dwordx2 s[6:7], s[8:9], 0x50
	v_readfirstlane_b32 s4, v35
	v_mov_b32_e32 v8, 0
	v_mov_b32_e32 v9, 0
	v_cmp_eq_u32_e64 s4, s4, v35
	s_and_saveexec_b32 s5, s4
	s_cbranch_execz .LBB0_92
; %bb.87:
	v_mov_b32_e32 v0, 0
	s_mov_b32 s8, exec_lo
	s_waitcnt lgkmcnt(0)
	global_load_dwordx2 v[4:5], v0, s[6:7] offset:24 glc dlc
	s_waitcnt vmcnt(0)
	buffer_gl1_inv
	buffer_gl0_inv
	s_clause 0x1
	global_load_dwordx2 v[2:3], v0, s[6:7] offset:40
	global_load_dwordx2 v[6:7], v0, s[6:7]
	s_waitcnt vmcnt(1)
	v_and_b32_e32 v3, v3, v5
	v_and_b32_e32 v2, v2, v4
	v_mul_lo_u32 v3, v3, 24
	v_mul_hi_u32 v8, v2, 24
	v_mul_lo_u32 v2, v2, 24
	v_add_nc_u32_e32 v3, v8, v3
	s_waitcnt vmcnt(0)
	v_add_co_u32 v2, vcc_lo, v6, v2
	v_add_co_ci_u32_e64 v3, null, v7, v3, vcc_lo
	global_load_dwordx2 v[2:3], v[2:3], off glc dlc
	s_waitcnt vmcnt(0)
	global_atomic_cmpswap_x2 v[8:9], v0, v[2:5], s[6:7] offset:24 glc
	s_waitcnt vmcnt(0)
	buffer_gl1_inv
	buffer_gl0_inv
	v_cmpx_ne_u64_e64 v[8:9], v[4:5]
	s_cbranch_execz .LBB0_91
; %bb.88:
	s_mov_b32 s9, 0
	.p2align	6
.LBB0_89:                               ; =>This Inner Loop Header: Depth=1
	s_sleep 1
	s_clause 0x1
	global_load_dwordx2 v[2:3], v0, s[6:7] offset:40
	global_load_dwordx2 v[6:7], v0, s[6:7]
	v_mov_b32_e32 v4, v8
	v_mov_b32_e32 v5, v9
	s_waitcnt vmcnt(1)
	v_and_b32_e32 v2, v2, v4
	v_and_b32_e32 v3, v3, v5
	s_waitcnt vmcnt(0)
	v_mad_u64_u32 v[6:7], null, v2, 24, v[6:7]
	v_mov_b32_e32 v2, v7
	v_mad_u64_u32 v[2:3], null, v3, 24, v[2:3]
	v_mov_b32_e32 v7, v2
	global_load_dwordx2 v[2:3], v[6:7], off glc dlc
	s_waitcnt vmcnt(0)
	global_atomic_cmpswap_x2 v[8:9], v0, v[2:5], s[6:7] offset:24 glc
	s_waitcnt vmcnt(0)
	buffer_gl1_inv
	buffer_gl0_inv
	v_cmp_eq_u64_e32 vcc_lo, v[8:9], v[4:5]
	s_or_b32 s9, vcc_lo, s9
	s_andn2_b32 exec_lo, exec_lo, s9
	s_cbranch_execnz .LBB0_89
; %bb.90:
	s_or_b32 exec_lo, exec_lo, s9
.LBB0_91:
	s_or_b32 exec_lo, exec_lo, s8
.LBB0_92:
	s_or_b32 exec_lo, exec_lo, s5
	v_mov_b32_e32 v2, 0
	v_readfirstlane_b32 s9, v9
	v_readfirstlane_b32 s8, v8
	s_mov_b32 s5, exec_lo
	s_waitcnt lgkmcnt(0)
	s_clause 0x1
	global_load_dwordx2 v[10:11], v2, s[6:7] offset:40
	global_load_dwordx4 v[4:7], v2, s[6:7]
	s_waitcnt vmcnt(1)
	v_readfirstlane_b32 s10, v10
	v_readfirstlane_b32 s11, v11
	s_and_b64 s[10:11], s[10:11], s[8:9]
	s_mul_i32 s12, s11, 24
	s_mul_hi_u32 s13, s10, 24
	s_mul_i32 s14, s10, 24
	s_add_i32 s13, s13, s12
	s_waitcnt vmcnt(0)
	v_add_co_u32 v8, vcc_lo, v4, s14
	v_add_co_ci_u32_e64 v9, null, s13, v5, vcc_lo
	s_and_saveexec_b32 s12, s4
	s_cbranch_execz .LBB0_94
; %bb.93:
	v_mov_b32_e32 v10, s5
	v_mov_b32_e32 v11, v2
	v_mov_b32_e32 v12, 2
	v_mov_b32_e32 v13, 1
	global_store_dwordx4 v[8:9], v[10:13], off offset:8
.LBB0_94:
	s_or_b32 exec_lo, exec_lo, s12
	s_lshl_b64 s[10:11], s[10:11], 12
	s_mov_b32 s12, 0
	v_add_co_u32 v6, vcc_lo, v6, s10
	v_add_co_ci_u32_e64 v7, null, s11, v7, vcc_lo
	s_mov_b32 s13, s12
	s_mov_b32 s14, s12
	;; [unrolled: 1-line block ×3, first 2 shown]
	v_and_or_b32 v0, 0xffffff1f, v34, 32
	v_lshlrev_b32_e32 v14, 6, v35
	v_mov_b32_e32 v3, v2
	v_readfirstlane_b32 s10, v6
	v_readfirstlane_b32 s11, v7
	v_mov_b32_e32 v10, s12
	v_mov_b32_e32 v11, s13
	;; [unrolled: 1-line block ×4, first 2 shown]
	global_store_dwordx4 v14, v[0:3], s[10:11]
	global_store_dwordx4 v14, v[10:13], s[10:11] offset:16
	global_store_dwordx4 v14, v[10:13], s[10:11] offset:32
	;; [unrolled: 1-line block ×3, first 2 shown]
	s_and_saveexec_b32 s5, s4
	s_cbranch_execz .LBB0_102
; %bb.95:
	v_mov_b32_e32 v6, 0
	v_mov_b32_e32 v10, s8
	;; [unrolled: 1-line block ×3, first 2 shown]
	s_mov_b32 s10, exec_lo
	s_clause 0x1
	global_load_dwordx2 v[12:13], v6, s[6:7] offset:32 glc dlc
	global_load_dwordx2 v[0:1], v6, s[6:7] offset:40
	s_waitcnt vmcnt(0)
	v_and_b32_e32 v1, s9, v1
	v_and_b32_e32 v0, s8, v0
	v_mul_lo_u32 v1, v1, 24
	v_mul_hi_u32 v2, v0, 24
	v_mul_lo_u32 v0, v0, 24
	v_add_nc_u32_e32 v1, v2, v1
	v_add_co_u32 v4, vcc_lo, v4, v0
	v_add_co_ci_u32_e64 v5, null, v5, v1, vcc_lo
	global_store_dwordx2 v[4:5], v[12:13], off
	s_waitcnt_vscnt null, 0x0
	global_atomic_cmpswap_x2 v[2:3], v6, v[10:13], s[6:7] offset:32 glc
	s_waitcnt vmcnt(0)
	v_cmpx_ne_u64_e64 v[2:3], v[12:13]
	s_cbranch_execz .LBB0_98
; %bb.96:
	s_mov_b32 s11, 0
.LBB0_97:                               ; =>This Inner Loop Header: Depth=1
	v_mov_b32_e32 v0, s8
	v_mov_b32_e32 v1, s9
	s_sleep 1
	global_store_dwordx2 v[4:5], v[2:3], off
	s_waitcnt_vscnt null, 0x0
	global_atomic_cmpswap_x2 v[0:1], v6, v[0:3], s[6:7] offset:32 glc
	s_waitcnt vmcnt(0)
	v_cmp_eq_u64_e32 vcc_lo, v[0:1], v[2:3]
	v_mov_b32_e32 v3, v1
	v_mov_b32_e32 v2, v0
	s_or_b32 s11, vcc_lo, s11
	s_andn2_b32 exec_lo, exec_lo, s11
	s_cbranch_execnz .LBB0_97
.LBB0_98:
	s_or_b32 exec_lo, exec_lo, s10
	v_mov_b32_e32 v3, 0
	s_mov_b32 s11, exec_lo
	s_mov_b32 s10, exec_lo
	v_mbcnt_lo_u32_b32 v2, s11, 0
	global_load_dwordx2 v[0:1], v3, s[6:7] offset:16
	v_cmpx_eq_u32_e32 0, v2
	s_cbranch_execz .LBB0_100
; %bb.99:
	s_bcnt1_i32_b32 s11, s11
	v_mov_b32_e32 v2, s11
	s_waitcnt vmcnt(0)
	global_atomic_add_x2 v[0:1], v[2:3], off offset:8
.LBB0_100:
	s_or_b32 exec_lo, exec_lo, s10
	s_waitcnt vmcnt(0)
	global_load_dwordx2 v[2:3], v[0:1], off offset:16
	s_waitcnt vmcnt(0)
	v_cmp_eq_u64_e32 vcc_lo, 0, v[2:3]
	s_cbranch_vccnz .LBB0_102
; %bb.101:
	global_load_dword v0, v[0:1], off offset:24
	v_mov_b32_e32 v1, 0
	s_waitcnt vmcnt(0)
	v_readfirstlane_b32 s10, v0
	s_waitcnt_vscnt null, 0x0
	global_store_dwordx2 v[2:3], v[0:1], off
	s_and_b32 m0, s10, 0x7fffff
	s_sendmsg sendmsg(MSG_INTERRUPT)
.LBB0_102:
	s_or_b32 exec_lo, exec_lo, s5
	s_branch .LBB0_106
	.p2align	6
.LBB0_103:                              ;   in Loop: Header=BB0_106 Depth=1
	s_or_b32 exec_lo, exec_lo, s5
	v_readfirstlane_b32 s5, v0
	s_cmp_eq_u32 s5, 0
	s_cbranch_scc1 .LBB0_105
; %bb.104:                              ;   in Loop: Header=BB0_106 Depth=1
	s_sleep 1
	s_cbranch_execnz .LBB0_106
	s_branch .LBB0_108
	.p2align	6
.LBB0_105:
	s_branch .LBB0_108
.LBB0_106:                              ; =>This Inner Loop Header: Depth=1
	v_mov_b32_e32 v0, 1
	s_and_saveexec_b32 s5, s4
	s_cbranch_execz .LBB0_103
; %bb.107:                              ;   in Loop: Header=BB0_106 Depth=1
	global_load_dword v0, v[8:9], off offset:20 glc dlc
	s_waitcnt vmcnt(0)
	buffer_gl1_inv
	buffer_gl0_inv
	v_and_b32_e32 v0, 1, v0
	s_branch .LBB0_103
.LBB0_108:
	s_and_saveexec_b32 s10, s4
	s_cbranch_execz .LBB0_112
; %bb.109:
	v_mov_b32_e32 v6, 0
	s_clause 0x2
	global_load_dwordx2 v[0:1], v6, s[6:7] offset:40
	global_load_dwordx2 v[9:10], v6, s[6:7] offset:24 glc dlc
	global_load_dwordx2 v[2:3], v6, s[6:7]
	s_waitcnt vmcnt(2)
	v_readfirstlane_b32 s12, v0
	v_readfirstlane_b32 s13, v1
	s_add_u32 s11, s12, 1
	s_addc_u32 s14, s13, 0
	s_add_u32 s4, s11, s8
	s_addc_u32 s5, s14, s9
	s_cmp_eq_u64 s[4:5], 0
	s_cselect_b32 s5, s14, s5
	s_cselect_b32 s4, s11, s4
	v_mov_b32_e32 v8, s5
	s_and_b64 s[8:9], s[4:5], s[12:13]
	v_mov_b32_e32 v7, s4
	s_mul_i32 s9, s9, 24
	s_mul_hi_u32 s11, s8, 24
	s_mul_i32 s8, s8, 24
	s_add_i32 s11, s11, s9
	s_waitcnt vmcnt(0)
	v_add_co_u32 v4, vcc_lo, v2, s8
	v_add_co_ci_u32_e64 v5, null, s11, v3, vcc_lo
	global_store_dwordx2 v[4:5], v[9:10], off
	s_waitcnt_vscnt null, 0x0
	global_atomic_cmpswap_x2 v[2:3], v6, v[7:10], s[6:7] offset:24 glc
	s_waitcnt vmcnt(0)
	v_cmp_ne_u64_e32 vcc_lo, v[2:3], v[9:10]
	s_and_b32 exec_lo, exec_lo, vcc_lo
	s_cbranch_execz .LBB0_112
; %bb.110:
	s_mov_b32 s8, 0
.LBB0_111:                              ; =>This Inner Loop Header: Depth=1
	v_mov_b32_e32 v0, s4
	v_mov_b32_e32 v1, s5
	s_sleep 1
	global_store_dwordx2 v[4:5], v[2:3], off
	s_waitcnt_vscnt null, 0x0
	global_atomic_cmpswap_x2 v[0:1], v6, v[0:3], s[6:7] offset:24 glc
	s_waitcnt vmcnt(0)
	v_cmp_eq_u64_e32 vcc_lo, v[0:1], v[2:3]
	v_mov_b32_e32 v3, v1
	v_mov_b32_e32 v2, v0
	s_or_b32 s8, vcc_lo, s8
	s_andn2_b32 exec_lo, exec_lo, s8
	s_cbranch_execnz .LBB0_111
.LBB0_112:
	s_or_b32 exec_lo, exec_lo, s10
	s_waitcnt lgkmcnt(0)
	s_setpc_b64 s[30:31]
.LBB0_113:
	s_cbranch_execnz .LBB0_86
.LBB0_114:
	s_waitcnt vmcnt(0) lgkmcnt(0)
	s_setpc_b64 s[30:31]
.Lfunc_end0:
	.size	__ockl_fprintf_append_string_n, .Lfunc_end0-__ockl_fprintf_append_string_n
                                        ; -- End function
	.set .L__ockl_fprintf_append_string_n.num_vgpr, 39
	.set .L__ockl_fprintf_append_string_n.num_agpr, 0
	.set .L__ockl_fprintf_append_string_n.numbered_sgpr, 32
	.set .L__ockl_fprintf_append_string_n.num_named_barrier, 0
	.set .L__ockl_fprintf_append_string_n.private_seg_size, 0
	.set .L__ockl_fprintf_append_string_n.uses_vcc, 1
	.set .L__ockl_fprintf_append_string_n.uses_flat_scratch, 0
	.set .L__ockl_fprintf_append_string_n.has_dyn_sized_stack, 0
	.set .L__ockl_fprintf_append_string_n.has_recursion, 0
	.set .L__ockl_fprintf_append_string_n.has_indirect_call, 0
	.section	.AMDGPU.csdata,"",@progbits
; Function info:
; codeLenInByte = 4528
; TotalNumSgprs: 34
; NumVgprs: 39
; ScratchSize: 0
; MemoryBound: 0
	.text
	.p2align	2                               ; -- Begin function __assert_fail
	.type	__assert_fail,@function
__assert_fail:                          ; @__assert_fail
; %bb.0:
	s_waitcnt vmcnt(0) expcnt(0) lgkmcnt(0)
	s_mov_b32 s24, s33
	s_mov_b32 s33, s32
	s_xor_saveexec_b32 s4, -1
	buffer_store_dword v39, off, s[0:3], s33 offset:48 ; 4-byte Folded Spill
	s_mov_b32 exec_lo, s4
	v_writelane_b32 v39, s30, 0
	s_addk_i32 s32, 0x800
	v_writelane_b32 v39, s31, 1
	v_mov_b32_e32 v4, v0
	v_mov_b32_e32 v0, 0
	s_getpc_b64 s[4:5]
	s_add_u32 s4, s4, __const.__assert_fail.fmt@rel32@lo+35
	s_addc_u32 s5, s5, __const.__assert_fail.fmt@rel32@hi+43
	v_mbcnt_lo_u32_b32 v32, -1, 0
	v_mov_b32_e32 v6, 0
	v_mov_b32_e32 v5, v1
	global_load_dwordx4 v[8:11], v0, s[4:5]
	s_getpc_b64 s[4:5]
	s_add_u32 s4, s4, __const.__assert_fail.fmt@rel32@lo+4
	s_addc_u32 s5, s5, __const.__assert_fail.fmt@rel32@hi+12
	s_getpc_b64 s[6:7]
	s_add_u32 s6, s6, __const.__assert_fail.fmt@rel32@lo+20
	s_addc_u32 s7, s7, __const.__assert_fail.fmt@rel32@hi+28
	s_clause 0x1
	s_load_dwordx4 s[12:15], s[4:5], 0x0
	s_load_dwordx4 s[16:19], s[6:7], 0x0
	s_load_dwordx2 s[6:7], s[8:9], 0x50
	v_readfirstlane_b32 s4, v32
	v_mov_b32_e32 v7, 0
	v_cmp_eq_u32_e64 s4, s4, v32
	s_waitcnt lgkmcnt(0)
	v_mov_b32_e32 v1, s15
	v_mov_b32_e32 v2, s14
	;; [unrolled: 1-line block ×8, first 2 shown]
	buffer_store_dword v1, off, s[0:3], s33 offset:12
	buffer_store_dword v2, off, s[0:3], s33 offset:8
	;; [unrolled: 1-line block ×3, first 2 shown]
	buffer_store_dword v12, off, s[0:3], s33
	buffer_store_dword v13, off, s[0:3], s33 offset:28
	buffer_store_dword v14, off, s[0:3], s33 offset:24
	;; [unrolled: 1-line block ×4, first 2 shown]
	s_waitcnt vmcnt(0)
	buffer_store_dword v11, off, s[0:3], s33 offset:43
	buffer_store_dword v10, off, s[0:3], s33 offset:39
	;; [unrolled: 1-line block ×4, first 2 shown]
	s_and_saveexec_b32 s5, s4
	s_cbranch_execz .LBB1_6
; %bb.1:
	global_load_dwordx2 v[8:9], v0, s[6:7] offset:24 glc dlc
	s_waitcnt vmcnt(0)
	buffer_gl1_inv
	buffer_gl0_inv
	s_clause 0x1
	global_load_dwordx2 v[1:2], v0, s[6:7] offset:40
	global_load_dwordx2 v[6:7], v0, s[6:7]
	s_mov_b32 s10, exec_lo
	s_waitcnt vmcnt(1)
	v_and_b32_e32 v2, v2, v9
	v_and_b32_e32 v1, v1, v8
	v_mul_lo_u32 v2, v2, 24
	v_mul_hi_u32 v3, v1, 24
	v_mul_lo_u32 v1, v1, 24
	v_add_nc_u32_e32 v2, v3, v2
	s_waitcnt vmcnt(0)
	v_add_co_u32 v1, vcc_lo, v6, v1
	v_add_co_ci_u32_e64 v2, null, v7, v2, vcc_lo
	global_load_dwordx2 v[6:7], v[1:2], off glc dlc
	s_waitcnt vmcnt(0)
	global_atomic_cmpswap_x2 v[6:7], v0, v[6:9], s[6:7] offset:24 glc
	s_waitcnt vmcnt(0)
	buffer_gl1_inv
	buffer_gl0_inv
	v_cmpx_ne_u64_e64 v[6:7], v[8:9]
	s_cbranch_execz .LBB1_5
; %bb.2:
	v_mov_b32_e32 v1, 0
	s_mov_b32 s11, 0
	.p2align	6
.LBB1_3:                                ; =>This Inner Loop Header: Depth=1
	s_sleep 1
	s_clause 0x1
	global_load_dwordx2 v[2:3], v1, s[6:7] offset:40
	global_load_dwordx2 v[10:11], v1, s[6:7]
	v_mov_b32_e32 v9, v7
	v_mov_b32_e32 v8, v6
	s_waitcnt vmcnt(1)
	v_and_b32_e32 v2, v2, v8
	v_and_b32_e32 v3, v3, v9
	s_waitcnt vmcnt(0)
	v_mad_u64_u32 v[6:7], null, v2, 24, v[10:11]
	v_mov_b32_e32 v2, v7
	v_mad_u64_u32 v[2:3], null, v3, 24, v[2:3]
	v_mov_b32_e32 v7, v2
	global_load_dwordx2 v[6:7], v[6:7], off glc dlc
	s_waitcnt vmcnt(0)
	global_atomic_cmpswap_x2 v[6:7], v1, v[6:9], s[6:7] offset:24 glc
	s_waitcnt vmcnt(0)
	buffer_gl1_inv
	buffer_gl0_inv
	v_cmp_eq_u64_e32 vcc_lo, v[6:7], v[8:9]
	s_or_b32 s11, vcc_lo, s11
	s_andn2_b32 exec_lo, exec_lo, s11
	s_cbranch_execnz .LBB1_3
; %bb.4:
	s_or_b32 exec_lo, exec_lo, s11
.LBB1_5:
	s_or_b32 exec_lo, exec_lo, s10
.LBB1_6:
	s_or_b32 exec_lo, exec_lo, s5
	s_clause 0x1
	global_load_dwordx2 v[8:9], v0, s[6:7] offset:40
	global_load_dwordx4 v[0:3], v0, s[6:7]
	v_readfirstlane_b32 s11, v7
	v_readfirstlane_b32 s10, v6
	s_mov_b32 s5, exec_lo
	s_waitcnt vmcnt(1)
	v_readfirstlane_b32 s12, v8
	v_readfirstlane_b32 s13, v9
	s_and_b64 s[12:13], s[12:13], s[10:11]
	s_mul_i32 s14, s13, 24
	s_mul_hi_u32 s15, s12, 24
	s_mul_i32 s16, s12, 24
	s_add_i32 s15, s15, s14
	s_waitcnt vmcnt(0)
	v_add_co_u32 v10, vcc_lo, v0, s16
	v_add_co_ci_u32_e64 v11, null, s15, v1, vcc_lo
	s_and_saveexec_b32 s14, s4
	s_cbranch_execz .LBB1_8
; %bb.7:
	v_mov_b32_e32 v6, s5
	v_mov_b32_e32 v7, 0
	;; [unrolled: 1-line block ×4, first 2 shown]
	global_store_dwordx4 v[10:11], v[6:9], off offset:8
.LBB1_8:
	s_or_b32 exec_lo, exec_lo, s14
	s_lshl_b64 s[12:13], s[12:13], 12
	v_lshlrev_b32_e32 v33, 6, v32
	v_add_co_u32 v2, vcc_lo, v2, s12
	v_add_co_ci_u32_e64 v3, null, s13, v3, vcc_lo
	v_mov_b32_e32 v7, 0
	s_mov_b32 s12, 0
	v_add_co_u32 v12, vcc_lo, v2, v33
	s_mov_b32 s15, s12
	s_mov_b32 s13, s12
	;; [unrolled: 1-line block ×3, first 2 shown]
	v_mov_b32_e32 v6, 33
	v_mov_b32_e32 v8, 1
	;; [unrolled: 1-line block ×3, first 2 shown]
	v_readfirstlane_b32 s16, v2
	v_readfirstlane_b32 s17, v3
	v_mov_b32_e32 v17, s15
	v_add_co_ci_u32_e64 v13, null, 0, v3, vcc_lo
	v_mov_b32_e32 v16, s14
	v_mov_b32_e32 v15, s13
	;; [unrolled: 1-line block ×3, first 2 shown]
	global_store_dwordx4 v33, v[6:9], s[16:17]
	global_store_dwordx4 v33, v[14:17], s[16:17] offset:16
	global_store_dwordx4 v33, v[14:17], s[16:17] offset:32
	;; [unrolled: 1-line block ×3, first 2 shown]
	s_and_saveexec_b32 s5, s4
	s_cbranch_execz .LBB1_16
; %bb.9:
	s_clause 0x1
	global_load_dwordx2 v[16:17], v7, s[6:7] offset:32 glc dlc
	global_load_dwordx2 v[2:3], v7, s[6:7] offset:40
	v_mov_b32_e32 v14, s10
	v_mov_b32_e32 v15, s11
	s_mov_b32 s12, exec_lo
	s_waitcnt vmcnt(0)
	v_and_b32_e32 v3, s11, v3
	v_and_b32_e32 v2, s10, v2
	v_mul_lo_u32 v3, v3, 24
	v_mul_hi_u32 v6, v2, 24
	v_mul_lo_u32 v2, v2, 24
	v_add_nc_u32_e32 v3, v6, v3
	v_add_co_u32 v8, vcc_lo, v0, v2
	v_add_co_ci_u32_e64 v9, null, v1, v3, vcc_lo
	global_store_dwordx2 v[8:9], v[16:17], off
	s_waitcnt_vscnt null, 0x0
	global_atomic_cmpswap_x2 v[2:3], v7, v[14:17], s[6:7] offset:32 glc
	s_waitcnt vmcnt(0)
	v_cmpx_ne_u64_e64 v[2:3], v[16:17]
	s_cbranch_execz .LBB1_12
; %bb.10:
	v_mov_b32_e32 v6, 0
	s_mov_b32 s13, 0
.LBB1_11:                               ; =>This Inner Loop Header: Depth=1
	v_mov_b32_e32 v0, s10
	v_mov_b32_e32 v1, s11
	s_sleep 1
	global_store_dwordx2 v[8:9], v[2:3], off
	s_waitcnt_vscnt null, 0x0
	global_atomic_cmpswap_x2 v[0:1], v6, v[0:3], s[6:7] offset:32 glc
	s_waitcnt vmcnt(0)
	v_cmp_eq_u64_e32 vcc_lo, v[0:1], v[2:3]
	v_mov_b32_e32 v3, v1
	v_mov_b32_e32 v2, v0
	s_or_b32 s13, vcc_lo, s13
	s_andn2_b32 exec_lo, exec_lo, s13
	s_cbranch_execnz .LBB1_11
.LBB1_12:
	s_or_b32 exec_lo, exec_lo, s12
	v_mov_b32_e32 v3, 0
	s_mov_b32 s13, exec_lo
	s_mov_b32 s12, exec_lo
	v_mbcnt_lo_u32_b32 v2, s13, 0
	global_load_dwordx2 v[0:1], v3, s[6:7] offset:16
	v_cmpx_eq_u32_e32 0, v2
	s_cbranch_execz .LBB1_14
; %bb.13:
	s_bcnt1_i32_b32 s13, s13
	v_mov_b32_e32 v2, s13
	s_waitcnt vmcnt(0)
	global_atomic_add_x2 v[0:1], v[2:3], off offset:8
.LBB1_14:
	s_or_b32 exec_lo, exec_lo, s12
	s_waitcnt vmcnt(0)
	global_load_dwordx2 v[2:3], v[0:1], off offset:16
	s_waitcnt vmcnt(0)
	v_cmp_eq_u64_e32 vcc_lo, 0, v[2:3]
	s_cbranch_vccnz .LBB1_16
; %bb.15:
	global_load_dword v0, v[0:1], off offset:24
	v_mov_b32_e32 v1, 0
	s_waitcnt vmcnt(0)
	v_readfirstlane_b32 s12, v0
	s_waitcnt_vscnt null, 0x0
	global_store_dwordx2 v[2:3], v[0:1], off
	s_and_b32 m0, s12, 0x7fffff
	s_sendmsg sendmsg(MSG_INTERRUPT)
.LBB1_16:
	s_or_b32 exec_lo, exec_lo, s5
	s_branch .LBB1_20
	.p2align	6
.LBB1_17:                               ;   in Loop: Header=BB1_20 Depth=1
	s_or_b32 exec_lo, exec_lo, s5
	v_readfirstlane_b32 s5, v0
	s_cmp_eq_u32 s5, 0
	s_cbranch_scc1 .LBB1_19
; %bb.18:                               ;   in Loop: Header=BB1_20 Depth=1
	s_sleep 1
	s_cbranch_execnz .LBB1_20
	s_branch .LBB1_22
	.p2align	6
.LBB1_19:
	s_branch .LBB1_22
.LBB1_20:                               ; =>This Inner Loop Header: Depth=1
	v_mov_b32_e32 v0, 1
	s_and_saveexec_b32 s5, s4
	s_cbranch_execz .LBB1_17
; %bb.21:                               ;   in Loop: Header=BB1_20 Depth=1
	global_load_dword v0, v[10:11], off offset:20 glc dlc
	s_waitcnt vmcnt(0)
	buffer_gl1_inv
	buffer_gl0_inv
	v_and_b32_e32 v0, 1, v0
	s_branch .LBB1_17
.LBB1_22:
	global_load_dwordx2 v[6:7], v[12:13], off
	s_and_saveexec_b32 s12, s4
	s_cbranch_execz .LBB1_26
; %bb.23:
	v_mov_b32_e32 v10, 0
	s_clause 0x2
	global_load_dwordx2 v[0:1], v10, s[6:7] offset:40
	global_load_dwordx2 v[13:14], v10, s[6:7] offset:24 glc dlc
	global_load_dwordx2 v[2:3], v10, s[6:7]
	s_waitcnt vmcnt(2)
	v_readfirstlane_b32 s14, v0
	v_readfirstlane_b32 s15, v1
	s_add_u32 s13, s14, 1
	s_addc_u32 s16, s15, 0
	s_add_u32 s4, s13, s10
	s_addc_u32 s5, s16, s11
	s_cmp_eq_u64 s[4:5], 0
	s_cselect_b32 s5, s16, s5
	s_cselect_b32 s4, s13, s4
	v_mov_b32_e32 v12, s5
	s_and_b64 s[10:11], s[4:5], s[14:15]
	v_mov_b32_e32 v11, s4
	s_mul_i32 s11, s11, 24
	s_mul_hi_u32 s13, s10, 24
	s_mul_i32 s10, s10, 24
	s_add_i32 s13, s13, s11
	s_waitcnt vmcnt(0)
	v_add_co_u32 v8, vcc_lo, v2, s10
	v_add_co_ci_u32_e64 v9, null, s13, v3, vcc_lo
	global_store_dwordx2 v[8:9], v[13:14], off
	s_waitcnt_vscnt null, 0x0
	global_atomic_cmpswap_x2 v[2:3], v10, v[11:14], s[6:7] offset:24 glc
	s_waitcnt vmcnt(0)
	v_cmp_ne_u64_e32 vcc_lo, v[2:3], v[13:14]
	s_and_b32 exec_lo, exec_lo, vcc_lo
	s_cbranch_execz .LBB1_26
; %bb.24:
	s_mov_b32 s10, 0
.LBB1_25:                               ; =>This Inner Loop Header: Depth=1
	v_mov_b32_e32 v0, s4
	v_mov_b32_e32 v1, s5
	s_sleep 1
	global_store_dwordx2 v[8:9], v[2:3], off
	s_waitcnt_vscnt null, 0x0
	global_atomic_cmpswap_x2 v[0:1], v10, v[0:3], s[6:7] offset:24 glc
	s_waitcnt vmcnt(0)
	v_cmp_eq_u64_e32 vcc_lo, v[0:1], v[2:3]
	v_mov_b32_e32 v3, v1
	v_mov_b32_e32 v2, v0
	s_or_b32 s10, vcc_lo, s10
	s_andn2_b32 exec_lo, exec_lo, s10
	s_cbranch_execnz .LBB1_25
.LBB1_26:
	s_or_b32 exec_lo, exec_lo, s12
	s_lshr_b32 s5, s33, 5
	s_mov_b32 s4, 0
.LBB1_27:                               ; =>This Inner Loop Header: Depth=1
	v_mov_b32_e32 v0, s5
	s_add_i32 s5, s5, 1
	buffer_load_ubyte v0, v0, s[0:3], 0 offen
	s_waitcnt vmcnt(0)
	v_cmp_eq_u16_e32 vcc_lo, 0, v0
	v_mov_b32_e32 v0, s5
	s_or_b32 s4, vcc_lo, s4
	s_andn2_b32 exec_lo, exec_lo, s4
	s_cbranch_execnz .LBB1_27
; %bb.28:
	s_or_b32 exec_lo, exec_lo, s4
	s_lshr_b32 s4, s33, 5
	s_cmp_lg_u32 s4, -1
	s_cbranch_scc0 .LBB1_113
; %bb.29:
	v_lshrrev_b32_e64 v1, 5, s33
	v_and_b32_e32 v34, 2, v6
	v_mov_b32_e32 v9, 0
	v_lshrrev_b32_e64 v35, 5, s33
	v_mov_b32_e32 v10, 2
	v_subrev_nc_u32_e32 v28, v1, v0
	v_and_b32_e32 v0, -3, v6
	v_mov_b32_e32 v1, v7
	v_mov_b32_e32 v11, 1
	s_mov_b32 s15, 0
	v_ashrrev_i32_e32 v29, 31, v28
	s_mov_b32 s14, 0
	s_branch .LBB1_31
.LBB1_30:                               ;   in Loop: Header=BB1_31 Depth=1
	s_or_b32 exec_lo, exec_lo, s12
	v_sub_co_u32 v28, vcc_lo, v28, v36
	v_sub_co_ci_u32_e64 v29, null, v29, v26, vcc_lo
	v_add_nc_u32_e32 v35, v35, v36
	v_cmp_eq_u64_e32 vcc_lo, 0, v[28:29]
	s_or_b32 s14, vcc_lo, s14
	s_andn2_b32 exec_lo, exec_lo, s14
	s_cbranch_execz .LBB1_114
.LBB1_31:                               ; =>This Loop Header: Depth=1
                                        ;     Child Loop BB1_34 Depth 2
                                        ;     Child Loop BB1_42 Depth 2
	;; [unrolled: 1-line block ×11, first 2 shown]
	v_cmp_gt_u64_e32 vcc_lo, 56, v[28:29]
	v_add_nc_u32_e32 v14, 8, v35
	s_mov_b32 s5, exec_lo
	v_cndmask_b32_e32 v36, 56, v28, vcc_lo
	v_cmpx_gt_u64_e32 8, v[28:29]
	s_xor_b32 s5, exec_lo, s5
	s_cbranch_execz .LBB1_37
; %bb.32:                               ;   in Loop: Header=BB1_31 Depth=1
	v_mov_b32_e32 v2, 0
	v_mov_b32_e32 v3, 0
	s_mov_b32 s12, exec_lo
	v_cmpx_ne_u64_e32 0, v[28:29]
	s_cbranch_execz .LBB1_36
; %bb.33:                               ;   in Loop: Header=BB1_31 Depth=1
	v_mov_b32_e32 v2, 0
	v_mov_b32_e32 v3, 0
	s_mov_b64 s[10:11], 0
	s_mov_b32 s13, 0
	s_mov_b32 s16, 0
	.p2align	6
.LBB1_34:                               ;   Parent Loop BB1_31 Depth=1
                                        ; =>  This Inner Loop Header: Depth=2
	v_add_nc_u32_e32 v8, s16, v35
	v_mov_b32_e32 v13, s15
	s_add_i32 s16, s16, 1
	v_cmp_eq_u32_e64 s4, s16, v36
	buffer_load_ubyte v8, v8, s[0:3], 0 offen
	s_waitcnt vmcnt(0)
	v_and_b32_e32 v12, 0xffff, v8
	v_lshlrev_b64 v[12:13], s10, v[12:13]
	s_add_u32 s10, s10, 8
	s_addc_u32 s11, s11, 0
	s_or_b32 s13, s4, s13
	v_or_b32_e32 v3, v13, v3
	v_or_b32_e32 v2, v12, v2
	s_andn2_b32 exec_lo, exec_lo, s13
	s_cbranch_execnz .LBB1_34
; %bb.35:                               ;   in Loop: Header=BB1_31 Depth=1
	s_or_b32 exec_lo, exec_lo, s13
.LBB1_36:                               ;   in Loop: Header=BB1_31 Depth=1
	s_or_b32 exec_lo, exec_lo, s12
	v_mov_b32_e32 v14, v35
.LBB1_37:                               ;   in Loop: Header=BB1_31 Depth=1
	s_or_saveexec_b32 s4, s5
	v_mov_b32_e32 v15, 0
	s_xor_b32 exec_lo, exec_lo, s4
	s_cbranch_execz .LBB1_39
; %bb.38:                               ;   in Loop: Header=BB1_31 Depth=1
	s_clause 0x1
	buffer_load_dword v2, v35, s[0:3], 0 offen
	buffer_load_dword v3, v35, s[0:3], 0 offen offset:4
	v_add_nc_u32_e32 v15, -8, v36
.LBB1_39:                               ;   in Loop: Header=BB1_31 Depth=1
	s_or_b32 exec_lo, exec_lo, s4
	v_add_nc_u32_e32 v8, 8, v14
	s_mov_b32 s5, exec_lo
                                        ; implicit-def: $vgpr12_vgpr13
	v_cmpx_gt_u32_e32 8, v15
	s_xor_b32 s5, exec_lo, s5
	s_cbranch_execz .LBB1_45
; %bb.40:                               ;   in Loop: Header=BB1_31 Depth=1
	v_mov_b32_e32 v12, 0
	v_mov_b32_e32 v13, 0
	s_mov_b32 s12, exec_lo
	v_cmpx_ne_u32_e32 0, v15
	s_cbranch_execz .LBB1_44
; %bb.41:                               ;   in Loop: Header=BB1_31 Depth=1
	v_mov_b32_e32 v12, 0
	v_mov_b32_e32 v13, 0
	s_mov_b64 s[10:11], 0
	s_mov_b32 s13, 0
	s_mov_b32 s16, 0
	.p2align	6
.LBB1_42:                               ;   Parent Loop BB1_31 Depth=1
                                        ; =>  This Inner Loop Header: Depth=2
	v_add_nc_u32_e32 v8, s16, v14
	v_mov_b32_e32 v17, s15
	s_add_i32 s16, s16, 1
	v_cmp_eq_u32_e64 s4, s16, v15
	buffer_load_ubyte v8, v8, s[0:3], 0 offen
	s_waitcnt vmcnt(0)
	v_and_b32_e32 v16, 0xffff, v8
	v_lshlrev_b64 v[16:17], s10, v[16:17]
	s_add_u32 s10, s10, 8
	s_addc_u32 s11, s11, 0
	s_or_b32 s13, s4, s13
	v_or_b32_e32 v13, v17, v13
	v_or_b32_e32 v12, v16, v12
	s_andn2_b32 exec_lo, exec_lo, s13
	s_cbranch_execnz .LBB1_42
; %bb.43:                               ;   in Loop: Header=BB1_31 Depth=1
	s_or_b32 exec_lo, exec_lo, s13
.LBB1_44:                               ;   in Loop: Header=BB1_31 Depth=1
	s_or_b32 exec_lo, exec_lo, s12
	v_mov_b32_e32 v8, v14
                                        ; implicit-def: $vgpr15
.LBB1_45:                               ;   in Loop: Header=BB1_31 Depth=1
	s_or_saveexec_b32 s4, s5
	v_mov_b32_e32 v16, 0
	s_xor_b32 exec_lo, exec_lo, s4
	s_cbranch_execz .LBB1_47
; %bb.46:                               ;   in Loop: Header=BB1_31 Depth=1
	s_clause 0x1
	buffer_load_dword v12, v14, s[0:3], 0 offen
	buffer_load_dword v13, v14, s[0:3], 0 offen offset:4
	v_add_nc_u32_e32 v16, -8, v15
.LBB1_47:                               ;   in Loop: Header=BB1_31 Depth=1
	s_or_b32 exec_lo, exec_lo, s4
	v_add_nc_u32_e32 v18, 8, v8
	s_mov_b32 s5, exec_lo
	v_cmpx_gt_u32_e32 8, v16
	s_xor_b32 s5, exec_lo, s5
	s_cbranch_execz .LBB1_53
; %bb.48:                               ;   in Loop: Header=BB1_31 Depth=1
	v_mov_b32_e32 v14, 0
	v_mov_b32_e32 v15, 0
	s_mov_b32 s12, exec_lo
	v_cmpx_ne_u32_e32 0, v16
	s_cbranch_execz .LBB1_52
; %bb.49:                               ;   in Loop: Header=BB1_31 Depth=1
	v_mov_b32_e32 v14, 0
	v_mov_b32_e32 v15, 0
	s_mov_b64 s[10:11], 0
	s_mov_b32 s13, 0
	s_mov_b32 s16, 0
	.p2align	6
.LBB1_50:                               ;   Parent Loop BB1_31 Depth=1
                                        ; =>  This Inner Loop Header: Depth=2
	v_add_nc_u32_e32 v17, s16, v8
	v_mov_b32_e32 v18, s15
	s_add_i32 s16, s16, 1
	v_cmp_eq_u32_e64 s4, s16, v16
	buffer_load_ubyte v17, v17, s[0:3], 0 offen
	s_waitcnt vmcnt(0)
	v_and_b32_e32 v17, 0xffff, v17
	v_lshlrev_b64 v[17:18], s10, v[17:18]
	s_add_u32 s10, s10, 8
	s_addc_u32 s11, s11, 0
	s_or_b32 s13, s4, s13
	v_or_b32_e32 v15, v18, v15
	v_or_b32_e32 v14, v17, v14
	s_andn2_b32 exec_lo, exec_lo, s13
	s_cbranch_execnz .LBB1_50
; %bb.51:                               ;   in Loop: Header=BB1_31 Depth=1
	s_or_b32 exec_lo, exec_lo, s13
.LBB1_52:                               ;   in Loop: Header=BB1_31 Depth=1
	s_or_b32 exec_lo, exec_lo, s12
	v_mov_b32_e32 v18, v8
                                        ; implicit-def: $vgpr16
.LBB1_53:                               ;   in Loop: Header=BB1_31 Depth=1
	s_or_saveexec_b32 s4, s5
	v_mov_b32_e32 v19, 0
	s_xor_b32 exec_lo, exec_lo, s4
	s_cbranch_execz .LBB1_55
; %bb.54:                               ;   in Loop: Header=BB1_31 Depth=1
	s_clause 0x1
	buffer_load_dword v14, v8, s[0:3], 0 offen
	buffer_load_dword v15, v8, s[0:3], 0 offen offset:4
	v_add_nc_u32_e32 v19, -8, v16
.LBB1_55:                               ;   in Loop: Header=BB1_31 Depth=1
	s_or_b32 exec_lo, exec_lo, s4
	v_add_nc_u32_e32 v8, 8, v18
	s_mov_b32 s5, exec_lo
                                        ; implicit-def: $vgpr16_vgpr17
	v_cmpx_gt_u32_e32 8, v19
	s_xor_b32 s5, exec_lo, s5
	s_cbranch_execz .LBB1_61
; %bb.56:                               ;   in Loop: Header=BB1_31 Depth=1
	v_mov_b32_e32 v16, 0
	v_mov_b32_e32 v17, 0
	s_mov_b32 s12, exec_lo
	v_cmpx_ne_u32_e32 0, v19
	s_cbranch_execz .LBB1_60
; %bb.57:                               ;   in Loop: Header=BB1_31 Depth=1
	v_mov_b32_e32 v16, 0
	v_mov_b32_e32 v17, 0
	s_mov_b64 s[10:11], 0
	s_mov_b32 s13, 0
	s_mov_b32 s16, 0
	.p2align	6
.LBB1_58:                               ;   Parent Loop BB1_31 Depth=1
                                        ; =>  This Inner Loop Header: Depth=2
	v_add_nc_u32_e32 v8, s16, v18
	v_mov_b32_e32 v21, s15
	s_add_i32 s16, s16, 1
	v_cmp_eq_u32_e64 s4, s16, v19
	buffer_load_ubyte v8, v8, s[0:3], 0 offen
	s_waitcnt vmcnt(0)
	v_and_b32_e32 v20, 0xffff, v8
	v_lshlrev_b64 v[20:21], s10, v[20:21]
	s_add_u32 s10, s10, 8
	s_addc_u32 s11, s11, 0
	s_or_b32 s13, s4, s13
	v_or_b32_e32 v17, v21, v17
	v_or_b32_e32 v16, v20, v16
	s_andn2_b32 exec_lo, exec_lo, s13
	s_cbranch_execnz .LBB1_58
; %bb.59:                               ;   in Loop: Header=BB1_31 Depth=1
	s_or_b32 exec_lo, exec_lo, s13
.LBB1_60:                               ;   in Loop: Header=BB1_31 Depth=1
	s_or_b32 exec_lo, exec_lo, s12
	v_mov_b32_e32 v8, v18
                                        ; implicit-def: $vgpr19
.LBB1_61:                               ;   in Loop: Header=BB1_31 Depth=1
	s_or_saveexec_b32 s4, s5
	v_mov_b32_e32 v20, 0
	s_xor_b32 exec_lo, exec_lo, s4
	s_cbranch_execz .LBB1_63
; %bb.62:                               ;   in Loop: Header=BB1_31 Depth=1
	s_clause 0x1
	buffer_load_dword v16, v18, s[0:3], 0 offen
	buffer_load_dword v17, v18, s[0:3], 0 offen offset:4
	v_add_nc_u32_e32 v20, -8, v19
.LBB1_63:                               ;   in Loop: Header=BB1_31 Depth=1
	s_or_b32 exec_lo, exec_lo, s4
	v_add_nc_u32_e32 v22, 8, v8
	s_mov_b32 s5, exec_lo
	v_cmpx_gt_u32_e32 8, v20
	s_xor_b32 s5, exec_lo, s5
	s_cbranch_execz .LBB1_69
; %bb.64:                               ;   in Loop: Header=BB1_31 Depth=1
	v_mov_b32_e32 v18, 0
	v_mov_b32_e32 v19, 0
	s_mov_b32 s12, exec_lo
	v_cmpx_ne_u32_e32 0, v20
	s_cbranch_execz .LBB1_68
; %bb.65:                               ;   in Loop: Header=BB1_31 Depth=1
	v_mov_b32_e32 v18, 0
	v_mov_b32_e32 v19, 0
	s_mov_b64 s[10:11], 0
	s_mov_b32 s13, 0
	s_mov_b32 s16, 0
	.p2align	6
.LBB1_66:                               ;   Parent Loop BB1_31 Depth=1
                                        ; =>  This Inner Loop Header: Depth=2
	v_add_nc_u32_e32 v21, s16, v8
	v_mov_b32_e32 v22, s15
	s_add_i32 s16, s16, 1
	v_cmp_eq_u32_e64 s4, s16, v20
	buffer_load_ubyte v21, v21, s[0:3], 0 offen
	s_waitcnt vmcnt(0)
	v_and_b32_e32 v21, 0xffff, v21
	v_lshlrev_b64 v[21:22], s10, v[21:22]
	s_add_u32 s10, s10, 8
	s_addc_u32 s11, s11, 0
	s_or_b32 s13, s4, s13
	v_or_b32_e32 v19, v22, v19
	v_or_b32_e32 v18, v21, v18
	s_andn2_b32 exec_lo, exec_lo, s13
	s_cbranch_execnz .LBB1_66
; %bb.67:                               ;   in Loop: Header=BB1_31 Depth=1
	s_or_b32 exec_lo, exec_lo, s13
.LBB1_68:                               ;   in Loop: Header=BB1_31 Depth=1
	s_or_b32 exec_lo, exec_lo, s12
	v_mov_b32_e32 v22, v8
                                        ; implicit-def: $vgpr20
.LBB1_69:                               ;   in Loop: Header=BB1_31 Depth=1
	s_or_saveexec_b32 s4, s5
	v_mov_b32_e32 v23, 0
	s_xor_b32 exec_lo, exec_lo, s4
	s_cbranch_execz .LBB1_71
; %bb.70:                               ;   in Loop: Header=BB1_31 Depth=1
	s_clause 0x1
	buffer_load_dword v18, v8, s[0:3], 0 offen
	buffer_load_dword v19, v8, s[0:3], 0 offen offset:4
	v_add_nc_u32_e32 v23, -8, v20
.LBB1_71:                               ;   in Loop: Header=BB1_31 Depth=1
	s_or_b32 exec_lo, exec_lo, s4
	v_add_nc_u32_e32 v8, 8, v22
	s_mov_b32 s5, exec_lo
                                        ; implicit-def: $vgpr20_vgpr21
	v_cmpx_gt_u32_e32 8, v23
	s_xor_b32 s5, exec_lo, s5
	s_cbranch_execz .LBB1_77
; %bb.72:                               ;   in Loop: Header=BB1_31 Depth=1
	v_mov_b32_e32 v20, 0
	v_mov_b32_e32 v21, 0
	s_mov_b32 s12, exec_lo
	v_cmpx_ne_u32_e32 0, v23
	s_cbranch_execz .LBB1_76
; %bb.73:                               ;   in Loop: Header=BB1_31 Depth=1
	v_mov_b32_e32 v20, 0
	v_mov_b32_e32 v21, 0
	s_mov_b64 s[10:11], 0
	s_mov_b32 s13, 0
	s_mov_b32 s16, 0
	.p2align	6
.LBB1_74:                               ;   Parent Loop BB1_31 Depth=1
                                        ; =>  This Inner Loop Header: Depth=2
	v_add_nc_u32_e32 v8, s16, v22
	v_mov_b32_e32 v25, s15
	s_add_i32 s16, s16, 1
	v_cmp_eq_u32_e64 s4, s16, v23
	buffer_load_ubyte v8, v8, s[0:3], 0 offen
	s_waitcnt vmcnt(0)
	v_and_b32_e32 v24, 0xffff, v8
	v_lshlrev_b64 v[24:25], s10, v[24:25]
	s_add_u32 s10, s10, 8
	s_addc_u32 s11, s11, 0
	s_or_b32 s13, s4, s13
	v_or_b32_e32 v21, v25, v21
	v_or_b32_e32 v20, v24, v20
	s_andn2_b32 exec_lo, exec_lo, s13
	s_cbranch_execnz .LBB1_74
; %bb.75:                               ;   in Loop: Header=BB1_31 Depth=1
	s_or_b32 exec_lo, exec_lo, s13
.LBB1_76:                               ;   in Loop: Header=BB1_31 Depth=1
	s_or_b32 exec_lo, exec_lo, s12
	v_mov_b32_e32 v8, v22
                                        ; implicit-def: $vgpr23
.LBB1_77:                               ;   in Loop: Header=BB1_31 Depth=1
	s_or_saveexec_b32 s4, s5
	v_mov_b32_e32 v24, 0
	s_xor_b32 exec_lo, exec_lo, s4
	s_cbranch_execz .LBB1_79
; %bb.78:                               ;   in Loop: Header=BB1_31 Depth=1
	s_clause 0x1
	buffer_load_dword v20, v22, s[0:3], 0 offen
	buffer_load_dword v21, v22, s[0:3], 0 offen offset:4
	v_add_nc_u32_e32 v24, -8, v23
.LBB1_79:                               ;   in Loop: Header=BB1_31 Depth=1
	s_or_b32 exec_lo, exec_lo, s4
	s_mov_b32 s5, exec_lo
	v_cmpx_gt_u32_e32 8, v24
	s_xor_b32 s5, exec_lo, s5
	s_cbranch_execz .LBB1_85
; %bb.80:                               ;   in Loop: Header=BB1_31 Depth=1
	v_mov_b32_e32 v22, 0
	v_mov_b32_e32 v23, 0
	s_mov_b32 s12, exec_lo
	v_cmpx_ne_u32_e32 0, v24
	s_cbranch_execz .LBB1_84
; %bb.81:                               ;   in Loop: Header=BB1_31 Depth=1
	v_mov_b32_e32 v22, 0
	v_mov_b32_e32 v23, 0
	s_mov_b64 s[10:11], 0
	s_mov_b32 s13, 0
	.p2align	6
.LBB1_82:                               ;   Parent Loop BB1_31 Depth=1
                                        ; =>  This Inner Loop Header: Depth=2
	buffer_load_ubyte v25, v8, s[0:3], 0 offen
	v_mov_b32_e32 v26, s15
	v_add_nc_u32_e32 v24, -1, v24
	v_add_nc_u32_e32 v8, 1, v8
	v_cmp_eq_u32_e64 s4, 0, v24
	s_waitcnt vmcnt(0)
	v_and_b32_e32 v25, 0xffff, v25
	v_lshlrev_b64 v[25:26], s10, v[25:26]
	s_add_u32 s10, s10, 8
	s_addc_u32 s11, s11, 0
	s_or_b32 s13, s4, s13
	v_or_b32_e32 v23, v26, v23
	v_or_b32_e32 v22, v25, v22
	s_andn2_b32 exec_lo, exec_lo, s13
	s_cbranch_execnz .LBB1_82
; %bb.83:                               ;   in Loop: Header=BB1_31 Depth=1
	s_or_b32 exec_lo, exec_lo, s13
.LBB1_84:                               ;   in Loop: Header=BB1_31 Depth=1
	s_or_b32 exec_lo, exec_lo, s12
                                        ; implicit-def: $vgpr8
.LBB1_85:                               ;   in Loop: Header=BB1_31 Depth=1
	s_andn2_saveexec_b32 s4, s5
	s_cbranch_execz .LBB1_87
; %bb.86:                               ;   in Loop: Header=BB1_31 Depth=1
	s_clause 0x1
	buffer_load_dword v22, v8, s[0:3], 0 offen
	buffer_load_dword v23, v8, s[0:3], 0 offen offset:4
.LBB1_87:                               ;   in Loop: Header=BB1_31 Depth=1
	s_or_b32 exec_lo, exec_lo, s4
	v_readfirstlane_b32 s4, v32
	v_mov_b32_e32 v30, 0
	v_mov_b32_e32 v31, 0
	v_cmp_eq_u32_e64 s4, s4, v32
	s_and_saveexec_b32 s10, s4
	s_cbranch_execz .LBB1_93
; %bb.88:                               ;   in Loop: Header=BB1_31 Depth=1
	global_load_dwordx2 v[26:27], v9, s[6:7] offset:24 glc dlc
	s_waitcnt vmcnt(0)
	buffer_gl1_inv
	buffer_gl0_inv
	s_clause 0x1
	global_load_dwordx2 v[24:25], v9, s[6:7] offset:40
	global_load_dwordx2 v[30:31], v9, s[6:7]
	s_mov_b32 s11, exec_lo
	s_waitcnt vmcnt(1)
	v_and_b32_e32 v8, v25, v27
	v_and_b32_e32 v24, v24, v26
	v_mul_lo_u32 v8, v8, 24
	v_mul_hi_u32 v25, v24, 24
	v_mul_lo_u32 v24, v24, 24
	v_add_nc_u32_e32 v8, v25, v8
	s_waitcnt vmcnt(0)
	v_add_co_u32 v24, s5, v30, v24
	v_add_co_ci_u32_e64 v25, null, v31, v8, s5
	global_load_dwordx2 v[24:25], v[24:25], off glc dlc
	s_waitcnt vmcnt(0)
	global_atomic_cmpswap_x2 v[30:31], v9, v[24:27], s[6:7] offset:24 glc
	s_waitcnt vmcnt(0)
	buffer_gl1_inv
	buffer_gl0_inv
	v_cmpx_ne_u64_e64 v[30:31], v[26:27]
	s_cbranch_execz .LBB1_92
; %bb.89:                               ;   in Loop: Header=BB1_31 Depth=1
	s_mov_b32 s12, 0
	.p2align	6
.LBB1_90:                               ;   Parent Loop BB1_31 Depth=1
                                        ; =>  This Inner Loop Header: Depth=2
	s_sleep 1
	s_clause 0x1
	global_load_dwordx2 v[24:25], v9, s[6:7] offset:40
	global_load_dwordx2 v[37:38], v9, s[6:7]
	v_mov_b32_e32 v26, v30
	v_mov_b32_e32 v27, v31
	s_waitcnt vmcnt(1)
	v_and_b32_e32 v8, v24, v26
	v_and_b32_e32 v24, v25, v27
	s_waitcnt vmcnt(0)
	v_mad_u64_u32 v[30:31], null, v8, 24, v[37:38]
	v_mov_b32_e32 v8, v31
	v_mad_u64_u32 v[24:25], null, v24, 24, v[8:9]
	v_mov_b32_e32 v31, v24
	global_load_dwordx2 v[24:25], v[30:31], off glc dlc
	s_waitcnt vmcnt(0)
	global_atomic_cmpswap_x2 v[30:31], v9, v[24:27], s[6:7] offset:24 glc
	s_waitcnt vmcnt(0)
	buffer_gl1_inv
	buffer_gl0_inv
	v_cmp_eq_u64_e64 s5, v[30:31], v[26:27]
	s_or_b32 s12, s5, s12
	s_andn2_b32 exec_lo, exec_lo, s12
	s_cbranch_execnz .LBB1_90
; %bb.91:                               ;   in Loop: Header=BB1_31 Depth=1
	s_or_b32 exec_lo, exec_lo, s12
.LBB1_92:                               ;   in Loop: Header=BB1_31 Depth=1
	s_or_b32 exec_lo, exec_lo, s11
.LBB1_93:                               ;   in Loop: Header=BB1_31 Depth=1
	s_or_b32 exec_lo, exec_lo, s10
	s_clause 0x1
	global_load_dwordx2 v[37:38], v9, s[6:7] offset:40
	global_load_dwordx4 v[24:27], v9, s[6:7]
	v_readfirstlane_b32 s11, v31
	v_readfirstlane_b32 s10, v30
	s_mov_b32 s16, exec_lo
	s_waitcnt vmcnt(1)
	v_readfirstlane_b32 s12, v37
	v_readfirstlane_b32 s13, v38
	s_and_b64 s[12:13], s[12:13], s[10:11]
	s_mul_i32 s5, s13, 24
	s_mul_hi_u32 s17, s12, 24
	s_mul_i32 s18, s12, 24
	s_add_i32 s17, s17, s5
	s_waitcnt vmcnt(0)
	v_add_co_u32 v30, s5, v24, s18
	v_add_co_ci_u32_e64 v31, null, s17, v25, s5
	s_and_saveexec_b32 s5, s4
	s_cbranch_execz .LBB1_95
; %bb.94:                               ;   in Loop: Header=BB1_31 Depth=1
	v_mov_b32_e32 v8, s16
	global_store_dwordx4 v[30:31], v[8:11], off offset:8
.LBB1_95:                               ;   in Loop: Header=BB1_31 Depth=1
	s_or_b32 exec_lo, exec_lo, s5
	v_cmp_gt_u64_e64 s5, 57, v[28:29]
	v_and_b32_e32 v0, 0xffffff1f, v0
	s_lshl_b64 s[12:13], s[12:13], 12
	v_cndmask_b32_e64 v8, 0, v34, s5
	v_add_co_u32 v37, s5, v26, s12
	v_add_co_ci_u32_e64 v27, null, s13, v27, s5
	v_lshl_add_u32 v26, v36, 2, 28
	v_or_b32_e32 v0, v0, v8
	v_readfirstlane_b32 s12, v37
	v_readfirstlane_b32 s13, v27
	v_and_or_b32 v0, 0x1e0, v26, v0
	v_cndmask_b32_e32 v26, 0, v29, vcc_lo
	global_store_dwordx4 v33, v[12:15], s[12:13] offset:16
	global_store_dwordx4 v33, v[0:3], s[12:13]
	global_store_dwordx4 v33, v[16:19], s[12:13] offset:32
	global_store_dwordx4 v33, v[20:23], s[12:13] offset:48
	s_and_saveexec_b32 s5, s4
	s_cbranch_execz .LBB1_103
; %bb.96:                               ;   in Loop: Header=BB1_31 Depth=1
	s_clause 0x1
	global_load_dwordx2 v[16:17], v9, s[6:7] offset:32 glc dlc
	global_load_dwordx2 v[0:1], v9, s[6:7] offset:40
	v_mov_b32_e32 v14, s10
	v_mov_b32_e32 v15, s11
	s_waitcnt vmcnt(0)
	v_readfirstlane_b32 s12, v0
	v_readfirstlane_b32 s13, v1
	s_and_b64 s[12:13], s[12:13], s[10:11]
	s_mul_i32 s13, s13, 24
	s_mul_hi_u32 s16, s12, 24
	s_mul_i32 s12, s12, 24
	s_add_i32 s16, s16, s13
	v_add_co_u32 v12, vcc_lo, v24, s12
	v_add_co_ci_u32_e64 v13, null, s16, v25, vcc_lo
	s_mov_b32 s12, exec_lo
	global_store_dwordx2 v[12:13], v[16:17], off
	s_waitcnt_vscnt null, 0x0
	global_atomic_cmpswap_x2 v[2:3], v9, v[14:17], s[6:7] offset:32 glc
	s_waitcnt vmcnt(0)
	v_cmpx_ne_u64_e64 v[2:3], v[16:17]
	s_cbranch_execz .LBB1_99
; %bb.97:                               ;   in Loop: Header=BB1_31 Depth=1
	s_mov_b32 s13, 0
.LBB1_98:                               ;   Parent Loop BB1_31 Depth=1
                                        ; =>  This Inner Loop Header: Depth=2
	v_mov_b32_e32 v0, s10
	v_mov_b32_e32 v1, s11
	s_sleep 1
	global_store_dwordx2 v[12:13], v[2:3], off
	s_waitcnt_vscnt null, 0x0
	global_atomic_cmpswap_x2 v[0:1], v9, v[0:3], s[6:7] offset:32 glc
	s_waitcnt vmcnt(0)
	v_cmp_eq_u64_e32 vcc_lo, v[0:1], v[2:3]
	v_mov_b32_e32 v3, v1
	v_mov_b32_e32 v2, v0
	s_or_b32 s13, vcc_lo, s13
	s_andn2_b32 exec_lo, exec_lo, s13
	s_cbranch_execnz .LBB1_98
.LBB1_99:                               ;   in Loop: Header=BB1_31 Depth=1
	s_or_b32 exec_lo, exec_lo, s12
	global_load_dwordx2 v[0:1], v9, s[6:7] offset:16
	s_mov_b32 s13, exec_lo
	s_mov_b32 s12, exec_lo
	v_mbcnt_lo_u32_b32 v2, s13, 0
	v_cmpx_eq_u32_e32 0, v2
	s_cbranch_execz .LBB1_101
; %bb.100:                              ;   in Loop: Header=BB1_31 Depth=1
	s_bcnt1_i32_b32 s13, s13
	v_mov_b32_e32 v8, s13
	s_waitcnt vmcnt(0)
	global_atomic_add_x2 v[0:1], v[8:9], off offset:8
.LBB1_101:                              ;   in Loop: Header=BB1_31 Depth=1
	s_or_b32 exec_lo, exec_lo, s12
	s_waitcnt vmcnt(0)
	global_load_dwordx2 v[2:3], v[0:1], off offset:16
	s_waitcnt vmcnt(0)
	v_cmp_eq_u64_e32 vcc_lo, 0, v[2:3]
	s_cbranch_vccnz .LBB1_103
; %bb.102:                              ;   in Loop: Header=BB1_31 Depth=1
	global_load_dword v8, v[0:1], off offset:24
	s_waitcnt vmcnt(0)
	v_readfirstlane_b32 s12, v8
	s_waitcnt_vscnt null, 0x0
	global_store_dwordx2 v[2:3], v[8:9], off
	s_and_b32 m0, s12, 0x7fffff
	s_sendmsg sendmsg(MSG_INTERRUPT)
.LBB1_103:                              ;   in Loop: Header=BB1_31 Depth=1
	s_or_b32 exec_lo, exec_lo, s5
	v_add_co_u32 v0, vcc_lo, v37, v33
	v_add_co_ci_u32_e64 v1, null, 0, v27, vcc_lo
	s_branch .LBB1_107
	.p2align	6
.LBB1_104:                              ;   in Loop: Header=BB1_107 Depth=2
	s_or_b32 exec_lo, exec_lo, s5
	v_readfirstlane_b32 s5, v2
	s_cmp_eq_u32 s5, 0
	s_cbranch_scc1 .LBB1_106
; %bb.105:                              ;   in Loop: Header=BB1_107 Depth=2
	s_sleep 1
	s_cbranch_execnz .LBB1_107
	s_branch .LBB1_109
	.p2align	6
.LBB1_106:                              ;   in Loop: Header=BB1_31 Depth=1
	s_branch .LBB1_109
.LBB1_107:                              ;   Parent Loop BB1_31 Depth=1
                                        ; =>  This Inner Loop Header: Depth=2
	v_mov_b32_e32 v2, 1
	s_and_saveexec_b32 s5, s4
	s_cbranch_execz .LBB1_104
; %bb.108:                              ;   in Loop: Header=BB1_107 Depth=2
	global_load_dword v2, v[30:31], off offset:20 glc dlc
	s_waitcnt vmcnt(0)
	buffer_gl1_inv
	buffer_gl0_inv
	v_and_b32_e32 v2, 1, v2
	s_branch .LBB1_104
.LBB1_109:                              ;   in Loop: Header=BB1_31 Depth=1
	global_load_dwordx2 v[0:1], v[0:1], off
	s_and_saveexec_b32 s12, s4
	s_cbranch_execz .LBB1_30
; %bb.110:                              ;   in Loop: Header=BB1_31 Depth=1
	s_clause 0x2
	global_load_dwordx2 v[2:3], v9, s[6:7] offset:40
	global_load_dwordx2 v[16:17], v9, s[6:7] offset:24 glc dlc
	global_load_dwordx2 v[12:13], v9, s[6:7]
	s_waitcnt vmcnt(2)
	v_readfirstlane_b32 s16, v2
	v_readfirstlane_b32 s17, v3
	s_add_u32 s13, s16, 1
	s_addc_u32 s18, s17, 0
	s_add_u32 s4, s13, s10
	s_addc_u32 s5, s18, s11
	s_cmp_eq_u64 s[4:5], 0
	s_cselect_b32 s5, s18, s5
	s_cselect_b32 s4, s13, s4
	v_mov_b32_e32 v15, s5
	s_and_b64 s[10:11], s[4:5], s[16:17]
	v_mov_b32_e32 v14, s4
	s_mul_i32 s11, s11, 24
	s_mul_hi_u32 s13, s10, 24
	s_mul_i32 s10, s10, 24
	s_add_i32 s13, s13, s11
	s_waitcnt vmcnt(0)
	v_add_co_u32 v2, vcc_lo, v12, s10
	v_add_co_ci_u32_e64 v3, null, s13, v13, vcc_lo
	global_store_dwordx2 v[2:3], v[16:17], off
	s_waitcnt_vscnt null, 0x0
	global_atomic_cmpswap_x2 v[14:15], v9, v[14:17], s[6:7] offset:24 glc
	s_waitcnt vmcnt(0)
	v_cmp_ne_u64_e32 vcc_lo, v[14:15], v[16:17]
	s_and_b32 exec_lo, exec_lo, vcc_lo
	s_cbranch_execz .LBB1_30
; %bb.111:                              ;   in Loop: Header=BB1_31 Depth=1
	s_mov_b32 s10, 0
.LBB1_112:                              ;   Parent Loop BB1_31 Depth=1
                                        ; =>  This Inner Loop Header: Depth=2
	v_mov_b32_e32 v12, s4
	v_mov_b32_e32 v13, s5
	s_sleep 1
	global_store_dwordx2 v[2:3], v[14:15], off
	s_waitcnt_vscnt null, 0x0
	global_atomic_cmpswap_x2 v[12:13], v9, v[12:15], s[6:7] offset:24 glc
	s_waitcnt vmcnt(0)
	v_cmp_eq_u64_e32 vcc_lo, v[12:13], v[14:15]
	v_mov_b32_e32 v15, v13
	v_mov_b32_e32 v14, v12
	s_or_b32 s10, vcc_lo, s10
	s_andn2_b32 exec_lo, exec_lo, s10
	s_cbranch_execnz .LBB1_112
	s_branch .LBB1_30
.LBB1_113:
                                        ; implicit-def: $vgpr0_vgpr1
	s_cbranch_execnz .LBB1_115
	s_branch .LBB1_142
.LBB1_114:
	s_or_b32 exec_lo, exec_lo, s14
	s_branch .LBB1_142
.LBB1_115:
	v_readfirstlane_b32 s4, v32
	v_mov_b32_e32 v9, 0
	v_mov_b32_e32 v10, 0
	v_cmp_eq_u32_e64 s4, s4, v32
	s_and_saveexec_b32 s5, s4
	s_cbranch_execz .LBB1_121
; %bb.116:
	s_waitcnt vmcnt(0)
	v_mov_b32_e32 v0, 0
	s_mov_b32 s10, exec_lo
	global_load_dwordx2 v[11:12], v0, s[6:7] offset:24 glc dlc
	s_waitcnt vmcnt(0)
	buffer_gl1_inv
	buffer_gl0_inv
	s_clause 0x1
	global_load_dwordx2 v[1:2], v0, s[6:7] offset:40
	global_load_dwordx2 v[8:9], v0, s[6:7]
	s_waitcnt vmcnt(1)
	v_and_b32_e32 v2, v2, v12
	v_and_b32_e32 v1, v1, v11
	v_mul_lo_u32 v2, v2, 24
	v_mul_hi_u32 v3, v1, 24
	v_mul_lo_u32 v1, v1, 24
	v_add_nc_u32_e32 v2, v3, v2
	s_waitcnt vmcnt(0)
	v_add_co_u32 v1, vcc_lo, v8, v1
	v_add_co_ci_u32_e64 v2, null, v9, v2, vcc_lo
	global_load_dwordx2 v[9:10], v[1:2], off glc dlc
	s_waitcnt vmcnt(0)
	global_atomic_cmpswap_x2 v[9:10], v0, v[9:12], s[6:7] offset:24 glc
	s_waitcnt vmcnt(0)
	buffer_gl1_inv
	buffer_gl0_inv
	v_cmpx_ne_u64_e64 v[9:10], v[11:12]
	s_cbranch_execz .LBB1_120
; %bb.117:
	s_mov_b32 s11, 0
	.p2align	6
.LBB1_118:                              ; =>This Inner Loop Header: Depth=1
	s_sleep 1
	s_clause 0x1
	global_load_dwordx2 v[1:2], v0, s[6:7] offset:40
	global_load_dwordx2 v[13:14], v0, s[6:7]
	v_mov_b32_e32 v12, v10
	v_mov_b32_e32 v11, v9
	s_waitcnt vmcnt(1)
	v_and_b32_e32 v1, v1, v11
	v_and_b32_e32 v2, v2, v12
	s_waitcnt vmcnt(0)
	v_mad_u64_u32 v[8:9], null, v1, 24, v[13:14]
	v_mov_b32_e32 v1, v9
	v_mad_u64_u32 v[1:2], null, v2, 24, v[1:2]
	v_mov_b32_e32 v9, v1
	global_load_dwordx2 v[9:10], v[8:9], off glc dlc
	s_waitcnt vmcnt(0)
	global_atomic_cmpswap_x2 v[9:10], v0, v[9:12], s[6:7] offset:24 glc
	s_waitcnt vmcnt(0)
	buffer_gl1_inv
	buffer_gl0_inv
	v_cmp_eq_u64_e32 vcc_lo, v[9:10], v[11:12]
	s_or_b32 s11, vcc_lo, s11
	s_andn2_b32 exec_lo, exec_lo, s11
	s_cbranch_execnz .LBB1_118
; %bb.119:
	s_or_b32 exec_lo, exec_lo, s11
.LBB1_120:
	s_or_b32 exec_lo, exec_lo, s10
.LBB1_121:
	s_or_b32 exec_lo, exec_lo, s5
	v_mov_b32_e32 v8, 0
	v_readfirstlane_b32 s11, v10
	v_readfirstlane_b32 s10, v9
	s_mov_b32 s5, exec_lo
	s_clause 0x1
	global_load_dwordx2 v[11:12], v8, s[6:7] offset:40
	global_load_dwordx4 v[0:3], v8, s[6:7]
	s_waitcnt vmcnt(1)
	v_readfirstlane_b32 s12, v11
	v_readfirstlane_b32 s13, v12
	s_and_b64 s[12:13], s[12:13], s[10:11]
	s_mul_i32 s14, s13, 24
	s_mul_hi_u32 s15, s12, 24
	s_mul_i32 s16, s12, 24
	s_add_i32 s15, s15, s14
	s_waitcnt vmcnt(0)
	v_add_co_u32 v10, vcc_lo, v0, s16
	v_add_co_ci_u32_e64 v11, null, s15, v1, vcc_lo
	s_and_saveexec_b32 s14, s4
	s_cbranch_execz .LBB1_123
; %bb.122:
	v_mov_b32_e32 v12, s5
	v_mov_b32_e32 v13, v8
	;; [unrolled: 1-line block ×4, first 2 shown]
	global_store_dwordx4 v[10:11], v[12:15], off offset:8
.LBB1_123:
	s_or_b32 exec_lo, exec_lo, s14
	s_lshl_b64 s[12:13], s[12:13], 12
	v_and_or_b32 v6, 0xffffff1f, v6, 32
	v_add_co_u32 v2, vcc_lo, v2, s12
	v_add_co_ci_u32_e64 v3, null, s13, v3, vcc_lo
	s_mov_b32 s12, 0
	v_add_co_u32 v12, vcc_lo, v2, v33
	s_mov_b32 s15, s12
	s_mov_b32 s13, s12
	;; [unrolled: 1-line block ×3, first 2 shown]
	v_mov_b32_e32 v9, v8
	v_readfirstlane_b32 s16, v2
	v_readfirstlane_b32 s17, v3
	v_mov_b32_e32 v17, s15
	v_add_co_ci_u32_e64 v13, null, 0, v3, vcc_lo
	v_mov_b32_e32 v16, s14
	v_mov_b32_e32 v15, s13
	;; [unrolled: 1-line block ×3, first 2 shown]
	global_store_dwordx4 v33, v[6:9], s[16:17]
	global_store_dwordx4 v33, v[14:17], s[16:17] offset:16
	global_store_dwordx4 v33, v[14:17], s[16:17] offset:32
	;; [unrolled: 1-line block ×3, first 2 shown]
	s_and_saveexec_b32 s5, s4
	s_cbranch_execz .LBB1_131
; %bb.124:
	v_mov_b32_e32 v8, 0
	v_mov_b32_e32 v14, s10
	;; [unrolled: 1-line block ×3, first 2 shown]
	s_clause 0x1
	global_load_dwordx2 v[16:17], v8, s[6:7] offset:32 glc dlc
	global_load_dwordx2 v[2:3], v8, s[6:7] offset:40
	s_waitcnt vmcnt(0)
	v_readfirstlane_b32 s12, v2
	v_readfirstlane_b32 s13, v3
	s_and_b64 s[12:13], s[12:13], s[10:11]
	s_mul_i32 s13, s13, 24
	s_mul_hi_u32 s14, s12, 24
	s_mul_i32 s12, s12, 24
	s_add_i32 s14, s14, s13
	v_add_co_u32 v6, vcc_lo, v0, s12
	v_add_co_ci_u32_e64 v7, null, s14, v1, vcc_lo
	s_mov_b32 s12, exec_lo
	global_store_dwordx2 v[6:7], v[16:17], off
	s_waitcnt_vscnt null, 0x0
	global_atomic_cmpswap_x2 v[2:3], v8, v[14:17], s[6:7] offset:32 glc
	s_waitcnt vmcnt(0)
	v_cmpx_ne_u64_e64 v[2:3], v[16:17]
	s_cbranch_execz .LBB1_127
; %bb.125:
	s_mov_b32 s13, 0
.LBB1_126:                              ; =>This Inner Loop Header: Depth=1
	v_mov_b32_e32 v0, s10
	v_mov_b32_e32 v1, s11
	s_sleep 1
	global_store_dwordx2 v[6:7], v[2:3], off
	s_waitcnt_vscnt null, 0x0
	global_atomic_cmpswap_x2 v[0:1], v8, v[0:3], s[6:7] offset:32 glc
	s_waitcnt vmcnt(0)
	v_cmp_eq_u64_e32 vcc_lo, v[0:1], v[2:3]
	v_mov_b32_e32 v3, v1
	v_mov_b32_e32 v2, v0
	s_or_b32 s13, vcc_lo, s13
	s_andn2_b32 exec_lo, exec_lo, s13
	s_cbranch_execnz .LBB1_126
.LBB1_127:
	s_or_b32 exec_lo, exec_lo, s12
	v_mov_b32_e32 v3, 0
	s_mov_b32 s13, exec_lo
	s_mov_b32 s12, exec_lo
	v_mbcnt_lo_u32_b32 v2, s13, 0
	global_load_dwordx2 v[0:1], v3, s[6:7] offset:16
	v_cmpx_eq_u32_e32 0, v2
	s_cbranch_execz .LBB1_129
; %bb.128:
	s_bcnt1_i32_b32 s13, s13
	v_mov_b32_e32 v2, s13
	s_waitcnt vmcnt(0)
	global_atomic_add_x2 v[0:1], v[2:3], off offset:8
.LBB1_129:
	s_or_b32 exec_lo, exec_lo, s12
	s_waitcnt vmcnt(0)
	global_load_dwordx2 v[2:3], v[0:1], off offset:16
	s_waitcnt vmcnt(0)
	v_cmp_eq_u64_e32 vcc_lo, 0, v[2:3]
	s_cbranch_vccnz .LBB1_131
; %bb.130:
	global_load_dword v0, v[0:1], off offset:24
	v_mov_b32_e32 v1, 0
	s_waitcnt vmcnt(0)
	v_readfirstlane_b32 s12, v0
	s_waitcnt_vscnt null, 0x0
	global_store_dwordx2 v[2:3], v[0:1], off
	s_and_b32 m0, s12, 0x7fffff
	s_sendmsg sendmsg(MSG_INTERRUPT)
.LBB1_131:
	s_or_b32 exec_lo, exec_lo, s5
	s_branch .LBB1_135
	.p2align	6
.LBB1_132:                              ;   in Loop: Header=BB1_135 Depth=1
	s_or_b32 exec_lo, exec_lo, s5
	v_readfirstlane_b32 s5, v0
	s_cmp_eq_u32 s5, 0
	s_cbranch_scc1 .LBB1_134
; %bb.133:                              ;   in Loop: Header=BB1_135 Depth=1
	s_sleep 1
	s_cbranch_execnz .LBB1_135
	s_branch .LBB1_137
	.p2align	6
.LBB1_134:
	s_branch .LBB1_137
.LBB1_135:                              ; =>This Inner Loop Header: Depth=1
	v_mov_b32_e32 v0, 1
	s_and_saveexec_b32 s5, s4
	s_cbranch_execz .LBB1_132
; %bb.136:                              ;   in Loop: Header=BB1_135 Depth=1
	global_load_dword v0, v[10:11], off offset:20 glc dlc
	s_waitcnt vmcnt(0)
	buffer_gl1_inv
	buffer_gl0_inv
	v_and_b32_e32 v0, 1, v0
	s_branch .LBB1_132
.LBB1_137:
	global_load_dwordx2 v[0:1], v[12:13], off
	s_and_saveexec_b32 s12, s4
	s_cbranch_execz .LBB1_141
; %bb.138:
	v_mov_b32_e32 v10, 0
	s_clause 0x2
	global_load_dwordx2 v[2:3], v10, s[6:7] offset:40
	global_load_dwordx2 v[13:14], v10, s[6:7] offset:24 glc dlc
	global_load_dwordx2 v[6:7], v10, s[6:7]
	s_waitcnt vmcnt(2)
	v_readfirstlane_b32 s14, v2
	v_readfirstlane_b32 s15, v3
	s_add_u32 s13, s14, 1
	s_addc_u32 s16, s15, 0
	s_add_u32 s4, s13, s10
	s_addc_u32 s5, s16, s11
	s_cmp_eq_u64 s[4:5], 0
	s_cselect_b32 s5, s16, s5
	s_cselect_b32 s4, s13, s4
	v_mov_b32_e32 v12, s5
	s_and_b64 s[10:11], s[4:5], s[14:15]
	v_mov_b32_e32 v11, s4
	s_mul_i32 s11, s11, 24
	s_mul_hi_u32 s13, s10, 24
	s_mul_i32 s10, s10, 24
	s_add_i32 s13, s13, s11
	s_waitcnt vmcnt(0)
	v_add_co_u32 v2, vcc_lo, v6, s10
	v_add_co_ci_u32_e64 v3, null, s13, v7, vcc_lo
	global_store_dwordx2 v[2:3], v[13:14], off
	s_waitcnt_vscnt null, 0x0
	global_atomic_cmpswap_x2 v[8:9], v10, v[11:14], s[6:7] offset:24 glc
	s_waitcnt vmcnt(0)
	v_cmp_ne_u64_e32 vcc_lo, v[8:9], v[13:14]
	s_and_b32 exec_lo, exec_lo, vcc_lo
	s_cbranch_execz .LBB1_141
; %bb.139:
	s_mov_b32 s10, 0
.LBB1_140:                              ; =>This Inner Loop Header: Depth=1
	v_mov_b32_e32 v6, s4
	v_mov_b32_e32 v7, s5
	s_sleep 1
	global_store_dwordx2 v[2:3], v[8:9], off
	s_waitcnt_vscnt null, 0x0
	global_atomic_cmpswap_x2 v[6:7], v10, v[6:9], s[6:7] offset:24 glc
	s_waitcnt vmcnt(0)
	v_cmp_eq_u64_e32 vcc_lo, v[6:7], v[8:9]
	v_mov_b32_e32 v9, v7
	v_mov_b32_e32 v8, v6
	s_or_b32 s10, vcc_lo, s10
	s_andn2_b32 exec_lo, exec_lo, s10
	s_cbranch_execnz .LBB1_140
.LBB1_141:
	s_or_b32 exec_lo, exec_lo, s12
.LBB1_142:
	s_getpc_b64 s[10:11]
	s_add_u32 s10, s10, .str.4@rel32@lo+4
	s_addc_u32 s11, s11, .str.4@rel32@hi+12
	s_cmp_lg_u64 s[10:11], 0
	s_cbranch_scc0 .LBB1_220
; %bb.143:
	s_getpc_b64 s[4:5]
	s_add_u32 s4, s4, .str.4@rel32@lo+80
	s_addc_u32 s5, s5, .str.4@rel32@hi+88
	s_waitcnt vmcnt(0)
	v_and_b32_e32 v30, 2, v0
	v_mov_b32_e32 v11, 0
	v_and_b32_e32 v6, -3, v0
	v_mov_b32_e32 v7, v1
	v_mov_b32_e32 v12, 2
	;; [unrolled: 1-line block ×3, first 2 shown]
	s_sub_i32 s12, s4, s10
	s_ashr_i32 s13, s12, 31
	s_branch .LBB1_145
.LBB1_144:                              ;   in Loop: Header=BB1_145 Depth=1
	s_or_b32 exec_lo, exec_lo, s18
	s_sub_u32 s12, s12, s14
	s_subb_u32 s13, s13, s15
	s_add_u32 s10, s10, s14
	s_addc_u32 s11, s11, s15
	s_cmp_lg_u64 s[12:13], 0
	s_cbranch_scc0 .LBB1_221
.LBB1_145:                              ; =>This Loop Header: Depth=1
                                        ;     Child Loop BB1_148 Depth 2
                                        ;     Child Loop BB1_155 Depth 2
                                        ;     Child Loop BB1_162 Depth 2
                                        ;     Child Loop BB1_169 Depth 2
                                        ;     Child Loop BB1_176 Depth 2
                                        ;     Child Loop BB1_183 Depth 2
                                        ;     Child Loop BB1_190 Depth 2
                                        ;     Child Loop BB1_197 Depth 2
                                        ;     Child Loop BB1_205 Depth 2
                                        ;     Child Loop BB1_214 Depth 2
                                        ;     Child Loop BB1_219 Depth 2
	v_cmp_lt_u64_e64 s4, s[12:13], 56
	v_cmp_gt_u64_e64 s16, s[12:13], 7
	s_and_b32 s4, s4, exec_lo
	s_cselect_b32 s15, s13, 0
	s_cselect_b32 s14, s12, 56
	s_add_u32 s4, s10, 8
	s_addc_u32 s5, s11, 0
	s_and_b32 vcc_lo, exec_lo, s16
	s_cbranch_vccnz .LBB1_150
; %bb.146:                              ;   in Loop: Header=BB1_145 Depth=1
	v_mov_b32_e32 v8, 0
	v_mov_b32_e32 v9, 0
	s_cmp_eq_u64 s[12:13], 0
	s_cbranch_scc1 .LBB1_149
; %bb.147:                              ;   in Loop: Header=BB1_145 Depth=1
	s_lshl_b64 s[4:5], s[14:15], 3
	s_mov_b64 s[16:17], 0
	s_mov_b64 s[18:19], s[10:11]
.LBB1_148:                              ;   Parent Loop BB1_145 Depth=1
                                        ; =>  This Inner Loop Header: Depth=2
	global_load_ubyte v2, v11, s[18:19]
	s_waitcnt vmcnt(0)
	v_and_b32_e32 v10, 0xffff, v2
	v_lshlrev_b64 v[2:3], s16, v[10:11]
	s_add_u32 s16, s16, 8
	s_addc_u32 s17, s17, 0
	s_add_u32 s18, s18, 1
	s_addc_u32 s19, s19, 0
	s_cmp_lg_u32 s4, s16
	v_or_b32_e32 v8, v2, v8
	v_or_b32_e32 v9, v3, v9
	s_cbranch_scc1 .LBB1_148
.LBB1_149:                              ;   in Loop: Header=BB1_145 Depth=1
	s_mov_b64 s[4:5], s[10:11]
	s_mov_b32 s20, 0
	s_cbranch_execz .LBB1_151
	s_branch .LBB1_152
.LBB1_150:                              ;   in Loop: Header=BB1_145 Depth=1
	s_mov_b32 s20, 0
.LBB1_151:                              ;   in Loop: Header=BB1_145 Depth=1
	global_load_dwordx2 v[8:9], v11, s[10:11]
	s_add_i32 s20, s14, -8
.LBB1_152:                              ;   in Loop: Header=BB1_145 Depth=1
	s_add_u32 s16, s4, 8
	s_addc_u32 s17, s5, 0
	s_cmp_gt_u32 s20, 7
	s_cbranch_scc1 .LBB1_157
; %bb.153:                              ;   in Loop: Header=BB1_145 Depth=1
	v_mov_b32_e32 v14, 0
	v_mov_b32_e32 v15, 0
	s_cmp_eq_u32 s20, 0
	s_cbranch_scc1 .LBB1_156
; %bb.154:                              ;   in Loop: Header=BB1_145 Depth=1
	s_mov_b64 s[16:17], 0
	s_mov_b64 s[18:19], 0
.LBB1_155:                              ;   Parent Loop BB1_145 Depth=1
                                        ; =>  This Inner Loop Header: Depth=2
	s_add_u32 s22, s4, s18
	s_addc_u32 s23, s5, s19
	s_add_u32 s18, s18, 1
	global_load_ubyte v2, v11, s[22:23]
	s_addc_u32 s19, s19, 0
	s_waitcnt vmcnt(0)
	v_and_b32_e32 v10, 0xffff, v2
	v_lshlrev_b64 v[2:3], s16, v[10:11]
	s_add_u32 s16, s16, 8
	s_addc_u32 s17, s17, 0
	s_cmp_lg_u32 s20, s18
	v_or_b32_e32 v14, v2, v14
	v_or_b32_e32 v15, v3, v15
	s_cbranch_scc1 .LBB1_155
.LBB1_156:                              ;   in Loop: Header=BB1_145 Depth=1
	s_mov_b64 s[16:17], s[4:5]
	s_mov_b32 s21, 0
	s_cbranch_execz .LBB1_158
	s_branch .LBB1_159
.LBB1_157:                              ;   in Loop: Header=BB1_145 Depth=1
                                        ; implicit-def: $vgpr14_vgpr15
	s_mov_b32 s21, 0
.LBB1_158:                              ;   in Loop: Header=BB1_145 Depth=1
	global_load_dwordx2 v[14:15], v11, s[4:5]
	s_add_i32 s21, s20, -8
.LBB1_159:                              ;   in Loop: Header=BB1_145 Depth=1
	s_add_u32 s4, s16, 8
	s_addc_u32 s5, s17, 0
	s_cmp_gt_u32 s21, 7
	s_cbranch_scc1 .LBB1_164
; %bb.160:                              ;   in Loop: Header=BB1_145 Depth=1
	v_mov_b32_e32 v16, 0
	v_mov_b32_e32 v17, 0
	s_cmp_eq_u32 s21, 0
	s_cbranch_scc1 .LBB1_163
; %bb.161:                              ;   in Loop: Header=BB1_145 Depth=1
	s_mov_b64 s[4:5], 0
	s_mov_b64 s[18:19], 0
.LBB1_162:                              ;   Parent Loop BB1_145 Depth=1
                                        ; =>  This Inner Loop Header: Depth=2
	s_add_u32 s22, s16, s18
	s_addc_u32 s23, s17, s19
	s_add_u32 s18, s18, 1
	global_load_ubyte v2, v11, s[22:23]
	s_addc_u32 s19, s19, 0
	s_waitcnt vmcnt(0)
	v_and_b32_e32 v10, 0xffff, v2
	v_lshlrev_b64 v[2:3], s4, v[10:11]
	s_add_u32 s4, s4, 8
	s_addc_u32 s5, s5, 0
	s_cmp_lg_u32 s21, s18
	v_or_b32_e32 v16, v2, v16
	v_or_b32_e32 v17, v3, v17
	s_cbranch_scc1 .LBB1_162
.LBB1_163:                              ;   in Loop: Header=BB1_145 Depth=1
	s_mov_b64 s[4:5], s[16:17]
	s_mov_b32 s20, 0
	s_cbranch_execz .LBB1_165
	s_branch .LBB1_166
.LBB1_164:                              ;   in Loop: Header=BB1_145 Depth=1
	s_mov_b32 s20, 0
.LBB1_165:                              ;   in Loop: Header=BB1_145 Depth=1
	global_load_dwordx2 v[16:17], v11, s[16:17]
	s_add_i32 s20, s21, -8
.LBB1_166:                              ;   in Loop: Header=BB1_145 Depth=1
	s_add_u32 s16, s4, 8
	s_addc_u32 s17, s5, 0
	s_cmp_gt_u32 s20, 7
	s_cbranch_scc1 .LBB1_171
; %bb.167:                              ;   in Loop: Header=BB1_145 Depth=1
	v_mov_b32_e32 v18, 0
	v_mov_b32_e32 v19, 0
	s_cmp_eq_u32 s20, 0
	s_cbranch_scc1 .LBB1_170
; %bb.168:                              ;   in Loop: Header=BB1_145 Depth=1
	s_mov_b64 s[16:17], 0
	s_mov_b64 s[18:19], 0
.LBB1_169:                              ;   Parent Loop BB1_145 Depth=1
                                        ; =>  This Inner Loop Header: Depth=2
	s_add_u32 s22, s4, s18
	s_addc_u32 s23, s5, s19
	s_add_u32 s18, s18, 1
	global_load_ubyte v2, v11, s[22:23]
	s_addc_u32 s19, s19, 0
	s_waitcnt vmcnt(0)
	v_and_b32_e32 v10, 0xffff, v2
	v_lshlrev_b64 v[2:3], s16, v[10:11]
	s_add_u32 s16, s16, 8
	s_addc_u32 s17, s17, 0
	s_cmp_lg_u32 s20, s18
	v_or_b32_e32 v18, v2, v18
	v_or_b32_e32 v19, v3, v19
	s_cbranch_scc1 .LBB1_169
.LBB1_170:                              ;   in Loop: Header=BB1_145 Depth=1
	s_mov_b64 s[16:17], s[4:5]
	s_mov_b32 s21, 0
	s_cbranch_execz .LBB1_172
	s_branch .LBB1_173
.LBB1_171:                              ;   in Loop: Header=BB1_145 Depth=1
                                        ; implicit-def: $vgpr18_vgpr19
	s_mov_b32 s21, 0
.LBB1_172:                              ;   in Loop: Header=BB1_145 Depth=1
	global_load_dwordx2 v[18:19], v11, s[4:5]
	s_add_i32 s21, s20, -8
.LBB1_173:                              ;   in Loop: Header=BB1_145 Depth=1
	s_add_u32 s4, s16, 8
	s_addc_u32 s5, s17, 0
	s_cmp_gt_u32 s21, 7
	s_cbranch_scc1 .LBB1_178
; %bb.174:                              ;   in Loop: Header=BB1_145 Depth=1
	v_mov_b32_e32 v20, 0
	v_mov_b32_e32 v21, 0
	s_cmp_eq_u32 s21, 0
	s_cbranch_scc1 .LBB1_177
; %bb.175:                              ;   in Loop: Header=BB1_145 Depth=1
	s_mov_b64 s[4:5], 0
	s_mov_b64 s[18:19], 0
.LBB1_176:                              ;   Parent Loop BB1_145 Depth=1
                                        ; =>  This Inner Loop Header: Depth=2
	s_add_u32 s22, s16, s18
	s_addc_u32 s23, s17, s19
	s_add_u32 s18, s18, 1
	global_load_ubyte v2, v11, s[22:23]
	s_addc_u32 s19, s19, 0
	s_waitcnt vmcnt(0)
	v_and_b32_e32 v10, 0xffff, v2
	v_lshlrev_b64 v[2:3], s4, v[10:11]
	s_add_u32 s4, s4, 8
	s_addc_u32 s5, s5, 0
	s_cmp_lg_u32 s21, s18
	v_or_b32_e32 v20, v2, v20
	v_or_b32_e32 v21, v3, v21
	s_cbranch_scc1 .LBB1_176
.LBB1_177:                              ;   in Loop: Header=BB1_145 Depth=1
	s_mov_b64 s[4:5], s[16:17]
	s_mov_b32 s20, 0
	s_cbranch_execz .LBB1_179
	s_branch .LBB1_180
.LBB1_178:                              ;   in Loop: Header=BB1_145 Depth=1
	s_mov_b32 s20, 0
.LBB1_179:                              ;   in Loop: Header=BB1_145 Depth=1
	global_load_dwordx2 v[20:21], v11, s[16:17]
	s_add_i32 s20, s21, -8
.LBB1_180:                              ;   in Loop: Header=BB1_145 Depth=1
	s_add_u32 s16, s4, 8
	s_addc_u32 s17, s5, 0
	s_cmp_gt_u32 s20, 7
	s_cbranch_scc1 .LBB1_185
; %bb.181:                              ;   in Loop: Header=BB1_145 Depth=1
	v_mov_b32_e32 v22, 0
	v_mov_b32_e32 v23, 0
	s_cmp_eq_u32 s20, 0
	s_cbranch_scc1 .LBB1_184
; %bb.182:                              ;   in Loop: Header=BB1_145 Depth=1
	s_mov_b64 s[16:17], 0
	s_mov_b64 s[18:19], 0
.LBB1_183:                              ;   Parent Loop BB1_145 Depth=1
                                        ; =>  This Inner Loop Header: Depth=2
	s_add_u32 s22, s4, s18
	s_addc_u32 s23, s5, s19
	s_add_u32 s18, s18, 1
	global_load_ubyte v2, v11, s[22:23]
	s_addc_u32 s19, s19, 0
	s_waitcnt vmcnt(0)
	v_and_b32_e32 v10, 0xffff, v2
	v_lshlrev_b64 v[2:3], s16, v[10:11]
	s_add_u32 s16, s16, 8
	s_addc_u32 s17, s17, 0
	s_cmp_lg_u32 s20, s18
	v_or_b32_e32 v22, v2, v22
	v_or_b32_e32 v23, v3, v23
	s_cbranch_scc1 .LBB1_183
.LBB1_184:                              ;   in Loop: Header=BB1_145 Depth=1
	s_mov_b64 s[16:17], s[4:5]
	s_mov_b32 s21, 0
	s_cbranch_execz .LBB1_186
	s_branch .LBB1_187
.LBB1_185:                              ;   in Loop: Header=BB1_145 Depth=1
                                        ; implicit-def: $vgpr22_vgpr23
	s_mov_b32 s21, 0
.LBB1_186:                              ;   in Loop: Header=BB1_145 Depth=1
	global_load_dwordx2 v[22:23], v11, s[4:5]
	s_add_i32 s21, s20, -8
.LBB1_187:                              ;   in Loop: Header=BB1_145 Depth=1
	s_cmp_gt_u32 s21, 7
	s_cbranch_scc1 .LBB1_192
; %bb.188:                              ;   in Loop: Header=BB1_145 Depth=1
	v_mov_b32_e32 v24, 0
	v_mov_b32_e32 v25, 0
	s_cmp_eq_u32 s21, 0
	s_cbranch_scc1 .LBB1_191
; %bb.189:                              ;   in Loop: Header=BB1_145 Depth=1
	s_mov_b64 s[4:5], 0
	s_mov_b64 s[18:19], s[16:17]
.LBB1_190:                              ;   Parent Loop BB1_145 Depth=1
                                        ; =>  This Inner Loop Header: Depth=2
	global_load_ubyte v2, v11, s[18:19]
	s_add_i32 s21, s21, -1
	s_waitcnt vmcnt(0)
	v_and_b32_e32 v10, 0xffff, v2
	v_lshlrev_b64 v[2:3], s4, v[10:11]
	s_add_u32 s4, s4, 8
	s_addc_u32 s5, s5, 0
	s_add_u32 s18, s18, 1
	s_addc_u32 s19, s19, 0
	s_cmp_lg_u32 s21, 0
	v_or_b32_e32 v24, v2, v24
	v_or_b32_e32 v25, v3, v25
	s_cbranch_scc1 .LBB1_190
.LBB1_191:                              ;   in Loop: Header=BB1_145 Depth=1
	s_cbranch_execz .LBB1_193
	s_branch .LBB1_194
.LBB1_192:                              ;   in Loop: Header=BB1_145 Depth=1
.LBB1_193:                              ;   in Loop: Header=BB1_145 Depth=1
	global_load_dwordx2 v[24:25], v11, s[16:17]
.LBB1_194:                              ;   in Loop: Header=BB1_145 Depth=1
	v_readfirstlane_b32 s4, v32
	v_mov_b32_e32 v2, 0
	v_mov_b32_e32 v3, 0
	v_cmp_eq_u32_e64 s4, s4, v32
	s_and_saveexec_b32 s5, s4
	s_cbranch_execz .LBB1_200
; %bb.195:                              ;   in Loop: Header=BB1_145 Depth=1
	global_load_dwordx2 v[28:29], v11, s[6:7] offset:24 glc dlc
	s_waitcnt vmcnt(0)
	buffer_gl1_inv
	buffer_gl0_inv
	s_clause 0x1
	global_load_dwordx2 v[2:3], v11, s[6:7] offset:40
	global_load_dwordx2 v[26:27], v11, s[6:7]
	s_mov_b32 s16, exec_lo
	s_waitcnt vmcnt(1)
	v_and_b32_e32 v3, v3, v29
	v_and_b32_e32 v2, v2, v28
	v_mul_lo_u32 v3, v3, 24
	v_mul_hi_u32 v10, v2, 24
	v_mul_lo_u32 v2, v2, 24
	v_add_nc_u32_e32 v3, v10, v3
	s_waitcnt vmcnt(0)
	v_add_co_u32 v2, vcc_lo, v26, v2
	v_add_co_ci_u32_e64 v3, null, v27, v3, vcc_lo
	global_load_dwordx2 v[26:27], v[2:3], off glc dlc
	s_waitcnt vmcnt(0)
	global_atomic_cmpswap_x2 v[2:3], v11, v[26:29], s[6:7] offset:24 glc
	s_waitcnt vmcnt(0)
	buffer_gl1_inv
	buffer_gl0_inv
	v_cmpx_ne_u64_e64 v[2:3], v[28:29]
	s_cbranch_execz .LBB1_199
; %bb.196:                              ;   in Loop: Header=BB1_145 Depth=1
	s_mov_b32 s17, 0
	.p2align	6
.LBB1_197:                              ;   Parent Loop BB1_145 Depth=1
                                        ; =>  This Inner Loop Header: Depth=2
	s_sleep 1
	s_clause 0x1
	global_load_dwordx2 v[26:27], v11, s[6:7] offset:40
	global_load_dwordx2 v[34:35], v11, s[6:7]
	v_mov_b32_e32 v29, v3
	v_mov_b32_e32 v28, v2
	s_waitcnt vmcnt(1)
	v_and_b32_e32 v2, v26, v28
	v_and_b32_e32 v10, v27, v29
	s_waitcnt vmcnt(0)
	v_mad_u64_u32 v[2:3], null, v2, 24, v[34:35]
	v_mad_u64_u32 v[26:27], null, v10, 24, v[3:4]
	v_mov_b32_e32 v3, v26
	global_load_dwordx2 v[26:27], v[2:3], off glc dlc
	s_waitcnt vmcnt(0)
	global_atomic_cmpswap_x2 v[2:3], v11, v[26:29], s[6:7] offset:24 glc
	s_waitcnt vmcnt(0)
	buffer_gl1_inv
	buffer_gl0_inv
	v_cmp_eq_u64_e32 vcc_lo, v[2:3], v[28:29]
	s_or_b32 s17, vcc_lo, s17
	s_andn2_b32 exec_lo, exec_lo, s17
	s_cbranch_execnz .LBB1_197
; %bb.198:                              ;   in Loop: Header=BB1_145 Depth=1
	s_or_b32 exec_lo, exec_lo, s17
.LBB1_199:                              ;   in Loop: Header=BB1_145 Depth=1
	s_or_b32 exec_lo, exec_lo, s16
.LBB1_200:                              ;   in Loop: Header=BB1_145 Depth=1
	s_or_b32 exec_lo, exec_lo, s5
	s_clause 0x1
	global_load_dwordx2 v[34:35], v11, s[6:7] offset:40
	global_load_dwordx4 v[26:29], v11, s[6:7]
	v_readfirstlane_b32 s17, v3
	v_readfirstlane_b32 s16, v2
	s_mov_b32 s5, exec_lo
	s_waitcnt vmcnt(1)
	v_readfirstlane_b32 s18, v34
	v_readfirstlane_b32 s19, v35
	s_and_b64 s[18:19], s[18:19], s[16:17]
	s_mul_i32 s20, s19, 24
	s_mul_hi_u32 s21, s18, 24
	s_mul_i32 s22, s18, 24
	s_add_i32 s21, s21, s20
	s_waitcnt vmcnt(0)
	v_add_co_u32 v2, vcc_lo, v26, s22
	v_add_co_ci_u32_e64 v3, null, s21, v27, vcc_lo
	s_and_saveexec_b32 s20, s4
	s_cbranch_execz .LBB1_202
; %bb.201:                              ;   in Loop: Header=BB1_145 Depth=1
	v_mov_b32_e32 v10, s5
	global_store_dwordx4 v[2:3], v[10:13], off offset:8
.LBB1_202:                              ;   in Loop: Header=BB1_145 Depth=1
	s_or_b32 exec_lo, exec_lo, s20
	v_cmp_lt_u64_e64 vcc_lo, s[12:13], 57
	s_lshl_b64 s[18:19], s[18:19], 12
	v_and_b32_e32 v6, 0xffffff1f, v6
	s_lshl_b32 s5, s14, 2
	s_add_i32 s5, s5, 28
	v_cndmask_b32_e32 v10, 0, v30, vcc_lo
	v_add_co_u32 v28, vcc_lo, v28, s18
	v_add_co_ci_u32_e64 v29, null, s19, v29, vcc_lo
	v_or_b32_e32 v6, v6, v10
	v_readfirstlane_b32 s18, v28
	v_readfirstlane_b32 s19, v29
	v_and_or_b32 v6, 0x1e0, s5, v6
	global_store_dwordx4 v33, v[14:17], s[18:19] offset:16
	global_store_dwordx4 v33, v[6:9], s[18:19]
	global_store_dwordx4 v33, v[18:21], s[18:19] offset:32
	global_store_dwordx4 v33, v[22:25], s[18:19] offset:48
	s_and_saveexec_b32 s5, s4
	s_cbranch_execz .LBB1_210
; %bb.203:                              ;   in Loop: Header=BB1_145 Depth=1
	s_clause 0x1
	global_load_dwordx2 v[18:19], v11, s[6:7] offset:32 glc dlc
	global_load_dwordx2 v[6:7], v11, s[6:7] offset:40
	v_mov_b32_e32 v16, s16
	v_mov_b32_e32 v17, s17
	s_waitcnt vmcnt(0)
	v_readfirstlane_b32 s18, v6
	v_readfirstlane_b32 s19, v7
	s_and_b64 s[18:19], s[18:19], s[16:17]
	s_mul_i32 s19, s19, 24
	s_mul_hi_u32 s20, s18, 24
	s_mul_i32 s18, s18, 24
	s_add_i32 s20, s20, s19
	v_add_co_u32 v14, vcc_lo, v26, s18
	v_add_co_ci_u32_e64 v15, null, s20, v27, vcc_lo
	s_mov_b32 s18, exec_lo
	global_store_dwordx2 v[14:15], v[18:19], off
	s_waitcnt_vscnt null, 0x0
	global_atomic_cmpswap_x2 v[8:9], v11, v[16:19], s[6:7] offset:32 glc
	s_waitcnt vmcnt(0)
	v_cmpx_ne_u64_e64 v[8:9], v[18:19]
	s_cbranch_execz .LBB1_206
; %bb.204:                              ;   in Loop: Header=BB1_145 Depth=1
	s_mov_b32 s19, 0
.LBB1_205:                              ;   Parent Loop BB1_145 Depth=1
                                        ; =>  This Inner Loop Header: Depth=2
	v_mov_b32_e32 v6, s16
	v_mov_b32_e32 v7, s17
	s_sleep 1
	global_store_dwordx2 v[14:15], v[8:9], off
	s_waitcnt_vscnt null, 0x0
	global_atomic_cmpswap_x2 v[6:7], v11, v[6:9], s[6:7] offset:32 glc
	s_waitcnt vmcnt(0)
	v_cmp_eq_u64_e32 vcc_lo, v[6:7], v[8:9]
	v_mov_b32_e32 v9, v7
	v_mov_b32_e32 v8, v6
	s_or_b32 s19, vcc_lo, s19
	s_andn2_b32 exec_lo, exec_lo, s19
	s_cbranch_execnz .LBB1_205
.LBB1_206:                              ;   in Loop: Header=BB1_145 Depth=1
	s_or_b32 exec_lo, exec_lo, s18
	global_load_dwordx2 v[6:7], v11, s[6:7] offset:16
	s_mov_b32 s19, exec_lo
	s_mov_b32 s18, exec_lo
	v_mbcnt_lo_u32_b32 v8, s19, 0
	v_cmpx_eq_u32_e32 0, v8
	s_cbranch_execz .LBB1_208
; %bb.207:                              ;   in Loop: Header=BB1_145 Depth=1
	s_bcnt1_i32_b32 s19, s19
	v_mov_b32_e32 v10, s19
	s_waitcnt vmcnt(0)
	global_atomic_add_x2 v[6:7], v[10:11], off offset:8
.LBB1_208:                              ;   in Loop: Header=BB1_145 Depth=1
	s_or_b32 exec_lo, exec_lo, s18
	s_waitcnt vmcnt(0)
	global_load_dwordx2 v[8:9], v[6:7], off offset:16
	s_waitcnt vmcnt(0)
	v_cmp_eq_u64_e32 vcc_lo, 0, v[8:9]
	s_cbranch_vccnz .LBB1_210
; %bb.209:                              ;   in Loop: Header=BB1_145 Depth=1
	global_load_dword v10, v[6:7], off offset:24
	s_waitcnt vmcnt(0)
	v_readfirstlane_b32 s18, v10
	s_waitcnt_vscnt null, 0x0
	global_store_dwordx2 v[8:9], v[10:11], off
	s_and_b32 m0, s18, 0x7fffff
	s_sendmsg sendmsg(MSG_INTERRUPT)
.LBB1_210:                              ;   in Loop: Header=BB1_145 Depth=1
	s_or_b32 exec_lo, exec_lo, s5
	v_add_co_u32 v6, vcc_lo, v28, v33
	v_add_co_ci_u32_e64 v7, null, 0, v29, vcc_lo
	s_branch .LBB1_214
	.p2align	6
.LBB1_211:                              ;   in Loop: Header=BB1_214 Depth=2
	s_or_b32 exec_lo, exec_lo, s5
	v_readfirstlane_b32 s5, v8
	s_cmp_eq_u32 s5, 0
	s_cbranch_scc1 .LBB1_213
; %bb.212:                              ;   in Loop: Header=BB1_214 Depth=2
	s_sleep 1
	s_cbranch_execnz .LBB1_214
	s_branch .LBB1_216
	.p2align	6
.LBB1_213:                              ;   in Loop: Header=BB1_145 Depth=1
	s_branch .LBB1_216
.LBB1_214:                              ;   Parent Loop BB1_145 Depth=1
                                        ; =>  This Inner Loop Header: Depth=2
	v_mov_b32_e32 v8, 1
	s_and_saveexec_b32 s5, s4
	s_cbranch_execz .LBB1_211
; %bb.215:                              ;   in Loop: Header=BB1_214 Depth=2
	global_load_dword v8, v[2:3], off offset:20 glc dlc
	s_waitcnt vmcnt(0)
	buffer_gl1_inv
	buffer_gl0_inv
	v_and_b32_e32 v8, 1, v8
	s_branch .LBB1_211
.LBB1_216:                              ;   in Loop: Header=BB1_145 Depth=1
	global_load_dwordx2 v[6:7], v[6:7], off
	s_and_saveexec_b32 s18, s4
	s_cbranch_execz .LBB1_144
; %bb.217:                              ;   in Loop: Header=BB1_145 Depth=1
	s_clause 0x2
	global_load_dwordx2 v[2:3], v11, s[6:7] offset:40
	global_load_dwordx2 v[18:19], v11, s[6:7] offset:24 glc dlc
	global_load_dwordx2 v[8:9], v11, s[6:7]
	s_waitcnt vmcnt(2)
	v_readfirstlane_b32 s20, v2
	v_readfirstlane_b32 s21, v3
	s_add_u32 s19, s20, 1
	s_addc_u32 s22, s21, 0
	s_add_u32 s4, s19, s16
	s_addc_u32 s5, s22, s17
	s_cmp_eq_u64 s[4:5], 0
	s_cselect_b32 s5, s22, s5
	s_cselect_b32 s4, s19, s4
	v_mov_b32_e32 v17, s5
	s_and_b64 s[16:17], s[4:5], s[20:21]
	v_mov_b32_e32 v16, s4
	s_mul_i32 s17, s17, 24
	s_mul_hi_u32 s19, s16, 24
	s_mul_i32 s16, s16, 24
	s_add_i32 s19, s19, s17
	s_waitcnt vmcnt(0)
	v_add_co_u32 v2, vcc_lo, v8, s16
	v_add_co_ci_u32_e64 v3, null, s19, v9, vcc_lo
	global_store_dwordx2 v[2:3], v[18:19], off
	s_waitcnt_vscnt null, 0x0
	global_atomic_cmpswap_x2 v[16:17], v11, v[16:19], s[6:7] offset:24 glc
	s_waitcnt vmcnt(0)
	v_cmp_ne_u64_e32 vcc_lo, v[16:17], v[18:19]
	s_and_b32 exec_lo, exec_lo, vcc_lo
	s_cbranch_execz .LBB1_144
; %bb.218:                              ;   in Loop: Header=BB1_145 Depth=1
	s_mov_b32 s16, 0
.LBB1_219:                              ;   Parent Loop BB1_145 Depth=1
                                        ; =>  This Inner Loop Header: Depth=2
	v_mov_b32_e32 v14, s4
	v_mov_b32_e32 v15, s5
	s_sleep 1
	global_store_dwordx2 v[2:3], v[16:17], off
	s_waitcnt_vscnt null, 0x0
	global_atomic_cmpswap_x2 v[8:9], v11, v[14:17], s[6:7] offset:24 glc
	s_waitcnt vmcnt(0)
	v_cmp_eq_u64_e32 vcc_lo, v[8:9], v[16:17]
	v_mov_b32_e32 v17, v9
	v_mov_b32_e32 v16, v8
	s_or_b32 s16, vcc_lo, s16
	s_andn2_b32 exec_lo, exec_lo, s16
	s_cbranch_execnz .LBB1_219
	s_branch .LBB1_144
.LBB1_220:
                                        ; implicit-def: $vgpr6_vgpr7
	s_cbranch_execnz .LBB1_222
	s_branch .LBB1_249
.LBB1_221:
	s_branch .LBB1_249
.LBB1_222:
	v_readfirstlane_b32 s4, v32
	v_mov_b32_e32 v10, 0
	v_mov_b32_e32 v11, 0
	v_cmp_eq_u32_e64 s4, s4, v32
	s_and_saveexec_b32 s5, s4
	s_cbranch_execz .LBB1_228
; %bb.223:
	v_mov_b32_e32 v2, 0
	s_mov_b32 s10, exec_lo
	global_load_dwordx2 v[8:9], v2, s[6:7] offset:24 glc dlc
	s_waitcnt vmcnt(0)
	buffer_gl1_inv
	buffer_gl0_inv
	s_clause 0x1
	global_load_dwordx2 v[6:7], v2, s[6:7] offset:40
	global_load_dwordx2 v[10:11], v2, s[6:7]
	s_waitcnt vmcnt(1)
	v_and_b32_e32 v3, v7, v9
	v_and_b32_e32 v6, v6, v8
	v_mul_lo_u32 v3, v3, 24
	v_mul_hi_u32 v7, v6, 24
	v_mul_lo_u32 v6, v6, 24
	v_add_nc_u32_e32 v3, v7, v3
	s_waitcnt vmcnt(0)
	v_add_co_u32 v6, vcc_lo, v10, v6
	v_add_co_ci_u32_e64 v7, null, v11, v3, vcc_lo
	global_load_dwordx2 v[6:7], v[6:7], off glc dlc
	s_waitcnt vmcnt(0)
	global_atomic_cmpswap_x2 v[10:11], v2, v[6:9], s[6:7] offset:24 glc
	s_waitcnt vmcnt(0)
	buffer_gl1_inv
	buffer_gl0_inv
	v_cmpx_ne_u64_e64 v[10:11], v[8:9]
	s_cbranch_execz .LBB1_227
; %bb.224:
	s_mov_b32 s11, 0
	.p2align	6
.LBB1_225:                              ; =>This Inner Loop Header: Depth=1
	s_sleep 1
	s_clause 0x1
	global_load_dwordx2 v[6:7], v2, s[6:7] offset:40
	global_load_dwordx2 v[12:13], v2, s[6:7]
	v_mov_b32_e32 v8, v10
	v_mov_b32_e32 v9, v11
	s_waitcnt vmcnt(1)
	v_and_b32_e32 v3, v6, v8
	v_and_b32_e32 v6, v7, v9
	s_waitcnt vmcnt(0)
	v_mad_u64_u32 v[10:11], null, v3, 24, v[12:13]
	v_mov_b32_e32 v3, v11
	v_mad_u64_u32 v[6:7], null, v6, 24, v[3:4]
	v_mov_b32_e32 v11, v6
	global_load_dwordx2 v[6:7], v[10:11], off glc dlc
	s_waitcnt vmcnt(0)
	global_atomic_cmpswap_x2 v[10:11], v2, v[6:9], s[6:7] offset:24 glc
	s_waitcnt vmcnt(0)
	buffer_gl1_inv
	buffer_gl0_inv
	v_cmp_eq_u64_e32 vcc_lo, v[10:11], v[8:9]
	s_or_b32 s11, vcc_lo, s11
	s_andn2_b32 exec_lo, exec_lo, s11
	s_cbranch_execnz .LBB1_225
; %bb.226:
	s_or_b32 exec_lo, exec_lo, s11
.LBB1_227:
	s_or_b32 exec_lo, exec_lo, s10
.LBB1_228:
	s_or_b32 exec_lo, exec_lo, s5
	v_mov_b32_e32 v2, 0
	v_readfirstlane_b32 s11, v11
	v_readfirstlane_b32 s10, v10
	s_mov_b32 s5, exec_lo
	s_clause 0x1
	global_load_dwordx2 v[12:13], v2, s[6:7] offset:40
	global_load_dwordx4 v[6:9], v2, s[6:7]
	s_waitcnt vmcnt(1)
	v_readfirstlane_b32 s12, v12
	v_readfirstlane_b32 s13, v13
	s_and_b64 s[12:13], s[12:13], s[10:11]
	s_mul_i32 s14, s13, 24
	s_mul_hi_u32 s15, s12, 24
	s_mul_i32 s16, s12, 24
	s_add_i32 s15, s15, s14
	s_waitcnt vmcnt(0)
	v_add_co_u32 v10, vcc_lo, v6, s16
	v_add_co_ci_u32_e64 v11, null, s15, v7, vcc_lo
	s_and_saveexec_b32 s14, s4
	s_cbranch_execz .LBB1_230
; %bb.229:
	v_mov_b32_e32 v12, s5
	v_mov_b32_e32 v13, v2
	;; [unrolled: 1-line block ×4, first 2 shown]
	global_store_dwordx4 v[10:11], v[12:15], off offset:8
.LBB1_230:
	s_or_b32 exec_lo, exec_lo, s14
	s_lshl_b64 s[12:13], s[12:13], 12
	v_and_or_b32 v0, 0xffffff1f, v0, 32
	v_add_co_u32 v8, vcc_lo, v8, s12
	v_add_co_ci_u32_e64 v9, null, s13, v9, vcc_lo
	s_mov_b32 s12, 0
	v_readfirstlane_b32 s16, v8
	v_add_co_u32 v8, vcc_lo, v8, v33
	s_mov_b32 s13, s12
	s_mov_b32 s14, s12
	;; [unrolled: 1-line block ×3, first 2 shown]
	v_mov_b32_e32 v3, v2
	v_readfirstlane_b32 s17, v9
	v_mov_b32_e32 v12, s12
	v_add_co_ci_u32_e64 v9, null, 0, v9, vcc_lo
	v_mov_b32_e32 v13, s13
	v_mov_b32_e32 v14, s14
	;; [unrolled: 1-line block ×3, first 2 shown]
	global_store_dwordx4 v33, v[0:3], s[16:17]
	global_store_dwordx4 v33, v[12:15], s[16:17] offset:16
	global_store_dwordx4 v33, v[12:15], s[16:17] offset:32
	;; [unrolled: 1-line block ×3, first 2 shown]
	s_and_saveexec_b32 s5, s4
	s_cbranch_execz .LBB1_238
; %bb.231:
	v_mov_b32_e32 v12, 0
	v_mov_b32_e32 v13, s10
	;; [unrolled: 1-line block ×3, first 2 shown]
	s_clause 0x1
	global_load_dwordx2 v[15:16], v12, s[6:7] offset:32 glc dlc
	global_load_dwordx2 v[0:1], v12, s[6:7] offset:40
	s_waitcnt vmcnt(0)
	v_readfirstlane_b32 s12, v0
	v_readfirstlane_b32 s13, v1
	s_and_b64 s[12:13], s[12:13], s[10:11]
	s_mul_i32 s13, s13, 24
	s_mul_hi_u32 s14, s12, 24
	s_mul_i32 s12, s12, 24
	s_add_i32 s14, s14, s13
	v_add_co_u32 v6, vcc_lo, v6, s12
	v_add_co_ci_u32_e64 v7, null, s14, v7, vcc_lo
	s_mov_b32 s12, exec_lo
	global_store_dwordx2 v[6:7], v[15:16], off
	s_waitcnt_vscnt null, 0x0
	global_atomic_cmpswap_x2 v[2:3], v12, v[13:16], s[6:7] offset:32 glc
	s_waitcnt vmcnt(0)
	v_cmpx_ne_u64_e64 v[2:3], v[15:16]
	s_cbranch_execz .LBB1_234
; %bb.232:
	s_mov_b32 s13, 0
.LBB1_233:                              ; =>This Inner Loop Header: Depth=1
	v_mov_b32_e32 v0, s10
	v_mov_b32_e32 v1, s11
	s_sleep 1
	global_store_dwordx2 v[6:7], v[2:3], off
	s_waitcnt_vscnt null, 0x0
	global_atomic_cmpswap_x2 v[0:1], v12, v[0:3], s[6:7] offset:32 glc
	s_waitcnt vmcnt(0)
	v_cmp_eq_u64_e32 vcc_lo, v[0:1], v[2:3]
	v_mov_b32_e32 v3, v1
	v_mov_b32_e32 v2, v0
	s_or_b32 s13, vcc_lo, s13
	s_andn2_b32 exec_lo, exec_lo, s13
	s_cbranch_execnz .LBB1_233
.LBB1_234:
	s_or_b32 exec_lo, exec_lo, s12
	v_mov_b32_e32 v3, 0
	s_mov_b32 s13, exec_lo
	s_mov_b32 s12, exec_lo
	v_mbcnt_lo_u32_b32 v2, s13, 0
	global_load_dwordx2 v[0:1], v3, s[6:7] offset:16
	v_cmpx_eq_u32_e32 0, v2
	s_cbranch_execz .LBB1_236
; %bb.235:
	s_bcnt1_i32_b32 s13, s13
	v_mov_b32_e32 v2, s13
	s_waitcnt vmcnt(0)
	global_atomic_add_x2 v[0:1], v[2:3], off offset:8
.LBB1_236:
	s_or_b32 exec_lo, exec_lo, s12
	s_waitcnt vmcnt(0)
	global_load_dwordx2 v[2:3], v[0:1], off offset:16
	s_waitcnt vmcnt(0)
	v_cmp_eq_u64_e32 vcc_lo, 0, v[2:3]
	s_cbranch_vccnz .LBB1_238
; %bb.237:
	global_load_dword v0, v[0:1], off offset:24
	v_mov_b32_e32 v1, 0
	s_waitcnt vmcnt(0)
	v_readfirstlane_b32 s12, v0
	s_waitcnt_vscnt null, 0x0
	global_store_dwordx2 v[2:3], v[0:1], off
	s_and_b32 m0, s12, 0x7fffff
	s_sendmsg sendmsg(MSG_INTERRUPT)
.LBB1_238:
	s_or_b32 exec_lo, exec_lo, s5
	s_branch .LBB1_242
	.p2align	6
.LBB1_239:                              ;   in Loop: Header=BB1_242 Depth=1
	s_or_b32 exec_lo, exec_lo, s5
	v_readfirstlane_b32 s5, v0
	s_cmp_eq_u32 s5, 0
	s_cbranch_scc1 .LBB1_241
; %bb.240:                              ;   in Loop: Header=BB1_242 Depth=1
	s_sleep 1
	s_cbranch_execnz .LBB1_242
	s_branch .LBB1_244
	.p2align	6
.LBB1_241:
	s_branch .LBB1_244
.LBB1_242:                              ; =>This Inner Loop Header: Depth=1
	v_mov_b32_e32 v0, 1
	s_and_saveexec_b32 s5, s4
	s_cbranch_execz .LBB1_239
; %bb.243:                              ;   in Loop: Header=BB1_242 Depth=1
	global_load_dword v0, v[10:11], off offset:20 glc dlc
	s_waitcnt vmcnt(0)
	buffer_gl1_inv
	buffer_gl0_inv
	v_and_b32_e32 v0, 1, v0
	s_branch .LBB1_239
.LBB1_244:
	global_load_dwordx2 v[6:7], v[8:9], off
	s_and_saveexec_b32 s12, s4
	s_cbranch_execz .LBB1_248
; %bb.245:
	v_mov_b32_e32 v10, 0
	s_clause 0x2
	global_load_dwordx2 v[0:1], v10, s[6:7] offset:40
	global_load_dwordx2 v[13:14], v10, s[6:7] offset:24 glc dlc
	global_load_dwordx2 v[2:3], v10, s[6:7]
	s_waitcnt vmcnt(2)
	v_readfirstlane_b32 s14, v0
	v_readfirstlane_b32 s15, v1
	s_add_u32 s13, s14, 1
	s_addc_u32 s16, s15, 0
	s_add_u32 s4, s13, s10
	s_addc_u32 s5, s16, s11
	s_cmp_eq_u64 s[4:5], 0
	s_cselect_b32 s5, s16, s5
	s_cselect_b32 s4, s13, s4
	v_mov_b32_e32 v12, s5
	s_and_b64 s[10:11], s[4:5], s[14:15]
	v_mov_b32_e32 v11, s4
	s_mul_i32 s11, s11, 24
	s_mul_hi_u32 s13, s10, 24
	s_mul_i32 s10, s10, 24
	s_add_i32 s13, s13, s11
	s_waitcnt vmcnt(0)
	v_add_co_u32 v8, vcc_lo, v2, s10
	v_add_co_ci_u32_e64 v9, null, s13, v3, vcc_lo
	global_store_dwordx2 v[8:9], v[13:14], off
	s_waitcnt_vscnt null, 0x0
	global_atomic_cmpswap_x2 v[2:3], v10, v[11:14], s[6:7] offset:24 glc
	s_waitcnt vmcnt(0)
	v_cmp_ne_u64_e32 vcc_lo, v[2:3], v[13:14]
	s_and_b32 exec_lo, exec_lo, vcc_lo
	s_cbranch_execz .LBB1_248
; %bb.246:
	s_mov_b32 s10, 0
.LBB1_247:                              ; =>This Inner Loop Header: Depth=1
	v_mov_b32_e32 v0, s4
	v_mov_b32_e32 v1, s5
	s_sleep 1
	global_store_dwordx2 v[8:9], v[2:3], off
	s_waitcnt_vscnt null, 0x0
	global_atomic_cmpswap_x2 v[0:1], v10, v[0:3], s[6:7] offset:24 glc
	s_waitcnt vmcnt(0)
	v_cmp_eq_u64_e32 vcc_lo, v[0:1], v[2:3]
	v_mov_b32_e32 v3, v1
	v_mov_b32_e32 v2, v0
	s_or_b32 s10, vcc_lo, s10
	s_andn2_b32 exec_lo, exec_lo, s10
	s_cbranch_execnz .LBB1_247
.LBB1_248:
	s_or_b32 exec_lo, exec_lo, s12
.LBB1_249:
	v_readfirstlane_b32 s4, v32
	v_mov_b32_e32 v10, 0
	v_mov_b32_e32 v11, 0
	v_cmp_eq_u32_e64 s4, s4, v32
	s_and_saveexec_b32 s5, s4
	s_cbranch_execz .LBB1_255
; %bb.250:
	s_waitcnt vmcnt(0)
	v_mov_b32_e32 v0, 0
	s_mov_b32 s10, exec_lo
	global_load_dwordx2 v[12:13], v0, s[6:7] offset:24 glc dlc
	s_waitcnt vmcnt(0)
	buffer_gl1_inv
	buffer_gl0_inv
	s_clause 0x1
	global_load_dwordx2 v[1:2], v0, s[6:7] offset:40
	global_load_dwordx2 v[8:9], v0, s[6:7]
	s_waitcnt vmcnt(1)
	v_and_b32_e32 v2, v2, v13
	v_and_b32_e32 v1, v1, v12
	v_mul_lo_u32 v2, v2, 24
	v_mul_hi_u32 v3, v1, 24
	v_mul_lo_u32 v1, v1, 24
	v_add_nc_u32_e32 v2, v3, v2
	s_waitcnt vmcnt(0)
	v_add_co_u32 v1, vcc_lo, v8, v1
	v_add_co_ci_u32_e64 v2, null, v9, v2, vcc_lo
	global_load_dwordx2 v[10:11], v[1:2], off glc dlc
	s_waitcnt vmcnt(0)
	global_atomic_cmpswap_x2 v[10:11], v0, v[10:13], s[6:7] offset:24 glc
	s_waitcnt vmcnt(0)
	buffer_gl1_inv
	buffer_gl0_inv
	v_cmpx_ne_u64_e64 v[10:11], v[12:13]
	s_cbranch_execz .LBB1_254
; %bb.251:
	s_mov_b32 s11, 0
	.p2align	6
.LBB1_252:                              ; =>This Inner Loop Header: Depth=1
	s_sleep 1
	s_clause 0x1
	global_load_dwordx2 v[1:2], v0, s[6:7] offset:40
	global_load_dwordx2 v[8:9], v0, s[6:7]
	v_mov_b32_e32 v13, v11
	v_mov_b32_e32 v12, v10
	s_waitcnt vmcnt(1)
	v_and_b32_e32 v1, v1, v12
	v_and_b32_e32 v2, v2, v13
	s_waitcnt vmcnt(0)
	v_mad_u64_u32 v[8:9], null, v1, 24, v[8:9]
	v_mov_b32_e32 v1, v9
	v_mad_u64_u32 v[1:2], null, v2, 24, v[1:2]
	v_mov_b32_e32 v9, v1
	global_load_dwordx2 v[10:11], v[8:9], off glc dlc
	s_waitcnt vmcnt(0)
	global_atomic_cmpswap_x2 v[10:11], v0, v[10:13], s[6:7] offset:24 glc
	s_waitcnt vmcnt(0)
	buffer_gl1_inv
	buffer_gl0_inv
	v_cmp_eq_u64_e32 vcc_lo, v[10:11], v[12:13]
	s_or_b32 s11, vcc_lo, s11
	s_andn2_b32 exec_lo, exec_lo, s11
	s_cbranch_execnz .LBB1_252
; %bb.253:
	s_or_b32 exec_lo, exec_lo, s11
.LBB1_254:
	s_or_b32 exec_lo, exec_lo, s10
.LBB1_255:
	s_or_b32 exec_lo, exec_lo, s5
	v_mov_b32_e32 v9, 0
	v_readfirstlane_b32 s11, v11
	v_readfirstlane_b32 s10, v10
	s_mov_b32 s5, exec_lo
	s_clause 0x1
	global_load_dwordx2 v[12:13], v9, s[6:7] offset:40
	global_load_dwordx4 v[0:3], v9, s[6:7]
	s_waitcnt vmcnt(1)
	v_readfirstlane_b32 s12, v12
	v_readfirstlane_b32 s13, v13
	s_and_b64 s[12:13], s[12:13], s[10:11]
	s_mul_i32 s14, s13, 24
	s_mul_hi_u32 s15, s12, 24
	s_mul_i32 s16, s12, 24
	s_add_i32 s15, s15, s14
	s_waitcnt vmcnt(0)
	v_add_co_u32 v10, vcc_lo, v0, s16
	v_add_co_ci_u32_e64 v11, null, s15, v1, vcc_lo
	s_and_saveexec_b32 s14, s4
	s_cbranch_execz .LBB1_257
; %bb.256:
	v_mov_b32_e32 v8, s5
	v_mov_b32_e32 v13, v9
	;; [unrolled: 1-line block ×5, first 2 shown]
	global_store_dwordx4 v[10:11], v[12:15], off offset:8
.LBB1_257:
	s_or_b32 exec_lo, exec_lo, s14
	s_lshl_b64 s[12:13], s[12:13], 12
	v_and_or_b32 v6, 0xffffff1f, v6, 32
	v_add_co_u32 v2, vcc_lo, v2, s12
	v_add_co_ci_u32_e64 v3, null, s13, v3, vcc_lo
	s_mov_b32 s12, 0
	v_add_co_u32 v12, vcc_lo, v2, v33
	s_mov_b32 s15, s12
	s_mov_b32 s13, s12
	;; [unrolled: 1-line block ×3, first 2 shown]
	v_mov_b32_e32 v8, 0x331
	v_readfirstlane_b32 s16, v2
	v_readfirstlane_b32 s17, v3
	v_mov_b32_e32 v17, s15
	v_add_co_ci_u32_e64 v13, null, 0, v3, vcc_lo
	v_mov_b32_e32 v16, s14
	v_mov_b32_e32 v15, s13
	;; [unrolled: 1-line block ×3, first 2 shown]
	global_store_dwordx4 v33, v[6:9], s[16:17]
	global_store_dwordx4 v33, v[14:17], s[16:17] offset:16
	global_store_dwordx4 v33, v[14:17], s[16:17] offset:32
	;; [unrolled: 1-line block ×3, first 2 shown]
	s_and_saveexec_b32 s5, s4
	s_cbranch_execz .LBB1_265
; %bb.258:
	v_mov_b32_e32 v8, 0
	v_mov_b32_e32 v14, s10
	;; [unrolled: 1-line block ×3, first 2 shown]
	s_clause 0x1
	global_load_dwordx2 v[16:17], v8, s[6:7] offset:32 glc dlc
	global_load_dwordx2 v[2:3], v8, s[6:7] offset:40
	s_waitcnt vmcnt(0)
	v_readfirstlane_b32 s12, v2
	v_readfirstlane_b32 s13, v3
	s_and_b64 s[12:13], s[12:13], s[10:11]
	s_mul_i32 s13, s13, 24
	s_mul_hi_u32 s14, s12, 24
	s_mul_i32 s12, s12, 24
	s_add_i32 s14, s14, s13
	v_add_co_u32 v6, vcc_lo, v0, s12
	v_add_co_ci_u32_e64 v7, null, s14, v1, vcc_lo
	s_mov_b32 s12, exec_lo
	global_store_dwordx2 v[6:7], v[16:17], off
	s_waitcnt_vscnt null, 0x0
	global_atomic_cmpswap_x2 v[2:3], v8, v[14:17], s[6:7] offset:32 glc
	s_waitcnt vmcnt(0)
	v_cmpx_ne_u64_e64 v[2:3], v[16:17]
	s_cbranch_execz .LBB1_261
; %bb.259:
	s_mov_b32 s13, 0
.LBB1_260:                              ; =>This Inner Loop Header: Depth=1
	v_mov_b32_e32 v0, s10
	v_mov_b32_e32 v1, s11
	s_sleep 1
	global_store_dwordx2 v[6:7], v[2:3], off
	s_waitcnt_vscnt null, 0x0
	global_atomic_cmpswap_x2 v[0:1], v8, v[0:3], s[6:7] offset:32 glc
	s_waitcnt vmcnt(0)
	v_cmp_eq_u64_e32 vcc_lo, v[0:1], v[2:3]
	v_mov_b32_e32 v3, v1
	v_mov_b32_e32 v2, v0
	s_or_b32 s13, vcc_lo, s13
	s_andn2_b32 exec_lo, exec_lo, s13
	s_cbranch_execnz .LBB1_260
.LBB1_261:
	s_or_b32 exec_lo, exec_lo, s12
	v_mov_b32_e32 v3, 0
	s_mov_b32 s13, exec_lo
	s_mov_b32 s12, exec_lo
	v_mbcnt_lo_u32_b32 v2, s13, 0
	global_load_dwordx2 v[0:1], v3, s[6:7] offset:16
	v_cmpx_eq_u32_e32 0, v2
	s_cbranch_execz .LBB1_263
; %bb.262:
	s_bcnt1_i32_b32 s13, s13
	v_mov_b32_e32 v2, s13
	s_waitcnt vmcnt(0)
	global_atomic_add_x2 v[0:1], v[2:3], off offset:8
.LBB1_263:
	s_or_b32 exec_lo, exec_lo, s12
	s_waitcnt vmcnt(0)
	global_load_dwordx2 v[2:3], v[0:1], off offset:16
	s_waitcnt vmcnt(0)
	v_cmp_eq_u64_e32 vcc_lo, 0, v[2:3]
	s_cbranch_vccnz .LBB1_265
; %bb.264:
	global_load_dword v0, v[0:1], off offset:24
	v_mov_b32_e32 v1, 0
	s_waitcnt vmcnt(0)
	v_readfirstlane_b32 s12, v0
	s_waitcnt_vscnt null, 0x0
	global_store_dwordx2 v[2:3], v[0:1], off
	s_and_b32 m0, s12, 0x7fffff
	s_sendmsg sendmsg(MSG_INTERRUPT)
.LBB1_265:
	s_or_b32 exec_lo, exec_lo, s5
	s_branch .LBB1_269
	.p2align	6
.LBB1_266:                              ;   in Loop: Header=BB1_269 Depth=1
	s_or_b32 exec_lo, exec_lo, s5
	v_readfirstlane_b32 s5, v0
	s_cmp_eq_u32 s5, 0
	s_cbranch_scc1 .LBB1_268
; %bb.267:                              ;   in Loop: Header=BB1_269 Depth=1
	s_sleep 1
	s_cbranch_execnz .LBB1_269
	s_branch .LBB1_271
	.p2align	6
.LBB1_268:
	s_branch .LBB1_271
.LBB1_269:                              ; =>This Inner Loop Header: Depth=1
	v_mov_b32_e32 v0, 1
	s_and_saveexec_b32 s5, s4
	s_cbranch_execz .LBB1_266
; %bb.270:                              ;   in Loop: Header=BB1_269 Depth=1
	global_load_dword v0, v[10:11], off offset:20 glc dlc
	s_waitcnt vmcnt(0)
	buffer_gl1_inv
	buffer_gl0_inv
	v_and_b32_e32 v0, 1, v0
	s_branch .LBB1_266
.LBB1_271:
	global_load_dwordx2 v[0:1], v[12:13], off
	s_and_saveexec_b32 s12, s4
	s_cbranch_execz .LBB1_275
; %bb.272:
	v_mov_b32_e32 v10, 0
	s_clause 0x2
	global_load_dwordx2 v[2:3], v10, s[6:7] offset:40
	global_load_dwordx2 v[13:14], v10, s[6:7] offset:24 glc dlc
	global_load_dwordx2 v[6:7], v10, s[6:7]
	s_waitcnt vmcnt(2)
	v_readfirstlane_b32 s14, v2
	v_readfirstlane_b32 s15, v3
	s_add_u32 s13, s14, 1
	s_addc_u32 s16, s15, 0
	s_add_u32 s4, s13, s10
	s_addc_u32 s5, s16, s11
	s_cmp_eq_u64 s[4:5], 0
	s_cselect_b32 s5, s16, s5
	s_cselect_b32 s4, s13, s4
	v_mov_b32_e32 v12, s5
	s_and_b64 s[10:11], s[4:5], s[14:15]
	v_mov_b32_e32 v11, s4
	s_mul_i32 s11, s11, 24
	s_mul_hi_u32 s13, s10, 24
	s_mul_i32 s10, s10, 24
	s_add_i32 s13, s13, s11
	s_waitcnt vmcnt(0)
	v_add_co_u32 v2, vcc_lo, v6, s10
	v_add_co_ci_u32_e64 v3, null, s13, v7, vcc_lo
	global_store_dwordx2 v[2:3], v[13:14], off
	s_waitcnt_vscnt null, 0x0
	global_atomic_cmpswap_x2 v[8:9], v10, v[11:14], s[6:7] offset:24 glc
	s_waitcnt vmcnt(0)
	v_cmp_ne_u64_e32 vcc_lo, v[8:9], v[13:14]
	s_and_b32 exec_lo, exec_lo, vcc_lo
	s_cbranch_execz .LBB1_275
; %bb.273:
	s_mov_b32 s10, 0
.LBB1_274:                              ; =>This Inner Loop Header: Depth=1
	v_mov_b32_e32 v6, s4
	v_mov_b32_e32 v7, s5
	s_sleep 1
	global_store_dwordx2 v[2:3], v[8:9], off
	s_waitcnt_vscnt null, 0x0
	global_atomic_cmpswap_x2 v[6:7], v10, v[6:9], s[6:7] offset:24 glc
	s_waitcnt vmcnt(0)
	v_cmp_eq_u64_e32 vcc_lo, v[6:7], v[8:9]
	v_mov_b32_e32 v9, v7
	v_mov_b32_e32 v8, v6
	s_or_b32 s10, vcc_lo, s10
	s_andn2_b32 exec_lo, exec_lo, s10
	s_cbranch_execnz .LBB1_274
.LBB1_275:
	s_or_b32 exec_lo, exec_lo, s12
	v_mov_b32_e32 v7, v5
	v_mov_b32_e32 v6, v4
	s_mov_b32 s4, 0
.LBB1_276:                              ; =>This Inner Loop Header: Depth=1
	global_load_ubyte v8, v[6:7], off
	v_add_co_u32 v2, vcc_lo, v6, 1
	v_add_co_ci_u32_e64 v3, null, 0, v7, vcc_lo
	v_mov_b32_e32 v7, v3
	v_mov_b32_e32 v6, v2
	s_waitcnt vmcnt(0)
	v_cmp_eq_u16_e32 vcc_lo, 0, v8
	s_or_b32 s4, vcc_lo, s4
	s_andn2_b32 exec_lo, exec_lo, s4
	s_cbranch_execnz .LBB1_276
; %bb.277:
	s_or_b32 exec_lo, exec_lo, s4
	s_mov_b32 s4, exec_lo
	v_cmpx_ne_u64_e32 0, v[4:5]
	s_xor_b32 s14, exec_lo, s4
	s_cbranch_execz .LBB1_363
; %bb.278:
	v_sub_nc_u32_e32 v26, v2, v4
	v_and_b32_e32 v34, 2, v0
	v_mov_b32_e32 v7, 0
	v_and_b32_e32 v0, -3, v0
	v_mov_b32_e32 v8, 2
	v_ashrrev_i32_e32 v27, 31, v26
	v_mov_b32_e32 v9, 1
	s_mov_b32 s16, 0
	s_mov_b32 s15, 0
	s_branch .LBB1_280
.LBB1_279:                              ;   in Loop: Header=BB1_280 Depth=1
	s_or_b32 exec_lo, exec_lo, s12
	v_sub_co_u32 v26, vcc_lo, v26, v28
	v_sub_co_ci_u32_e64 v27, null, v27, v29, vcc_lo
	v_add_co_u32 v4, s4, v4, v28
	v_add_co_ci_u32_e64 v5, null, v5, v29, s4
	v_cmp_eq_u64_e32 vcc_lo, 0, v[26:27]
	s_or_b32 s15, vcc_lo, s15
	s_andn2_b32 exec_lo, exec_lo, s15
	s_cbranch_execz .LBB1_362
.LBB1_280:                              ; =>This Loop Header: Depth=1
                                        ;     Child Loop BB1_283 Depth 2
                                        ;     Child Loop BB1_291 Depth 2
	;; [unrolled: 1-line block ×11, first 2 shown]
	v_cmp_gt_u64_e32 vcc_lo, 56, v[26:27]
	s_mov_b32 s5, exec_lo
	v_cndmask_b32_e32 v29, 0, v27, vcc_lo
	v_cndmask_b32_e32 v28, 56, v26, vcc_lo
	v_add_co_u32 v12, vcc_lo, v4, 8
	v_add_co_ci_u32_e64 v13, null, 0, v5, vcc_lo
	v_cmpx_gt_u64_e32 8, v[26:27]
	s_xor_b32 s5, exec_lo, s5
	s_cbranch_execz .LBB1_286
; %bb.281:                              ;   in Loop: Header=BB1_280 Depth=1
	v_mov_b32_e32 v2, 0
	v_mov_b32_e32 v3, 0
	s_mov_b32 s12, exec_lo
	v_cmpx_ne_u64_e32 0, v[26:27]
	s_cbranch_execz .LBB1_285
; %bb.282:                              ;   in Loop: Header=BB1_280 Depth=1
	v_lshlrev_b64 v[10:11], 3, v[28:29]
	v_mov_b32_e32 v2, 0
	v_mov_b32_e32 v12, v5
	;; [unrolled: 1-line block ×4, first 2 shown]
	s_mov_b64 s[10:11], 0
	s_mov_b32 s13, 0
	.p2align	6
.LBB1_283:                              ;   Parent Loop BB1_280 Depth=1
                                        ; =>  This Inner Loop Header: Depth=2
	global_load_ubyte v6, v[11:12], off
	v_mov_b32_e32 v14, s16
	v_add_co_u32 v11, vcc_lo, v11, 1
	v_add_co_ci_u32_e64 v12, null, 0, v12, vcc_lo
	s_waitcnt vmcnt(0)
	v_and_b32_e32 v13, 0xffff, v6
	v_lshlrev_b64 v[13:14], s10, v[13:14]
	s_add_u32 s10, s10, 8
	s_addc_u32 s11, s11, 0
	v_cmp_eq_u32_e64 s4, s10, v10
	v_or_b32_e32 v3, v14, v3
	v_or_b32_e32 v2, v13, v2
	s_or_b32 s13, s4, s13
	s_andn2_b32 exec_lo, exec_lo, s13
	s_cbranch_execnz .LBB1_283
; %bb.284:                              ;   in Loop: Header=BB1_280 Depth=1
	s_or_b32 exec_lo, exec_lo, s13
.LBB1_285:                              ;   in Loop: Header=BB1_280 Depth=1
	s_or_b32 exec_lo, exec_lo, s12
	v_mov_b32_e32 v13, v5
	v_mov_b32_e32 v12, v4
.LBB1_286:                              ;   in Loop: Header=BB1_280 Depth=1
	s_or_saveexec_b32 s4, s5
	v_mov_b32_e32 v6, 0
	s_xor_b32 exec_lo, exec_lo, s4
	s_cbranch_execz .LBB1_288
; %bb.287:                              ;   in Loop: Header=BB1_280 Depth=1
	global_load_dwordx2 v[2:3], v[4:5], off
	v_add_nc_u32_e32 v6, -8, v28
.LBB1_288:                              ;   in Loop: Header=BB1_280 Depth=1
	s_or_b32 exec_lo, exec_lo, s4
	v_add_co_u32 v14, s4, v12, 8
	v_add_co_ci_u32_e64 v15, null, 0, v13, s4
                                        ; implicit-def: $vgpr10_vgpr11
	s_mov_b32 s4, exec_lo
	v_cmpx_gt_u32_e32 8, v6
	s_xor_b32 s12, exec_lo, s4
	s_cbranch_execz .LBB1_294
; %bb.289:                              ;   in Loop: Header=BB1_280 Depth=1
	v_mov_b32_e32 v10, 0
	v_mov_b32_e32 v11, 0
	s_mov_b32 s13, exec_lo
	v_cmpx_ne_u32_e32 0, v6
	s_cbranch_execz .LBB1_293
; %bb.290:                              ;   in Loop: Header=BB1_280 Depth=1
	v_mov_b32_e32 v10, 0
	v_mov_b32_e32 v11, 0
	s_mov_b64 s[4:5], 0
	s_mov_b32 s17, 0
	s_mov_b64 s[10:11], 0
	.p2align	6
.LBB1_291:                              ;   Parent Loop BB1_280 Depth=1
                                        ; =>  This Inner Loop Header: Depth=2
	v_add_co_u32 v14, vcc_lo, v12, s10
	v_add_co_ci_u32_e64 v15, null, s11, v13, vcc_lo
	s_add_u32 s10, s10, 1
	s_addc_u32 s11, s11, 0
	v_cmp_eq_u32_e32 vcc_lo, s10, v6
	global_load_ubyte v14, v[14:15], off
	v_mov_b32_e32 v15, s16
	s_waitcnt vmcnt(0)
	v_and_b32_e32 v14, 0xffff, v14
	v_lshlrev_b64 v[14:15], s4, v[14:15]
	s_add_u32 s4, s4, 8
	s_addc_u32 s5, s5, 0
	s_or_b32 s17, vcc_lo, s17
	v_or_b32_e32 v11, v15, v11
	v_or_b32_e32 v10, v14, v10
	s_andn2_b32 exec_lo, exec_lo, s17
	s_cbranch_execnz .LBB1_291
; %bb.292:                              ;   in Loop: Header=BB1_280 Depth=1
	s_or_b32 exec_lo, exec_lo, s17
.LBB1_293:                              ;   in Loop: Header=BB1_280 Depth=1
	s_or_b32 exec_lo, exec_lo, s13
	v_mov_b32_e32 v15, v13
	v_mov_b32_e32 v14, v12
                                        ; implicit-def: $vgpr6
.LBB1_294:                              ;   in Loop: Header=BB1_280 Depth=1
	s_or_saveexec_b32 s4, s12
	v_mov_b32_e32 v18, 0
	s_xor_b32 exec_lo, exec_lo, s4
	s_cbranch_execz .LBB1_296
; %bb.295:                              ;   in Loop: Header=BB1_280 Depth=1
	global_load_dwordx2 v[10:11], v[12:13], off
	v_add_nc_u32_e32 v18, -8, v6
.LBB1_296:                              ;   in Loop: Header=BB1_280 Depth=1
	s_or_b32 exec_lo, exec_lo, s4
	v_add_co_u32 v16, s4, v14, 8
	v_add_co_ci_u32_e64 v17, null, 0, v15, s4
	s_mov_b32 s4, exec_lo
	v_cmpx_gt_u32_e32 8, v18
	s_xor_b32 s12, exec_lo, s4
	s_cbranch_execz .LBB1_302
; %bb.297:                              ;   in Loop: Header=BB1_280 Depth=1
	v_mov_b32_e32 v12, 0
	v_mov_b32_e32 v13, 0
	s_mov_b32 s13, exec_lo
	v_cmpx_ne_u32_e32 0, v18
	s_cbranch_execz .LBB1_301
; %bb.298:                              ;   in Loop: Header=BB1_280 Depth=1
	v_mov_b32_e32 v12, 0
	v_mov_b32_e32 v13, 0
	s_mov_b64 s[4:5], 0
	s_mov_b32 s17, 0
	s_mov_b64 s[10:11], 0
	.p2align	6
.LBB1_299:                              ;   Parent Loop BB1_280 Depth=1
                                        ; =>  This Inner Loop Header: Depth=2
	v_add_co_u32 v16, vcc_lo, v14, s10
	v_add_co_ci_u32_e64 v17, null, s11, v15, vcc_lo
	s_add_u32 s10, s10, 1
	s_addc_u32 s11, s11, 0
	v_cmp_eq_u32_e32 vcc_lo, s10, v18
	global_load_ubyte v6, v[16:17], off
	v_mov_b32_e32 v17, s16
	s_waitcnt vmcnt(0)
	v_and_b32_e32 v16, 0xffff, v6
	v_lshlrev_b64 v[16:17], s4, v[16:17]
	s_add_u32 s4, s4, 8
	s_addc_u32 s5, s5, 0
	s_or_b32 s17, vcc_lo, s17
	v_or_b32_e32 v13, v17, v13
	v_or_b32_e32 v12, v16, v12
	s_andn2_b32 exec_lo, exec_lo, s17
	s_cbranch_execnz .LBB1_299
; %bb.300:                              ;   in Loop: Header=BB1_280 Depth=1
	s_or_b32 exec_lo, exec_lo, s17
.LBB1_301:                              ;   in Loop: Header=BB1_280 Depth=1
	s_or_b32 exec_lo, exec_lo, s13
	v_mov_b32_e32 v17, v15
	v_mov_b32_e32 v16, v14
                                        ; implicit-def: $vgpr18
.LBB1_302:                              ;   in Loop: Header=BB1_280 Depth=1
	s_or_saveexec_b32 s4, s12
	v_mov_b32_e32 v6, 0
	s_xor_b32 exec_lo, exec_lo, s4
	s_cbranch_execz .LBB1_304
; %bb.303:                              ;   in Loop: Header=BB1_280 Depth=1
	global_load_dwordx2 v[12:13], v[14:15], off
	v_add_nc_u32_e32 v6, -8, v18
.LBB1_304:                              ;   in Loop: Header=BB1_280 Depth=1
	s_or_b32 exec_lo, exec_lo, s4
	v_add_co_u32 v18, s4, v16, 8
	v_add_co_ci_u32_e64 v19, null, 0, v17, s4
                                        ; implicit-def: $vgpr14_vgpr15
	s_mov_b32 s4, exec_lo
	v_cmpx_gt_u32_e32 8, v6
	s_xor_b32 s12, exec_lo, s4
	s_cbranch_execz .LBB1_310
; %bb.305:                              ;   in Loop: Header=BB1_280 Depth=1
	v_mov_b32_e32 v14, 0
	v_mov_b32_e32 v15, 0
	s_mov_b32 s13, exec_lo
	v_cmpx_ne_u32_e32 0, v6
	s_cbranch_execz .LBB1_309
; %bb.306:                              ;   in Loop: Header=BB1_280 Depth=1
	v_mov_b32_e32 v14, 0
	v_mov_b32_e32 v15, 0
	s_mov_b64 s[4:5], 0
	s_mov_b32 s17, 0
	s_mov_b64 s[10:11], 0
	.p2align	6
.LBB1_307:                              ;   Parent Loop BB1_280 Depth=1
                                        ; =>  This Inner Loop Header: Depth=2
	v_add_co_u32 v18, vcc_lo, v16, s10
	v_add_co_ci_u32_e64 v19, null, s11, v17, vcc_lo
	s_add_u32 s10, s10, 1
	s_addc_u32 s11, s11, 0
	v_cmp_eq_u32_e32 vcc_lo, s10, v6
	global_load_ubyte v18, v[18:19], off
	v_mov_b32_e32 v19, s16
	s_waitcnt vmcnt(0)
	v_and_b32_e32 v18, 0xffff, v18
	v_lshlrev_b64 v[18:19], s4, v[18:19]
	s_add_u32 s4, s4, 8
	s_addc_u32 s5, s5, 0
	s_or_b32 s17, vcc_lo, s17
	v_or_b32_e32 v15, v19, v15
	v_or_b32_e32 v14, v18, v14
	s_andn2_b32 exec_lo, exec_lo, s17
	s_cbranch_execnz .LBB1_307
; %bb.308:                              ;   in Loop: Header=BB1_280 Depth=1
	s_or_b32 exec_lo, exec_lo, s17
.LBB1_309:                              ;   in Loop: Header=BB1_280 Depth=1
	s_or_b32 exec_lo, exec_lo, s13
	v_mov_b32_e32 v19, v17
	v_mov_b32_e32 v18, v16
                                        ; implicit-def: $vgpr6
.LBB1_310:                              ;   in Loop: Header=BB1_280 Depth=1
	s_or_saveexec_b32 s4, s12
	v_mov_b32_e32 v22, 0
	s_xor_b32 exec_lo, exec_lo, s4
	s_cbranch_execz .LBB1_312
; %bb.311:                              ;   in Loop: Header=BB1_280 Depth=1
	global_load_dwordx2 v[14:15], v[16:17], off
	v_add_nc_u32_e32 v22, -8, v6
.LBB1_312:                              ;   in Loop: Header=BB1_280 Depth=1
	s_or_b32 exec_lo, exec_lo, s4
	v_add_co_u32 v20, s4, v18, 8
	v_add_co_ci_u32_e64 v21, null, 0, v19, s4
	s_mov_b32 s4, exec_lo
	v_cmpx_gt_u32_e32 8, v22
	s_xor_b32 s12, exec_lo, s4
	s_cbranch_execz .LBB1_318
; %bb.313:                              ;   in Loop: Header=BB1_280 Depth=1
	v_mov_b32_e32 v16, 0
	v_mov_b32_e32 v17, 0
	s_mov_b32 s13, exec_lo
	v_cmpx_ne_u32_e32 0, v22
	s_cbranch_execz .LBB1_317
; %bb.314:                              ;   in Loop: Header=BB1_280 Depth=1
	v_mov_b32_e32 v16, 0
	v_mov_b32_e32 v17, 0
	s_mov_b64 s[4:5], 0
	s_mov_b32 s17, 0
	s_mov_b64 s[10:11], 0
	.p2align	6
.LBB1_315:                              ;   Parent Loop BB1_280 Depth=1
                                        ; =>  This Inner Loop Header: Depth=2
	v_add_co_u32 v20, vcc_lo, v18, s10
	v_add_co_ci_u32_e64 v21, null, s11, v19, vcc_lo
	s_add_u32 s10, s10, 1
	s_addc_u32 s11, s11, 0
	v_cmp_eq_u32_e32 vcc_lo, s10, v22
	global_load_ubyte v6, v[20:21], off
	v_mov_b32_e32 v21, s16
	s_waitcnt vmcnt(0)
	v_and_b32_e32 v20, 0xffff, v6
	v_lshlrev_b64 v[20:21], s4, v[20:21]
	s_add_u32 s4, s4, 8
	s_addc_u32 s5, s5, 0
	s_or_b32 s17, vcc_lo, s17
	v_or_b32_e32 v17, v21, v17
	v_or_b32_e32 v16, v20, v16
	s_andn2_b32 exec_lo, exec_lo, s17
	s_cbranch_execnz .LBB1_315
; %bb.316:                              ;   in Loop: Header=BB1_280 Depth=1
	s_or_b32 exec_lo, exec_lo, s17
.LBB1_317:                              ;   in Loop: Header=BB1_280 Depth=1
	s_or_b32 exec_lo, exec_lo, s13
	v_mov_b32_e32 v21, v19
	v_mov_b32_e32 v20, v18
                                        ; implicit-def: $vgpr22
.LBB1_318:                              ;   in Loop: Header=BB1_280 Depth=1
	s_or_saveexec_b32 s4, s12
	v_mov_b32_e32 v6, 0
	s_xor_b32 exec_lo, exec_lo, s4
	s_cbranch_execz .LBB1_320
; %bb.319:                              ;   in Loop: Header=BB1_280 Depth=1
	global_load_dwordx2 v[16:17], v[18:19], off
	v_add_nc_u32_e32 v6, -8, v22
.LBB1_320:                              ;   in Loop: Header=BB1_280 Depth=1
	s_or_b32 exec_lo, exec_lo, s4
	v_add_co_u32 v22, s4, v20, 8
	v_add_co_ci_u32_e64 v23, null, 0, v21, s4
                                        ; implicit-def: $vgpr18_vgpr19
	s_mov_b32 s4, exec_lo
	v_cmpx_gt_u32_e32 8, v6
	s_xor_b32 s12, exec_lo, s4
	s_cbranch_execz .LBB1_326
; %bb.321:                              ;   in Loop: Header=BB1_280 Depth=1
	v_mov_b32_e32 v18, 0
	v_mov_b32_e32 v19, 0
	s_mov_b32 s13, exec_lo
	v_cmpx_ne_u32_e32 0, v6
	s_cbranch_execz .LBB1_325
; %bb.322:                              ;   in Loop: Header=BB1_280 Depth=1
	v_mov_b32_e32 v18, 0
	v_mov_b32_e32 v19, 0
	s_mov_b64 s[4:5], 0
	s_mov_b32 s17, 0
	s_mov_b64 s[10:11], 0
	.p2align	6
.LBB1_323:                              ;   Parent Loop BB1_280 Depth=1
                                        ; =>  This Inner Loop Header: Depth=2
	v_add_co_u32 v22, vcc_lo, v20, s10
	v_add_co_ci_u32_e64 v23, null, s11, v21, vcc_lo
	s_add_u32 s10, s10, 1
	s_addc_u32 s11, s11, 0
	v_cmp_eq_u32_e32 vcc_lo, s10, v6
	global_load_ubyte v22, v[22:23], off
	v_mov_b32_e32 v23, s16
	s_waitcnt vmcnt(0)
	v_and_b32_e32 v22, 0xffff, v22
	v_lshlrev_b64 v[22:23], s4, v[22:23]
	s_add_u32 s4, s4, 8
	s_addc_u32 s5, s5, 0
	s_or_b32 s17, vcc_lo, s17
	v_or_b32_e32 v19, v23, v19
	v_or_b32_e32 v18, v22, v18
	s_andn2_b32 exec_lo, exec_lo, s17
	s_cbranch_execnz .LBB1_323
; %bb.324:                              ;   in Loop: Header=BB1_280 Depth=1
	s_or_b32 exec_lo, exec_lo, s17
.LBB1_325:                              ;   in Loop: Header=BB1_280 Depth=1
	s_or_b32 exec_lo, exec_lo, s13
	v_mov_b32_e32 v23, v21
	v_mov_b32_e32 v22, v20
                                        ; implicit-def: $vgpr6
.LBB1_326:                              ;   in Loop: Header=BB1_280 Depth=1
	s_or_saveexec_b32 s4, s12
	v_mov_b32_e32 v24, 0
	s_xor_b32 exec_lo, exec_lo, s4
	s_cbranch_execz .LBB1_328
; %bb.327:                              ;   in Loop: Header=BB1_280 Depth=1
	global_load_dwordx2 v[18:19], v[20:21], off
	v_add_nc_u32_e32 v24, -8, v6
.LBB1_328:                              ;   in Loop: Header=BB1_280 Depth=1
	s_or_b32 exec_lo, exec_lo, s4
	s_mov_b32 s4, exec_lo
	v_cmpx_gt_u32_e32 8, v24
	s_xor_b32 s10, exec_lo, s4
	s_cbranch_execz .LBB1_334
; %bb.329:                              ;   in Loop: Header=BB1_280 Depth=1
	v_mov_b32_e32 v20, 0
	v_mov_b32_e32 v21, 0
	s_mov_b32 s11, exec_lo
	v_cmpx_ne_u32_e32 0, v24
	s_cbranch_execz .LBB1_333
; %bb.330:                              ;   in Loop: Header=BB1_280 Depth=1
	v_mov_b32_e32 v20, 0
	v_mov_b32_e32 v21, 0
	s_mov_b64 s[4:5], 0
	s_mov_b32 s12, 0
	.p2align	6
.LBB1_331:                              ;   Parent Loop BB1_280 Depth=1
                                        ; =>  This Inner Loop Header: Depth=2
	global_load_ubyte v6, v[22:23], off
	v_mov_b32_e32 v31, s16
	v_add_nc_u32_e32 v24, -1, v24
	v_add_co_u32 v22, vcc_lo, v22, 1
	v_add_co_ci_u32_e64 v23, null, 0, v23, vcc_lo
	v_cmp_eq_u32_e32 vcc_lo, 0, v24
	s_waitcnt vmcnt(0)
	v_and_b32_e32 v30, 0xffff, v6
	v_lshlrev_b64 v[30:31], s4, v[30:31]
	s_add_u32 s4, s4, 8
	s_addc_u32 s5, s5, 0
	s_or_b32 s12, vcc_lo, s12
	v_or_b32_e32 v21, v31, v21
	v_or_b32_e32 v20, v30, v20
	s_andn2_b32 exec_lo, exec_lo, s12
	s_cbranch_execnz .LBB1_331
; %bb.332:                              ;   in Loop: Header=BB1_280 Depth=1
	s_or_b32 exec_lo, exec_lo, s12
.LBB1_333:                              ;   in Loop: Header=BB1_280 Depth=1
	s_or_b32 exec_lo, exec_lo, s11
                                        ; implicit-def: $vgpr22_vgpr23
.LBB1_334:                              ;   in Loop: Header=BB1_280 Depth=1
	s_andn2_saveexec_b32 s4, s10
	s_cbranch_execz .LBB1_336
; %bb.335:                              ;   in Loop: Header=BB1_280 Depth=1
	global_load_dwordx2 v[20:21], v[22:23], off
.LBB1_336:                              ;   in Loop: Header=BB1_280 Depth=1
	s_or_b32 exec_lo, exec_lo, s4
	v_readfirstlane_b32 s4, v32
	v_mov_b32_e32 v30, 0
	v_mov_b32_e32 v31, 0
	v_cmp_eq_u32_e64 s4, s4, v32
	s_and_saveexec_b32 s5, s4
	s_cbranch_execz .LBB1_342
; %bb.337:                              ;   in Loop: Header=BB1_280 Depth=1
	global_load_dwordx2 v[24:25], v7, s[6:7] offset:24 glc dlc
	s_waitcnt vmcnt(0)
	buffer_gl1_inv
	buffer_gl0_inv
	s_clause 0x1
	global_load_dwordx2 v[22:23], v7, s[6:7] offset:40
	global_load_dwordx2 v[30:31], v7, s[6:7]
	s_mov_b32 s10, exec_lo
	s_waitcnt vmcnt(1)
	v_and_b32_e32 v6, v23, v25
	v_and_b32_e32 v22, v22, v24
	v_mul_lo_u32 v6, v6, 24
	v_mul_hi_u32 v23, v22, 24
	v_mul_lo_u32 v22, v22, 24
	v_add_nc_u32_e32 v6, v23, v6
	s_waitcnt vmcnt(0)
	v_add_co_u32 v22, vcc_lo, v30, v22
	v_add_co_ci_u32_e64 v23, null, v31, v6, vcc_lo
	global_load_dwordx2 v[22:23], v[22:23], off glc dlc
	s_waitcnt vmcnt(0)
	global_atomic_cmpswap_x2 v[30:31], v7, v[22:25], s[6:7] offset:24 glc
	s_waitcnt vmcnt(0)
	buffer_gl1_inv
	buffer_gl0_inv
	v_cmpx_ne_u64_e64 v[30:31], v[24:25]
	s_cbranch_execz .LBB1_341
; %bb.338:                              ;   in Loop: Header=BB1_280 Depth=1
	s_mov_b32 s11, 0
	.p2align	6
.LBB1_339:                              ;   Parent Loop BB1_280 Depth=1
                                        ; =>  This Inner Loop Header: Depth=2
	s_sleep 1
	s_clause 0x1
	global_load_dwordx2 v[22:23], v7, s[6:7] offset:40
	global_load_dwordx2 v[35:36], v7, s[6:7]
	v_mov_b32_e32 v24, v30
	v_mov_b32_e32 v25, v31
	s_waitcnt vmcnt(1)
	v_and_b32_e32 v6, v22, v24
	v_and_b32_e32 v22, v23, v25
	s_waitcnt vmcnt(0)
	v_mad_u64_u32 v[30:31], null, v6, 24, v[35:36]
	v_mov_b32_e32 v6, v31
	v_mad_u64_u32 v[22:23], null, v22, 24, v[6:7]
	v_mov_b32_e32 v31, v22
	global_load_dwordx2 v[22:23], v[30:31], off glc dlc
	s_waitcnt vmcnt(0)
	global_atomic_cmpswap_x2 v[30:31], v7, v[22:25], s[6:7] offset:24 glc
	s_waitcnt vmcnt(0)
	buffer_gl1_inv
	buffer_gl0_inv
	v_cmp_eq_u64_e32 vcc_lo, v[30:31], v[24:25]
	s_or_b32 s11, vcc_lo, s11
	s_andn2_b32 exec_lo, exec_lo, s11
	s_cbranch_execnz .LBB1_339
; %bb.340:                              ;   in Loop: Header=BB1_280 Depth=1
	s_or_b32 exec_lo, exec_lo, s11
.LBB1_341:                              ;   in Loop: Header=BB1_280 Depth=1
	s_or_b32 exec_lo, exec_lo, s10
.LBB1_342:                              ;   in Loop: Header=BB1_280 Depth=1
	s_or_b32 exec_lo, exec_lo, s5
	s_clause 0x1
	global_load_dwordx2 v[35:36], v7, s[6:7] offset:40
	global_load_dwordx4 v[22:25], v7, s[6:7]
	v_readfirstlane_b32 s11, v31
	v_readfirstlane_b32 s10, v30
	s_mov_b32 s5, exec_lo
	s_waitcnt vmcnt(1)
	v_readfirstlane_b32 s12, v35
	v_readfirstlane_b32 s13, v36
	s_and_b64 s[12:13], s[12:13], s[10:11]
	s_mul_i32 s17, s13, 24
	s_mul_hi_u32 s18, s12, 24
	s_mul_i32 s19, s12, 24
	s_add_i32 s18, s18, s17
	s_waitcnt vmcnt(0)
	v_add_co_u32 v30, vcc_lo, v22, s19
	v_add_co_ci_u32_e64 v31, null, s18, v23, vcc_lo
	s_and_saveexec_b32 s17, s4
	s_cbranch_execz .LBB1_344
; %bb.343:                              ;   in Loop: Header=BB1_280 Depth=1
	v_mov_b32_e32 v6, s5
	global_store_dwordx4 v[30:31], v[6:9], off offset:8
.LBB1_344:                              ;   in Loop: Header=BB1_280 Depth=1
	s_or_b32 exec_lo, exec_lo, s17
	v_cmp_gt_u64_e32 vcc_lo, 57, v[26:27]
	s_lshl_b64 s[12:13], s[12:13], 12
	v_and_b32_e32 v0, 0xffffff1f, v0
	v_lshl_add_u32 v35, v28, 2, 28
	v_cndmask_b32_e32 v6, 0, v34, vcc_lo
	v_add_co_u32 v24, vcc_lo, v24, s12
	v_add_co_ci_u32_e64 v25, null, s13, v25, vcc_lo
	v_or_b32_e32 v0, v0, v6
	v_readfirstlane_b32 s12, v24
	v_readfirstlane_b32 s13, v25
	v_and_or_b32 v0, 0x1e0, v35, v0
	global_store_dwordx4 v33, v[10:13], s[12:13] offset:16
	global_store_dwordx4 v33, v[14:17], s[12:13] offset:32
	global_store_dwordx4 v33, v[0:3], s[12:13]
	global_store_dwordx4 v33, v[18:21], s[12:13] offset:48
	s_and_saveexec_b32 s5, s4
	s_cbranch_execz .LBB1_352
; %bb.345:                              ;   in Loop: Header=BB1_280 Depth=1
	s_clause 0x1
	global_load_dwordx2 v[14:15], v7, s[6:7] offset:32 glc dlc
	global_load_dwordx2 v[0:1], v7, s[6:7] offset:40
	v_mov_b32_e32 v12, s10
	v_mov_b32_e32 v13, s11
	s_waitcnt vmcnt(0)
	v_readfirstlane_b32 s12, v0
	v_readfirstlane_b32 s13, v1
	s_and_b64 s[12:13], s[12:13], s[10:11]
	s_mul_i32 s13, s13, 24
	s_mul_hi_u32 s17, s12, 24
	s_mul_i32 s12, s12, 24
	s_add_i32 s17, s17, s13
	v_add_co_u32 v10, vcc_lo, v22, s12
	v_add_co_ci_u32_e64 v11, null, s17, v23, vcc_lo
	s_mov_b32 s12, exec_lo
	global_store_dwordx2 v[10:11], v[14:15], off
	s_waitcnt_vscnt null, 0x0
	global_atomic_cmpswap_x2 v[2:3], v7, v[12:15], s[6:7] offset:32 glc
	s_waitcnt vmcnt(0)
	v_cmpx_ne_u64_e64 v[2:3], v[14:15]
	s_cbranch_execz .LBB1_348
; %bb.346:                              ;   in Loop: Header=BB1_280 Depth=1
	s_mov_b32 s13, 0
.LBB1_347:                              ;   Parent Loop BB1_280 Depth=1
                                        ; =>  This Inner Loop Header: Depth=2
	v_mov_b32_e32 v0, s10
	v_mov_b32_e32 v1, s11
	s_sleep 1
	global_store_dwordx2 v[10:11], v[2:3], off
	s_waitcnt_vscnt null, 0x0
	global_atomic_cmpswap_x2 v[0:1], v7, v[0:3], s[6:7] offset:32 glc
	s_waitcnt vmcnt(0)
	v_cmp_eq_u64_e32 vcc_lo, v[0:1], v[2:3]
	v_mov_b32_e32 v3, v1
	v_mov_b32_e32 v2, v0
	s_or_b32 s13, vcc_lo, s13
	s_andn2_b32 exec_lo, exec_lo, s13
	s_cbranch_execnz .LBB1_347
.LBB1_348:                              ;   in Loop: Header=BB1_280 Depth=1
	s_or_b32 exec_lo, exec_lo, s12
	global_load_dwordx2 v[0:1], v7, s[6:7] offset:16
	s_mov_b32 s13, exec_lo
	s_mov_b32 s12, exec_lo
	v_mbcnt_lo_u32_b32 v2, s13, 0
	v_cmpx_eq_u32_e32 0, v2
	s_cbranch_execz .LBB1_350
; %bb.349:                              ;   in Loop: Header=BB1_280 Depth=1
	s_bcnt1_i32_b32 s13, s13
	v_mov_b32_e32 v6, s13
	s_waitcnt vmcnt(0)
	global_atomic_add_x2 v[0:1], v[6:7], off offset:8
.LBB1_350:                              ;   in Loop: Header=BB1_280 Depth=1
	s_or_b32 exec_lo, exec_lo, s12
	s_waitcnt vmcnt(0)
	global_load_dwordx2 v[2:3], v[0:1], off offset:16
	s_waitcnt vmcnt(0)
	v_cmp_eq_u64_e32 vcc_lo, 0, v[2:3]
	s_cbranch_vccnz .LBB1_352
; %bb.351:                              ;   in Loop: Header=BB1_280 Depth=1
	global_load_dword v6, v[0:1], off offset:24
	s_waitcnt vmcnt(0)
	v_readfirstlane_b32 s12, v6
	s_waitcnt_vscnt null, 0x0
	global_store_dwordx2 v[2:3], v[6:7], off
	s_and_b32 m0, s12, 0x7fffff
	s_sendmsg sendmsg(MSG_INTERRUPT)
.LBB1_352:                              ;   in Loop: Header=BB1_280 Depth=1
	s_or_b32 exec_lo, exec_lo, s5
	v_add_co_u32 v0, vcc_lo, v24, v33
	v_add_co_ci_u32_e64 v1, null, 0, v25, vcc_lo
	s_branch .LBB1_356
	.p2align	6
.LBB1_353:                              ;   in Loop: Header=BB1_356 Depth=2
	s_or_b32 exec_lo, exec_lo, s5
	v_readfirstlane_b32 s5, v2
	s_cmp_eq_u32 s5, 0
	s_cbranch_scc1 .LBB1_355
; %bb.354:                              ;   in Loop: Header=BB1_356 Depth=2
	s_sleep 1
	s_cbranch_execnz .LBB1_356
	s_branch .LBB1_358
	.p2align	6
.LBB1_355:                              ;   in Loop: Header=BB1_280 Depth=1
	s_branch .LBB1_358
.LBB1_356:                              ;   Parent Loop BB1_280 Depth=1
                                        ; =>  This Inner Loop Header: Depth=2
	v_mov_b32_e32 v2, 1
	s_and_saveexec_b32 s5, s4
	s_cbranch_execz .LBB1_353
; %bb.357:                              ;   in Loop: Header=BB1_356 Depth=2
	global_load_dword v2, v[30:31], off offset:20 glc dlc
	s_waitcnt vmcnt(0)
	buffer_gl1_inv
	buffer_gl0_inv
	v_and_b32_e32 v2, 1, v2
	s_branch .LBB1_353
.LBB1_358:                              ;   in Loop: Header=BB1_280 Depth=1
	global_load_dwordx2 v[0:1], v[0:1], off
	s_and_saveexec_b32 s12, s4
	s_cbranch_execz .LBB1_279
; %bb.359:                              ;   in Loop: Header=BB1_280 Depth=1
	s_clause 0x2
	global_load_dwordx2 v[2:3], v7, s[6:7] offset:40
	global_load_dwordx2 v[14:15], v7, s[6:7] offset:24 glc dlc
	global_load_dwordx2 v[10:11], v7, s[6:7]
	s_waitcnt vmcnt(2)
	v_readfirstlane_b32 s18, v2
	v_readfirstlane_b32 s19, v3
	s_add_u32 s13, s18, 1
	s_addc_u32 s17, s19, 0
	s_add_u32 s4, s13, s10
	s_addc_u32 s5, s17, s11
	s_cmp_eq_u64 s[4:5], 0
	s_cselect_b32 s5, s17, s5
	s_cselect_b32 s4, s13, s4
	v_mov_b32_e32 v13, s5
	s_and_b64 s[10:11], s[4:5], s[18:19]
	v_mov_b32_e32 v12, s4
	s_mul_i32 s11, s11, 24
	s_mul_hi_u32 s13, s10, 24
	s_mul_i32 s10, s10, 24
	s_add_i32 s13, s13, s11
	s_waitcnt vmcnt(0)
	v_add_co_u32 v2, vcc_lo, v10, s10
	v_add_co_ci_u32_e64 v3, null, s13, v11, vcc_lo
	global_store_dwordx2 v[2:3], v[14:15], off
	s_waitcnt_vscnt null, 0x0
	global_atomic_cmpswap_x2 v[12:13], v7, v[12:15], s[6:7] offset:24 glc
	s_waitcnt vmcnt(0)
	v_cmp_ne_u64_e32 vcc_lo, v[12:13], v[14:15]
	s_and_b32 exec_lo, exec_lo, vcc_lo
	s_cbranch_execz .LBB1_279
; %bb.360:                              ;   in Loop: Header=BB1_280 Depth=1
	s_mov_b32 s10, 0
.LBB1_361:                              ;   Parent Loop BB1_280 Depth=1
                                        ; =>  This Inner Loop Header: Depth=2
	v_mov_b32_e32 v10, s4
	v_mov_b32_e32 v11, s5
	s_sleep 1
	global_store_dwordx2 v[2:3], v[12:13], off
	s_waitcnt_vscnt null, 0x0
	global_atomic_cmpswap_x2 v[10:11], v7, v[10:13], s[6:7] offset:24 glc
	s_waitcnt vmcnt(0)
	v_cmp_eq_u64_e32 vcc_lo, v[10:11], v[12:13]
	v_mov_b32_e32 v13, v11
	v_mov_b32_e32 v12, v10
	s_or_b32 s10, vcc_lo, s10
	s_andn2_b32 exec_lo, exec_lo, s10
	s_cbranch_execnz .LBB1_361
	s_branch .LBB1_279
.LBB1_362:
	s_or_b32 exec_lo, exec_lo, s15
                                        ; implicit-def: $vgpr33
                                        ; implicit-def: $vgpr32
.LBB1_363:
	s_andn2_saveexec_b32 s14, s14
	s_cbranch_execz .LBB1_391
; %bb.364:
	v_readfirstlane_b32 s4, v32
	v_mov_b32_e32 v8, 0
	v_mov_b32_e32 v9, 0
	v_cmp_eq_u32_e64 s4, s4, v32
	s_and_saveexec_b32 s5, s4
	s_cbranch_execz .LBB1_370
; %bb.365:
	v_mov_b32_e32 v2, 0
	s_mov_b32 s10, exec_lo
	global_load_dwordx2 v[5:6], v2, s[6:7] offset:24 glc dlc
	s_waitcnt vmcnt(0)
	buffer_gl1_inv
	buffer_gl0_inv
	s_clause 0x1
	global_load_dwordx2 v[3:4], v2, s[6:7] offset:40
	global_load_dwordx2 v[7:8], v2, s[6:7]
	s_waitcnt vmcnt(1)
	v_and_b32_e32 v4, v4, v6
	v_and_b32_e32 v3, v3, v5
	v_mul_lo_u32 v4, v4, 24
	v_mul_hi_u32 v9, v3, 24
	v_mul_lo_u32 v3, v3, 24
	v_add_nc_u32_e32 v4, v9, v4
	s_waitcnt vmcnt(0)
	v_add_co_u32 v3, vcc_lo, v7, v3
	v_add_co_ci_u32_e64 v4, null, v8, v4, vcc_lo
	global_load_dwordx2 v[3:4], v[3:4], off glc dlc
	s_waitcnt vmcnt(0)
	global_atomic_cmpswap_x2 v[8:9], v2, v[3:6], s[6:7] offset:24 glc
	s_waitcnt vmcnt(0)
	buffer_gl1_inv
	buffer_gl0_inv
	v_cmpx_ne_u64_e64 v[8:9], v[5:6]
	s_cbranch_execz .LBB1_369
; %bb.366:
	s_mov_b32 s11, 0
	.p2align	6
.LBB1_367:                              ; =>This Inner Loop Header: Depth=1
	s_sleep 1
	s_clause 0x1
	global_load_dwordx2 v[3:4], v2, s[6:7] offset:40
	global_load_dwordx2 v[10:11], v2, s[6:7]
	v_mov_b32_e32 v5, v8
	v_mov_b32_e32 v6, v9
	s_waitcnt vmcnt(1)
	v_and_b32_e32 v3, v3, v5
	v_and_b32_e32 v4, v4, v6
	s_waitcnt vmcnt(0)
	v_mad_u64_u32 v[7:8], null, v3, 24, v[10:11]
	v_mov_b32_e32 v3, v8
	v_mad_u64_u32 v[3:4], null, v4, 24, v[3:4]
	v_mov_b32_e32 v8, v3
	global_load_dwordx2 v[3:4], v[7:8], off glc dlc
	s_waitcnt vmcnt(0)
	global_atomic_cmpswap_x2 v[8:9], v2, v[3:6], s[6:7] offset:24 glc
	s_waitcnt vmcnt(0)
	buffer_gl1_inv
	buffer_gl0_inv
	v_cmp_eq_u64_e32 vcc_lo, v[8:9], v[5:6]
	s_or_b32 s11, vcc_lo, s11
	s_andn2_b32 exec_lo, exec_lo, s11
	s_cbranch_execnz .LBB1_367
; %bb.368:
	s_or_b32 exec_lo, exec_lo, s11
.LBB1_369:
	s_or_b32 exec_lo, exec_lo, s10
.LBB1_370:
	s_or_b32 exec_lo, exec_lo, s5
	v_mov_b32_e32 v2, 0
	v_readfirstlane_b32 s11, v9
	v_readfirstlane_b32 s10, v8
	s_mov_b32 s5, exec_lo
	s_clause 0x1
	global_load_dwordx2 v[10:11], v2, s[6:7] offset:40
	global_load_dwordx4 v[4:7], v2, s[6:7]
	s_waitcnt vmcnt(1)
	v_readfirstlane_b32 s12, v10
	v_readfirstlane_b32 s13, v11
	s_and_b64 s[12:13], s[12:13], s[10:11]
	s_mul_i32 s15, s13, 24
	s_mul_hi_u32 s16, s12, 24
	s_mul_i32 s17, s12, 24
	s_add_i32 s16, s16, s15
	s_waitcnt vmcnt(0)
	v_add_co_u32 v8, vcc_lo, v4, s17
	v_add_co_ci_u32_e64 v9, null, s16, v5, vcc_lo
	s_and_saveexec_b32 s15, s4
	s_cbranch_execz .LBB1_372
; %bb.371:
	v_mov_b32_e32 v10, s5
	v_mov_b32_e32 v11, v2
	;; [unrolled: 1-line block ×4, first 2 shown]
	global_store_dwordx4 v[8:9], v[10:13], off offset:8
.LBB1_372:
	s_or_b32 exec_lo, exec_lo, s15
	s_lshl_b64 s[12:13], s[12:13], 12
	s_mov_b32 s16, 0
	v_add_co_u32 v6, vcc_lo, v6, s12
	v_add_co_ci_u32_e64 v7, null, s13, v7, vcc_lo
	s_mov_b32 s17, s16
	v_readfirstlane_b32 s12, v6
	v_add_co_u32 v6, vcc_lo, v6, v33
	s_mov_b32 s18, s16
	s_mov_b32 s19, s16
	v_and_or_b32 v0, 0xffffff1f, v0, 32
	v_mov_b32_e32 v3, v2
	v_readfirstlane_b32 s13, v7
	v_mov_b32_e32 v10, s16
	v_add_co_ci_u32_e64 v7, null, 0, v7, vcc_lo
	v_mov_b32_e32 v11, s17
	v_mov_b32_e32 v12, s18
	;; [unrolled: 1-line block ×3, first 2 shown]
	global_store_dwordx4 v33, v[0:3], s[12:13]
	global_store_dwordx4 v33, v[10:13], s[12:13] offset:16
	global_store_dwordx4 v33, v[10:13], s[12:13] offset:32
	;; [unrolled: 1-line block ×3, first 2 shown]
	s_and_saveexec_b32 s5, s4
	s_cbranch_execz .LBB1_380
; %bb.373:
	v_mov_b32_e32 v10, 0
	v_mov_b32_e32 v11, s10
	;; [unrolled: 1-line block ×3, first 2 shown]
	s_clause 0x1
	global_load_dwordx2 v[13:14], v10, s[6:7] offset:32 glc dlc
	global_load_dwordx2 v[0:1], v10, s[6:7] offset:40
	s_waitcnt vmcnt(0)
	v_readfirstlane_b32 s12, v0
	v_readfirstlane_b32 s13, v1
	s_and_b64 s[12:13], s[12:13], s[10:11]
	s_mul_i32 s13, s13, 24
	s_mul_hi_u32 s15, s12, 24
	s_mul_i32 s12, s12, 24
	s_add_i32 s15, s15, s13
	v_add_co_u32 v4, vcc_lo, v4, s12
	v_add_co_ci_u32_e64 v5, null, s15, v5, vcc_lo
	s_mov_b32 s12, exec_lo
	global_store_dwordx2 v[4:5], v[13:14], off
	s_waitcnt_vscnt null, 0x0
	global_atomic_cmpswap_x2 v[2:3], v10, v[11:14], s[6:7] offset:32 glc
	s_waitcnt vmcnt(0)
	v_cmpx_ne_u64_e64 v[2:3], v[13:14]
	s_cbranch_execz .LBB1_376
; %bb.374:
	s_mov_b32 s13, 0
.LBB1_375:                              ; =>This Inner Loop Header: Depth=1
	v_mov_b32_e32 v0, s10
	v_mov_b32_e32 v1, s11
	s_sleep 1
	global_store_dwordx2 v[4:5], v[2:3], off
	s_waitcnt_vscnt null, 0x0
	global_atomic_cmpswap_x2 v[0:1], v10, v[0:3], s[6:7] offset:32 glc
	s_waitcnt vmcnt(0)
	v_cmp_eq_u64_e32 vcc_lo, v[0:1], v[2:3]
	v_mov_b32_e32 v3, v1
	v_mov_b32_e32 v2, v0
	s_or_b32 s13, vcc_lo, s13
	s_andn2_b32 exec_lo, exec_lo, s13
	s_cbranch_execnz .LBB1_375
.LBB1_376:
	s_or_b32 exec_lo, exec_lo, s12
	v_mov_b32_e32 v3, 0
	s_mov_b32 s13, exec_lo
	s_mov_b32 s12, exec_lo
	v_mbcnt_lo_u32_b32 v2, s13, 0
	global_load_dwordx2 v[0:1], v3, s[6:7] offset:16
	v_cmpx_eq_u32_e32 0, v2
	s_cbranch_execz .LBB1_378
; %bb.377:
	s_bcnt1_i32_b32 s13, s13
	v_mov_b32_e32 v2, s13
	s_waitcnt vmcnt(0)
	global_atomic_add_x2 v[0:1], v[2:3], off offset:8
.LBB1_378:
	s_or_b32 exec_lo, exec_lo, s12
	s_waitcnt vmcnt(0)
	global_load_dwordx2 v[2:3], v[0:1], off offset:16
	s_waitcnt vmcnt(0)
	v_cmp_eq_u64_e32 vcc_lo, 0, v[2:3]
	s_cbranch_vccnz .LBB1_380
; %bb.379:
	global_load_dword v0, v[0:1], off offset:24
	v_mov_b32_e32 v1, 0
	s_waitcnt vmcnt(0)
	v_readfirstlane_b32 s12, v0
	s_waitcnt_vscnt null, 0x0
	global_store_dwordx2 v[2:3], v[0:1], off
	s_and_b32 m0, s12, 0x7fffff
	s_sendmsg sendmsg(MSG_INTERRUPT)
.LBB1_380:
	s_or_b32 exec_lo, exec_lo, s5
	s_branch .LBB1_384
	.p2align	6
.LBB1_381:                              ;   in Loop: Header=BB1_384 Depth=1
	s_or_b32 exec_lo, exec_lo, s5
	v_readfirstlane_b32 s5, v0
	s_cmp_eq_u32 s5, 0
	s_cbranch_scc1 .LBB1_383
; %bb.382:                              ;   in Loop: Header=BB1_384 Depth=1
	s_sleep 1
	s_cbranch_execnz .LBB1_384
	s_branch .LBB1_386
	.p2align	6
.LBB1_383:
	s_branch .LBB1_386
.LBB1_384:                              ; =>This Inner Loop Header: Depth=1
	v_mov_b32_e32 v0, 1
	s_and_saveexec_b32 s5, s4
	s_cbranch_execz .LBB1_381
; %bb.385:                              ;   in Loop: Header=BB1_384 Depth=1
	global_load_dword v0, v[8:9], off offset:20 glc dlc
	s_waitcnt vmcnt(0)
	buffer_gl1_inv
	buffer_gl0_inv
	v_and_b32_e32 v0, 1, v0
	s_branch .LBB1_381
.LBB1_386:
	global_load_dwordx2 v[0:1], v[6:7], off
	s_and_saveexec_b32 s12, s4
	s_cbranch_execz .LBB1_390
; %bb.387:
	v_mov_b32_e32 v8, 0
	s_clause 0x2
	global_load_dwordx2 v[2:3], v8, s[6:7] offset:40
	global_load_dwordx2 v[11:12], v8, s[6:7] offset:24 glc dlc
	global_load_dwordx2 v[4:5], v8, s[6:7]
	s_waitcnt vmcnt(2)
	v_readfirstlane_b32 s16, v2
	v_readfirstlane_b32 s17, v3
	s_add_u32 s13, s16, 1
	s_addc_u32 s15, s17, 0
	s_add_u32 s4, s13, s10
	s_addc_u32 s5, s15, s11
	s_cmp_eq_u64 s[4:5], 0
	s_cselect_b32 s5, s15, s5
	s_cselect_b32 s4, s13, s4
	v_mov_b32_e32 v10, s5
	s_and_b64 s[10:11], s[4:5], s[16:17]
	v_mov_b32_e32 v9, s4
	s_mul_i32 s11, s11, 24
	s_mul_hi_u32 s13, s10, 24
	s_mul_i32 s10, s10, 24
	s_add_i32 s13, s13, s11
	s_waitcnt vmcnt(0)
	v_add_co_u32 v6, vcc_lo, v4, s10
	v_add_co_ci_u32_e64 v7, null, s13, v5, vcc_lo
	global_store_dwordx2 v[6:7], v[11:12], off
	s_waitcnt_vscnt null, 0x0
	global_atomic_cmpswap_x2 v[4:5], v8, v[9:12], s[6:7] offset:24 glc
	s_waitcnt vmcnt(0)
	v_cmp_ne_u64_e32 vcc_lo, v[4:5], v[11:12]
	s_and_b32 exec_lo, exec_lo, vcc_lo
	s_cbranch_execz .LBB1_390
; %bb.388:
	s_mov_b32 s10, 0
.LBB1_389:                              ; =>This Inner Loop Header: Depth=1
	v_mov_b32_e32 v2, s4
	v_mov_b32_e32 v3, s5
	s_sleep 1
	global_store_dwordx2 v[6:7], v[4:5], off
	s_waitcnt_vscnt null, 0x0
	global_atomic_cmpswap_x2 v[2:3], v8, v[2:5], s[6:7] offset:24 glc
	s_waitcnt vmcnt(0)
	v_cmp_eq_u64_e32 vcc_lo, v[2:3], v[4:5]
	v_mov_b32_e32 v5, v3
	v_mov_b32_e32 v4, v2
	s_or_b32 s10, vcc_lo, s10
	s_andn2_b32 exec_lo, exec_lo, s10
	s_cbranch_execnz .LBB1_389
.LBB1_390:
	s_or_b32 exec_lo, exec_lo, s12
.LBB1_391:
	s_or_b32 exec_lo, exec_lo, s14
	s_getpc_b64 s[4:5]
	s_add_u32 s4, s4, .str.3@rel32@lo+4
	s_addc_u32 s5, s5, .str.3@rel32@hi+12
	s_getpc_b64 s[6:7]
	s_add_u32 s6, s6, .str.3@rel32@lo+32
	s_addc_u32 s7, s7, .str.3@rel32@hi+40
	s_sub_i32 s10, s6, s4
	s_getpc_b64 s[6:7]
	s_add_u32 s6, s6, __ockl_fprintf_append_string_n@rel32@lo+4
	s_addc_u32 s7, s7, __ockl_fprintf_append_string_n@rel32@hi+12
	s_ashr_i32 s11, s10, 31
	v_mov_b32_e32 v2, s4
	v_mov_b32_e32 v3, s5
	;; [unrolled: 1-line block ×5, first 2 shown]
	s_swappc_b64 s[30:31], s[6:7]
	s_trap 2
.Lfunc_end1:
	.size	__assert_fail, .Lfunc_end1-__assert_fail
                                        ; -- End function
	.set .L__assert_fail.num_vgpr, max(40, .L__ockl_fprintf_append_string_n.num_vgpr)
	.set .L__assert_fail.num_agpr, max(0, .L__ockl_fprintf_append_string_n.num_agpr)
	.set .L__assert_fail.numbered_sgpr, max(34, .L__ockl_fprintf_append_string_n.numbered_sgpr)
	.set .L__assert_fail.num_named_barrier, max(0, .L__ockl_fprintf_append_string_n.num_named_barrier)
	.set .L__assert_fail.private_seg_size, 64+max(.L__ockl_fprintf_append_string_n.private_seg_size)
	.set .L__assert_fail.uses_vcc, or(1, .L__ockl_fprintf_append_string_n.uses_vcc)
	.set .L__assert_fail.uses_flat_scratch, or(0, .L__ockl_fprintf_append_string_n.uses_flat_scratch)
	.set .L__assert_fail.has_dyn_sized_stack, or(0, .L__ockl_fprintf_append_string_n.has_dyn_sized_stack)
	.set .L__assert_fail.has_recursion, or(0, .L__ockl_fprintf_append_string_n.has_recursion)
	.set .L__assert_fail.has_indirect_call, or(0, .L__ockl_fprintf_append_string_n.has_indirect_call)
	.section	.AMDGPU.csdata,"",@progbits
; Function info:
; codeLenInByte = 15432
; TotalNumSgprs: 36
; NumVgprs: 40
; ScratchSize: 64
; MemoryBound: 0
	.text
	.p2align	2                               ; -- Begin function _ZN12_GLOBAL__N_17runRingI12rccl_bfloat88FuncProdIS1_E11ProtoSimpleILi2ELi2ELi0ELi1ELi0ELi0EELi0ELi0ELi1ELi0EEEviiP15ncclDevWorkColl
	.type	_ZN12_GLOBAL__N_17runRingI12rccl_bfloat88FuncProdIS1_E11ProtoSimpleILi2ELi2ELi0ELi1ELi0ELi0EELi0ELi0ELi1ELi0EEEviiP15ncclDevWorkColl,@function
_ZN12_GLOBAL__N_17runRingI12rccl_bfloat88FuncProdIS1_E11ProtoSimpleILi2ELi2ELi0ELi1ELi0ELi0EELi0ELi0ELi1ELi0EEEviiP15ncclDevWorkColl: ; @_ZN12_GLOBAL__N_17runRingI12rccl_bfloat88FuncProdIS1_E11ProtoSimpleILi2ELi2ELi0ELi1ELi0ELi0EELi0ELi0ELi1ELi0EEEviiP15ncclDevWorkColl
; %bb.0:
	s_waitcnt vmcnt(0) expcnt(0) lgkmcnt(0)
	s_mov_b32 s88, s33
	s_mov_b32 s33, s32
	s_or_saveexec_b32 s4, -1
	buffer_store_dword v120, off, s[0:3], s33 offset:160 ; 4-byte Folded Spill
	s_mov_b32 exec_lo, s4
	s_addk_i32 s32, 0x1600
	buffer_store_dword v40, off, s[0:3], s33 offset:156 ; 4-byte Folded Spill
	buffer_store_dword v41, off, s[0:3], s33 offset:152 ; 4-byte Folded Spill
	;; [unrolled: 1-line block ×39, first 2 shown]
	buffer_store_dword v111, off, s[0:3], s33 ; 4-byte Folded Spill
	v_writelane_b32 v120, s30, 0
	v_writelane_b32 v120, s31, 1
	s_trap 2
	flat_load_dword v9, v[2:3]
	ds_read_b32 v6, v0
                                        ; implicit-def: $vgpr14_vgpr15
                                        ; implicit-def: $vgpr16_vgpr17
                                        ; implicit-def: $vgpr4_vgpr5
	s_waitcnt lgkmcnt(0)
	v_readfirstlane_b32 s25, v6
	s_waitcnt vmcnt(0)
	v_cmp_ne_u32_sdwa s4, v6, v9 src0_sel:DWORD src1_sel:BYTE_0
	s_and_saveexec_b32 s5, s4
	s_xor_b32 s4, exec_lo, s5
	s_cbranch_execz .LBB2_6
; %bb.1:
	v_not_b32_sdwa v8, v9 dst_sel:DWORD dst_unused:UNUSED_PAD src0_sel:BYTE_0
	v_cmp_ne_u32_sdwa s5, v6, v9 src0_sel:DWORD src1_sel:BYTE_1
                                        ; implicit-def: $vgpr14_vgpr15
                                        ; implicit-def: $vgpr16_vgpr17
                                        ; implicit-def: $vgpr4_vgpr5
	s_and_saveexec_b32 s6, s5
	s_xor_b32 s5, exec_lo, s6
	s_cbranch_execz .LBB2_3
; %bb.2:
	s_clause 0x1
	flat_load_dwordx4 v[9:12], v[2:3] offset:72
	flat_load_dwordx2 v[4:5], v[2:3] offset:96
	v_add_nc_u32_e32 v6, v6, v8
                                        ; implicit-def: $vgpr8
	v_ashrrev_i32_e32 v7, 31, v6
	s_waitcnt vmcnt(1) lgkmcnt(1)
	v_mul_lo_u32 v7, v11, v7
	v_mad_u64_u32 v[16:17], null, v11, v6, v[9:10]
	v_mul_lo_u32 v6, v12, v6
	s_waitcnt vmcnt(0) lgkmcnt(0)
	v_lshrrev_b64 v[14:15], 12, v[4:5]
	v_mov_b32_e32 v4, v11
	v_mov_b32_e32 v5, v12
                                        ; implicit-def: $vgpr9
	v_add3_u32 v17, v6, v17, v7
.LBB2_3:
	s_andn2_saveexec_b32 s5, s5
	s_cbranch_execz .LBB2_5
; %bb.4:
	s_clause 0x1
	flat_load_dwordx4 v[10:13], v[2:3] offset:72
	flat_load_dwordx4 v[4:7], v[2:3] offset:88
	s_waitcnt vmcnt(0) lgkmcnt(0)
	v_add_nc_u32_sdwa v6, v9, v8 dst_sel:DWORD dst_unused:UNUSED_PAD src0_sel:BYTE_1 src1_sel:DWORD
	v_ashrrev_i32_e32 v8, 31, v6
	v_mul_lo_u32 v8, v12, v8
	v_mad_u64_u32 v[16:17], null, v12, v6, v[10:11]
	v_mul_lo_u32 v6, v13, v6
	v_lshrrev_b32_e32 v14, 1, v7
	v_add3_u32 v17, v6, v17, v8
.LBB2_5:
	s_or_b32 exec_lo, exec_lo, s5
.LBB2_6:
	s_andn2_saveexec_b32 s4, s4
	s_cbranch_execz .LBB2_8
; %bb.7:
	s_clause 0x1
	flat_load_dwordx2 v[6:7], v[2:3] offset:96
	flat_load_dwordx2 v[4:5], v[2:3] offset:72
	v_mov_b32_e32 v16, 0
	v_mov_b32_e32 v17, 0
	s_waitcnt vmcnt(1) lgkmcnt(1)
	v_lshlrev_b64 v[14:15], 9, v[6:7]
.LBB2_8:
	s_or_b32 exec_lo, exec_lo, s4
	s_trap 2
	ds_read_b64 v[6:7], v0
	s_mov_b32 s5, exec_lo
	s_waitcnt lgkmcnt(0)
	v_cmp_ne_u32_e32 vcc_lo, -1, v6
	v_cndmask_b32_e64 v15, 0, 1, vcc_lo
	v_cmp_ne_u32_e32 vcc_lo, -1, v7
	v_add_co_ci_u32_e64 v8, null, 0, v15, vcc_lo
	v_lshlrev_b32_e32 v6, 1, v8
	v_cmpx_le_u32_e64 v6, v1
	s_xor_b32 s24, exec_lo, s5
	s_cbranch_execnz .LBB2_9
; %bb.4213:
	s_getpc_b64 s[34:35]
.Lpost_getpc0:
	s_add_u32 s34, s34, (.LBB2_4210-.Lpost_getpc0)&4294967295
	s_addc_u32 s35, s35, (.LBB2_4210-.Lpost_getpc0)>>32
	s_setpc_b64 s[34:35]
.LBB2_9:
	s_clause 0x3
	flat_load_dwordx4 v[10:13], v[2:3] offset:16
	flat_load_dwordx2 v[28:29], v[2:3] offset:104
	flat_load_ushort v7, v[2:3] offset:8
	flat_load_dword v6, v[2:3] offset:4
	s_trap 2
	s_load_dword s4, s[8:9], 0x0
	v_mov_b32_e32 v9, 0
	v_mov_b32_e32 v84, 4
	s_waitcnt lgkmcnt(0)
	s_cmp_lt_u32 s12, s4
	s_cselect_b32 s4, 12, 18
	s_add_u32 s4, s8, s4
	s_addc_u32 s5, s9, 0
	global_load_ushort v30, v9, s[4:5]
	ds_read_b32 v9, v0
	s_mov_b32 s5, exec_lo
	s_waitcnt lgkmcnt(0)
	v_readfirstlane_b32 s12, v9
	v_cmpx_ge_i32_e64 v0, v15
	s_cbranch_execz .LBB2_19
; %bb.10:
	v_cmp_ge_u32_e64 s4, v0, v8
                                        ; implicit-def: $vgpr84
	s_and_saveexec_b32 s6, s4
	s_xor_b32 s4, exec_lo, s6
	s_cbranch_execz .LBB2_16
; %bb.11:
	v_cndmask_b32_e64 v9, 0, 1, vcc_lo
	s_mov_b32 s6, exec_lo
	v_sub_nc_u32_e32 v9, v1, v9
	v_cmpx_ge_u32_e64 v0, v9
	s_xor_b32 s6, exec_lo, s6
; %bb.12:
                                        ; implicit-def: $vgpr8
; %bb.13:
	s_or_saveexec_b32 s6, s6
	v_mov_b32_e32 v84, 16
	s_xor_b32 exec_lo, exec_lo, s6
; %bb.14:
	v_sub_nc_u32_e32 v8, v1, v8
	v_cmp_lt_i32_e32 vcc_lo, v0, v8
	v_cndmask_b32_e64 v84, 32, 0, vcc_lo
; %bb.15:
	s_or_b32 exec_lo, exec_lo, s6
.LBB2_16:
	s_andn2_saveexec_b32 s4, s4
; %bb.17:
	v_mov_b32_e32 v84, 8
; %bb.18:
	s_or_b32 exec_lo, exec_lo, s4
.LBB2_19:
	s_or_b32 exec_lo, exec_lo, s5
	v_and_b32_e32 v8, 36, v84
	v_cmp_ne_u32_e32 vcc_lo, 0, v8
	v_mov_b32_e32 v8, -1
	s_and_saveexec_b32 s4, vcc_lo
	s_cbranch_execz .LBB2_21
; %bb.20:
	s_trap 2
	ds_read_b32 v8, v0
.LBB2_21:
	s_or_b32 exec_lo, exec_lo, s4
	v_and_b32_e32 v9, 24, v84
	s_mov_b32 s5, exec_lo
	v_cmpx_ne_u32_e32 0, v9
	s_cbranch_execz .LBB2_23
; %bb.22:
	s_trap 2
	s_waitcnt lgkmcnt(0)
	ds_read_b32 v8, v0
.LBB2_23:
	s_or_b32 exec_lo, exec_lo, s5
	s_waitcnt vmcnt(1)
	v_lshrrev_b64 v[6:7], 31, v[6:7]
	v_mov_b32_e32 v20, 0
	v_mov_b32_e32 v21, 0
	s_waitcnt lgkmcnt(0)
	v_ashrrev_i32_e32 v9, 31, v8
                                        ; implicit-def: $vgpr85
                                        ; implicit-def: $vgpr50_vgpr51
                                        ; implicit-def: $vgpr24_vgpr25
                                        ; implicit-def: $vgpr32_vgpr33
                                        ; implicit-def: $vgpr22_vgpr23
	v_and_b32_e32 v18, 3, v6
	v_mov_b32_e32 v6, 0
	v_mov_b32_e32 v7, 0
	v_and_b32_e32 v34, 0xffff, v18
                                        ; implicit-def: $vgpr18_vgpr19
	s_and_saveexec_b32 s4, vcc_lo
	s_cbranch_execz .LBB2_33
; %bb.24:
	s_trap 2
	ds_read_b64 v[6:7], v0
	v_lshlrev_b64 v[18:19], 3, v[8:9]
	s_mov_b32 s5, exec_lo
	s_waitcnt lgkmcnt(0)
	v_add_co_u32 v6, vcc_lo, v6, v18
	v_add_co_ci_u32_e64 v7, null, v7, v19, vcc_lo
                                        ; implicit-def: $vgpr18_vgpr19
	flat_load_dwordx2 v[6:7], v[6:7]
	s_waitcnt vmcnt(0) lgkmcnt(0)
	v_mad_u64_u32 v[26:27], null, 0xa8, v34, v[6:7]
	flat_load_dword v6, v[26:27] offset:640
	s_waitcnt vmcnt(0) lgkmcnt(0)
	v_cmpx_eq_u32_e32 1, v6
	s_cbranch_execz .LBB2_26
; %bb.25:
	flat_load_dwordx2 v[18:19], v[26:27] offset:648
	v_or_b32_e32 v84, 0x2000, v84
	s_waitcnt vmcnt(0) lgkmcnt(0)
	flat_load_dwordx2 v[6:7], v[18:19]
	s_trap 2
	s_waitcnt vmcnt(0) lgkmcnt(0)
	ds_write_b64 v0, v[6:7]
	flat_load_dwordx2 v[6:7], v[18:19] offset:8
	s_waitcnt vmcnt(0) lgkmcnt(0)
	ds_write_b64 v0, v[6:7]
	flat_load_dwordx2 v[6:7], v[18:19] offset:16
	s_waitcnt vmcnt(0) lgkmcnt(0)
	ds_write_b64 v0, v[6:7]
.LBB2_26:
	s_or_b32 exec_lo, exec_lo, s5
	flat_load_dwordx2 v[6:7], v[26:27] offset:608
	v_and_b32_e32 v20, 32, v84
	s_mov_b32 s5, exec_lo
                                        ; implicit-def: $vgpr22_vgpr23
	s_waitcnt vmcnt(0) lgkmcnt(0)
	v_add_co_u32 v6, vcc_lo, v6, 3
	v_add_co_ci_u32_e64 v51, null, 0, v7, vcc_lo
	v_and_b32_e32 v50, -4, v6
	v_cmpx_ne_u32_e32 0, v20
	s_cbranch_execz .LBB2_28
; %bb.27:
	flat_load_dwordx2 v[22:23], v[26:27] offset:560
	s_waitcnt vmcnt(0) lgkmcnt(0)
	s_waitcnt_vscnt null, 0x0
	flat_store_dwordx2 v[22:23], v[50:51]
.LBB2_28:
	s_or_b32 exec_lo, exec_lo, s5
	v_and_b32_e32 v24, 4, v84
	v_add_co_u32 v20, vcc_lo, 0x1f8, v26
	v_mov_b32_e32 v6, 0
	v_add_co_ci_u32_e64 v21, null, 0, v27, vcc_lo
	v_mov_b32_e32 v7, 0
	v_cmp_ne_u32_e32 vcc_lo, 0, v24
                                        ; implicit-def: $vgpr85
                                        ; implicit-def: $vgpr24_vgpr25
                                        ; implicit-def: $vgpr32_vgpr33
	s_and_saveexec_b32 s5, vcc_lo
	s_cbranch_execz .LBB2_32
; %bb.29:
	v_and_b32_e32 v6, 0x800, v84
	s_mov_b32 s6, exec_lo
	v_cmpx_eq_u32_e32 0, v6
	s_cbranch_execz .LBB2_31
; %bb.30:
	s_trap 2
	ds_write_b64 v0, v[20:21]
.LBB2_31:
	s_or_b32 exec_lo, exec_lo, s6
	flat_load_dwordx2 v[22:23], v[26:27] offset:552
	s_waitcnt vmcnt(0) lgkmcnt(0)
	flat_load_dwordx2 v[32:33], v[22:23] glc dlc
	s_clause 0x2
	flat_load_dwordx2 v[6:7], v[26:27] offset:600
	flat_load_dword v85, v[26:27] offset:576
	flat_load_dwordx2 v[24:25], v[26:27] offset:520
	v_or_b32_e32 v26, 0x100, v84
	s_waitcnt vmcnt(2) lgkmcnt(2)
	v_cmp_eq_u64_e32 vcc_lo, 0, v[6:7]
	v_cndmask_b32_e32 v84, v26, v84, vcc_lo
.LBB2_32:
	s_or_b32 exec_lo, exec_lo, s5
.LBB2_33:
	s_or_b32 exec_lo, exec_lo, s4
	v_and_b32_e32 v26, 24, v84
	v_cmp_ne_u32_e32 vcc_lo, 0, v26
                                        ; implicit-def: $vgpr26_vgpr27
	s_and_saveexec_b32 s4, vcc_lo
	s_cbranch_execz .LBB2_41
; %bb.34:
	s_trap 2
	ds_read_b64 v[6:7], v0
	v_lshlrev_b64 v[8:9], 3, v[8:9]
	v_or_b32_e32 v26, 0x100, v84
	s_waitcnt lgkmcnt(0)
	v_add_co_u32 v6, vcc_lo, v6, v8
	v_add_co_ci_u32_e64 v7, null, v7, v9, vcc_lo
	flat_load_dwordx2 v[6:7], v[6:7]
	s_waitcnt vmcnt(0) lgkmcnt(0)
	v_mad_u64_u32 v[20:21], null, 0xa8, v34, v[6:7]
	flat_load_dwordx4 v[6:9], v[20:21] offset:96
	s_waitcnt vmcnt(0) lgkmcnt(0)
	v_cmp_eq_u64_e32 vcc_lo, 0, v[6:7]
	v_cndmask_b32_e32 v84, v26, v84, vcc_lo
	v_and_b32_e32 v26, 16, v84
	v_cmp_ne_u32_e32 vcc_lo, 0, v26
                                        ; implicit-def: $vgpr26_vgpr27
	s_and_saveexec_b32 s5, vcc_lo
	s_cbranch_execz .LBB2_36
; %bb.35:
	s_clause 0x2
	flat_load_dwordx2 v[22:23], v[20:21] offset:48
	flat_load_dwordx2 v[26:27], v[20:21] offset:120
	;; [unrolled: 1-line block ×3, first 2 shown]
.LBB2_36:
	s_or_b32 exec_lo, exec_lo, s5
	v_add_co_u32 v8, vcc_lo, v8, 3
	v_and_b32_e32 v34, 8, v84
	v_add_co_ci_u32_e64 v51, null, 0, v9, vcc_lo
	v_and_b32_e32 v50, -4, v8
	s_mov_b32 s5, exec_lo
	v_cmpx_ne_u32_e32 0, v34
	s_cbranch_execz .LBB2_40
; %bb.37:
	v_and_b32_e32 v8, 0x800, v84
	s_mov_b32 s6, exec_lo
	v_cmpx_eq_u32_e32 0, v8
	s_cbranch_execz .LBB2_39
; %bb.38:
	s_trap 2
	ds_write_b64 v0, v[20:21]
.LBB2_39:
	s_or_b32 exec_lo, exec_lo, s6
	s_waitcnt vmcnt(2) lgkmcnt(2)
	flat_load_dwordx2 v[22:23], v[20:21] offset:56
	s_waitcnt vmcnt(0) lgkmcnt(0)
	flat_load_dwordx2 v[32:33], v[22:23] glc dlc
	s_clause 0x1
	flat_load_dword v85, v[20:21] offset:72
	flat_load_dwordx2 v[24:25], v[20:21] offset:16
.LBB2_40:
	s_or_b32 exec_lo, exec_lo, s5
.LBB2_41:
	s_or_b32 exec_lo, exec_lo, s4
	v_cmp_eq_u32_e64 s4, 0, v0
	s_and_saveexec_b32 s5, s4
	s_cbranch_execz .LBB2_43
; %bb.42:
	flat_load_dwordx2 v[8:9], v[2:3] offset:32
	ds_write2_b64 v0, v[12:13], v[10:11] offset1:1
	s_trap 2
	s_waitcnt vmcnt(0) lgkmcnt(1)
	ds_write_b64 v0, v[8:9]
	ds_write_b64 v0, v[28:29]
.LBB2_43:
	s_or_b32 exec_lo, exec_lo, s5
	v_mov_b32_e32 v28, 0
	v_mov_b32_e32 v29, 0
	s_mov_b32 s26, exec_lo
	v_cmpx_lt_i64_e32 0, v[4:5]
	s_cbranch_execnz .LBB2_44
; %bb.4215:
	s_getpc_b64 s[34:35]
.Lpost_getpc1:
	s_add_u32 s34, s34, (.LBB2_4176-.Lpost_getpc1)&4294967295
	s_addc_u32 s35, s35, (.LBB2_4176-.Lpost_getpc1)>>32
	s_setpc_b64 s[34:35]
.LBB2_44:
	flat_load_dword v3, v[2:3] offset:4
	s_ashr_i32 s28, s25, 31
	v_and_b32_e32 v8, 31, v31
	v_ashrrev_i32_e32 v9, 31, v0
	v_lshrrev_b32_e32 v87, 5, v1
	s_add_u32 s40, s25, -1
	s_addc_u32 s41, s28, -1
	s_add_i32 s42, s25, s25
	s_not_b32 s11, s25
	s_cmp_gt_i32 s25, 0
	v_and_b32_e32 v96, 0x1fe0, v1
	s_cselect_b32 s13, s11, -1
	v_cmp_eq_u32_e64 s11, 0, v8
	v_lshrrev_b32_e32 v8, 27, v9
	v_lshlrev_b32_e32 v116, 9, v87
	v_subrev_nc_u32_e32 v119, 32, v96
	s_ashr_i32 s14, s12, 31
	s_add_i32 s43, s13, s42
	v_add_nc_u32_e32 v8, v0, v8
	v_add_nc_u32_e32 v40, 0xfffffe00, v116
	s_lshr_b32 s13, s14, 25
	v_ashrrev_i32_e32 v41, 31, v119
	s_add_i32 s12, s12, s13
	v_ashrrev_i32_e32 v42, 5, v8
	v_and_b32_e32 v8, 0xffffffe0, v8
	v_ashrrev_i32_e32 v43, 31, v40
	s_ashr_i32 s45, s12, 7
	v_add_co_u32 v44, s12, v119, 32
	v_add_co_ci_u32_e64 v45, null, 0, v41, s12
	v_add_co_u32 v56, s12, 0x200, v40
	v_sub_nc_u32_e32 v46, v0, v8
	v_lshlrev_b32_e32 v8, 10, v42
	v_add_co_ci_u32_e64 v57, null, 0, v43, s12
	v_and_b32_e32 v48, 0x3ffffe00, v14
	s_ashr_i32 s44, s43, 31
	s_cmp_gt_i32 s25, 2
	v_mov_b32_e32 v2, 0
	v_lshlrev_b32_e32 v97, 4, v0
	s_cselect_b32 s46, -1, 0
	s_add_i32 s16, s25, 1
	v_lshl_add_u32 v38, v46, 4, v8
	v_mad_i64_i32 v[36:37], null, v48, s25, 0
	v_cmp_ge_i32_e32 vcc_lo, v0, v1
	v_mov_b32_e32 v34, 0
	s_waitcnt vmcnt(2) lgkmcnt(2)
	v_cmp_eq_u64_e64 s7, 0, v[26:27]
	v_cmp_ne_u64_e64 s10, 0, v[26:27]
	v_mov_b32_e32 v28, 0
	v_ashrrev_i32_e32 v86, 31, v85
	v_cmp_eq_u32_e64 s5, 32, v1
	v_cmp_ne_u32_e64 s6, 32, v1
	s_waitcnt vmcnt(1)
	v_cmp_ne_u32_sdwa s29, v1, v30 src0_sel:DWORD src1_sel:WORD_0
	v_mov_b32_e32 v35, 0
	v_mov_b32_e32 v98, 1
	v_mov_b32_e32 v99, 0x90
	v_mov_b32_e32 v100, 0x7f
	v_mov_b32_e32 v101, 0x80
	v_mov_b32_e32 v102, 0xffff
	v_mov_b32_e32 v103, 24
	v_mov_b32_e32 v112, 0xff
	v_mov_b32_e32 v113, 3
	v_mov_b32_e32 v114, 0x88
	v_mov_b32_e32 v29, 0
	v_mov_b32_e32 v49, v2
	v_lshlrev_b32_e32 v115, 10, v87
	v_lshlrev_b32_e32 v117, 8, v87
	v_ashrrev_i32_e32 v118, 31, v97
	v_sub_nc_u32_e32 v47, 0, v42
	v_cmp_gt_i32_e64 s13, 1, v46
	v_cmp_lt_i32_e64 s14, v46, v15
	v_cmp_le_i32_e64 s15, v46, v15
	v_ashrrev_i32_e32 v39, 31, v38
	s_mov_b32 s27, 0
	s_trap 2
	s_waitcnt vmcnt(0) lgkmcnt(0)
	v_and_b32_e32 v3, 1, v3
	v_cmp_eq_u32_e64 s12, 1, v3
	s_xor_b32 s47, s12, -1
	s_cmp_ge_i32 s16, s25
	s_cselect_b32 s17, s25, 0
	s_add_i32 s56, s25, -2
	s_sub_i32 s58, s16, s17
	s_xor_b32 s57, vcc_lo, -1
	s_ashr_i32 s20, s28, 31
	s_ashr_i32 s59, s58, 31
	s_sub_i32 s60, 0, s25
	s_branch .LBB2_47
.LBB2_45:                               ;   in Loop: Header=BB2_47 Depth=1
	s_or_b32 exec_lo, exec_lo, s18
.LBB2_46:                               ;   in Loop: Header=BB2_47 Depth=1
	s_or_b32 exec_lo, exec_lo, s17
	v_add_co_u32 v34, vcc_lo, v34, v36
	v_add_co_ci_u32_e64 v35, null, v35, v37, vcc_lo
	v_cmp_ge_i64_e32 vcc_lo, v[34:35], v[4:5]
	s_or_b32 s27, vcc_lo, s27
	s_andn2_b32 exec_lo, exec_lo, s27
	s_cbranch_execnz .LBB2_47
; %bb.4217:
	s_getpc_b64 s[34:35]
.Lpost_getpc2:
	s_add_u32 s34, s34, (.LBB2_4175-.Lpost_getpc2)&4294967295
	s_addc_u32 s35, s35, (.LBB2_4175-.Lpost_getpc2)>>32
	s_setpc_b64 s[34:35]
.LBB2_47:                               ; =>This Loop Header: Depth=1
                                        ;     Child Loop BB2_57 Depth 2
                                        ;       Child Loop BB2_65 Depth 3
                                        ;       Child Loop BB2_89 Depth 3
	;; [unrolled: 1-line block ×9, first 2 shown]
                                        ;     Child Loop BB2_199 Depth 2
                                        ;       Child Loop BB2_205 Depth 3
                                        ;       Child Loop BB2_229 Depth 3
	;; [unrolled: 1-line block ×3, first 2 shown]
                                        ;     Child Loop BB2_271 Depth 2
                                        ;       Child Loop BB2_274 Depth 3
                                        ;         Child Loop BB2_282 Depth 4
                                        ;         Child Loop BB2_310 Depth 4
	;; [unrolled: 1-line block ×9, first 2 shown]
                                        ;       Child Loop BB2_1404 Depth 3
                                        ;         Child Loop BB2_1410 Depth 4
                                        ;         Child Loop BB2_1438 Depth 4
	;; [unrolled: 1-line block ×3, first 2 shown]
                                        ;     Child Loop BB2_1479 Depth 2
                                        ;       Child Loop BB2_1487 Depth 3
                                        ;       Child Loop BB2_1515 Depth 3
	;; [unrolled: 1-line block ×4, first 2 shown]
                                        ;         Child Loop BB2_1878 Depth 4
                                        ;       Child Loop BB2_1948 Depth 3
                                        ;         Child Loop BB2_2269 Depth 4
                                        ;       Child Loop BB2_2345 Depth 3
                                        ;       Child Loop BB2_2539 Depth 3
                                        ;         Child Loop BB2_2560 Depth 4
                                        ;       Child Loop BB2_2579 Depth 3
                                        ;       Child Loop BB2_2968 Depth 3
	;; [unrolled: 1-line block ×6, first 2 shown]
                                        ;     Child Loop BB2_3630 Depth 2
                                        ;       Child Loop BB2_3636 Depth 3
                                        ;       Child Loop BB2_3664 Depth 3
	;; [unrolled: 1-line block ×3, first 2 shown]
                                        ;     Child Loop BB2_3705 Depth 2
                                        ;       Child Loop BB2_3708 Depth 3
                                        ;         Child Loop BB2_3716 Depth 4
                                        ;         Child Loop BB2_3744 Depth 4
	;; [unrolled: 1-line block ×4, first 2 shown]
                                        ;           Child Loop BB2_3787 Depth 5
                                        ;         Child Loop BB2_3793 Depth 4
                                        ;           Child Loop BB2_3794 Depth 5
                                        ;         Child Loop BB2_3803 Depth 4
                                        ;         Child Loop BB2_3808 Depth 4
                                        ;           Child Loop BB2_3809 Depth 5
                                        ;         Child Loop BB2_3821 Depth 4
                                        ;         Child Loop BB2_3826 Depth 4
	;; [unrolled: 1-line block ×6, first 2 shown]
                                        ;       Child Loop BB2_3891 Depth 3
                                        ;         Child Loop BB2_3897 Depth 4
                                        ;         Child Loop BB2_3925 Depth 4
	;; [unrolled: 1-line block ×3, first 2 shown]
                                        ;     Child Loop BB2_3969 Depth 2
                                        ;       Child Loop BB2_3977 Depth 3
                                        ;       Child Loop BB2_4001 Depth 3
	;; [unrolled: 1-line block ×9, first 2 shown]
                                        ;     Child Loop BB2_4109 Depth 2
                                        ;       Child Loop BB2_4115 Depth 3
                                        ;       Child Loop BB2_4139 Depth 3
	;; [unrolled: 1-line block ×3, first 2 shown]
	v_sub_co_u32 v52, vcc_lo, v4, v34
	v_sub_co_ci_u32_e64 v53, null, v5, v35, vcc_lo
	s_mov_b32 s17, exec_lo
	v_cmpx_lt_i64_e64 v[52:53], v[36:37]
	s_cbranch_execz .LBB2_53
; %bb.48:                               ;   in Loop: Header=BB2_47 Depth=1
	v_add_co_u32 v10, vcc_lo, s40, v52
	v_add_co_ci_u32_e64 v11, null, s41, v53, vcc_lo
                                        ; implicit-def: $vgpr8_vgpr9
	s_mov_b32 s16, exec_lo
	v_or_b32_e32 v3, s28, v11
	v_cmpx_ne_u64_e32 0, v[2:3]
	s_xor_b32 s22, exec_lo, s16
	s_cbranch_execz .LBB2_50
; %bb.49:                               ;   in Loop: Header=BB2_47 Depth=1
	s_add_u32 s18, s25, s20
	s_mov_b32 s21, s20
	s_addc_u32 s19, s28, s20
	v_ashrrev_i32_e32 v14, 31, v11
	s_xor_b64 s[18:19], s[18:19], s[20:21]
	v_cvt_f32_u32_e32 v3, s18
	v_cvt_f32_u32_e32 v8, s19
	s_sub_u32 s16, 0, s18
	s_subb_u32 s61, 0, s19
	v_add_co_u32 v9, vcc_lo, v10, v14
	v_fmac_f32_e32 v3, 0x4f800000, v8
	v_xor_b32_e32 v15, v9, v14
	v_rcp_f32_e32 v3, v3
	v_mul_f32_e32 v3, 0x5f7ffffc, v3
	v_mul_f32_e32 v8, 0x2f800000, v3
	v_trunc_f32_e32 v8, v8
	v_fmac_f32_e32 v3, 0xcf800000, v8
	v_cvt_u32_f32_e32 v8, v8
	v_cvt_u32_f32_e32 v3, v3
	v_readfirstlane_b32 s21, v8
	v_readfirstlane_b32 s23, v3
	s_mul_i32 s62, s16, s21
	v_add_co_ci_u32_e64 v3, null, v11, v14, vcc_lo
	s_mul_hi_u32 s72, s16, s23
	s_mul_i32 s63, s61, s23
	s_add_i32 s62, s72, s62
	s_mul_i32 s73, s16, s23
	s_add_i32 s62, s62, s63
	s_mul_hi_u32 s72, s23, s73
	s_mul_i32 s75, s23, s62
	s_mul_hi_u32 s74, s21, s73
	s_mul_i32 s63, s21, s73
	s_mul_hi_u32 s73, s23, s62
	s_add_u32 s72, s72, s75
	s_addc_u32 s73, 0, s73
	s_mul_hi_u32 s76, s21, s62
	s_add_u32 s63, s72, s63
	s_mul_i32 s62, s21, s62
	s_addc_u32 s63, s73, s74
	s_addc_u32 s72, s76, 0
	s_add_u32 s62, s63, s62
	s_addc_u32 s63, 0, s72
	s_add_u32 s23, s23, s62
	s_cselect_b32 s62, -1, 0
	s_mul_hi_u32 s72, s16, s23
	s_cmp_lg_u32 s62, 0
	s_mul_i32 s62, s16, s23
	s_addc_u32 s21, s21, s63
	s_mul_i32 s61, s61, s23
	s_mul_i32 s16, s16, s21
	s_mul_hi_u32 s63, s23, s62
	s_add_i32 s16, s72, s16
	s_mul_hi_u32 s72, s21, s62
	s_add_i32 s16, s16, s61
	s_mul_i32 s61, s21, s62
	s_mul_i32 s74, s23, s16
	s_mul_hi_u32 s73, s23, s16
	s_add_u32 s63, s63, s74
	s_addc_u32 s73, 0, s73
	s_mul_hi_u32 s62, s21, s16
	s_add_u32 s61, s63, s61
	s_mul_i32 s16, s21, s16
	s_addc_u32 s61, s73, s72
	s_addc_u32 s62, s62, 0
	s_add_u32 s16, s61, s16
	s_addc_u32 s61, 0, s62
	s_add_u32 s16, s23, s16
	s_cselect_b32 s23, -1, 0
	v_xor_b32_e32 v3, v3, v14
	s_cmp_lg_u32 s23, 0
	v_mul_hi_u32 v48, v15, s16
	s_addc_u32 s21, s21, s61
	v_mad_u64_u32 v[8:9], null, v15, s21, 0
	v_mad_u64_u32 v[10:11], null, v3, s16, 0
	;; [unrolled: 1-line block ×3, first 2 shown]
	v_add_co_u32 v8, vcc_lo, v48, v8
	v_add_co_ci_u32_e64 v9, null, 0, v9, vcc_lo
	v_add_co_u32 v8, vcc_lo, v8, v10
	v_add_co_ci_u32_e32 v8, vcc_lo, v9, v11, vcc_lo
	v_add_co_ci_u32_e32 v9, vcc_lo, 0, v13, vcc_lo
	v_add_co_u32 v10, vcc_lo, v8, v12
	v_add_co_ci_u32_e64 v11, null, 0, v9, vcc_lo
	v_mul_lo_u32 v12, s19, v10
	v_mad_u64_u32 v[8:9], null, s18, v10, 0
	v_mul_lo_u32 v13, s18, v11
	v_sub_co_u32 v8, vcc_lo, v15, v8
	v_add3_u32 v9, v9, v13, v12
	v_add_co_u32 v13, s16, v10, 2
	v_add_co_ci_u32_e64 v15, null, 0, v11, s16
	v_sub_nc_u32_e32 v12, v3, v9
	v_sub_co_u32 v48, s16, v8, s18
	v_sub_co_ci_u32_e64 v3, null, v3, v9, vcc_lo
	v_subrev_co_ci_u32_e64 v12, null, s19, v12, vcc_lo
	v_cmp_le_u32_e32 vcc_lo, s18, v48
	v_subrev_co_ci_u32_e64 v12, null, 0, v12, s16
	v_cndmask_b32_e64 v9, 0, -1, vcc_lo
	v_cmp_le_u32_e32 vcc_lo, s19, v12
	v_cndmask_b32_e64 v48, 0, -1, vcc_lo
	v_cmp_le_u32_e32 vcc_lo, s18, v8
	;; [unrolled: 2-line block ×3, first 2 shown]
	v_cndmask_b32_e64 v49, 0, -1, vcc_lo
	v_cmp_eq_u32_e32 vcc_lo, s19, v12
	v_cndmask_b32_e32 v9, v48, v9, vcc_lo
	v_add_co_u32 v12, vcc_lo, v10, 1
	v_add_co_ci_u32_e64 v48, null, 0, v11, vcc_lo
	v_cmp_eq_u32_e32 vcc_lo, s19, v3
	v_cndmask_b32_e32 v3, v49, v8, vcc_lo
	v_cmp_ne_u32_e32 vcc_lo, 0, v9
	v_xor_b32_e32 v9, s20, v14
	v_cmp_ne_u32_e64 s16, 0, v3
	v_cndmask_b32_e32 v3, v12, v13, vcc_lo
	v_cndmask_b32_e32 v8, v48, v15, vcc_lo
	v_cndmask_b32_e64 v3, v10, v3, s16
	v_cndmask_b32_e64 v8, v11, v8, s16
	v_xor_b32_e32 v3, v3, v9
	v_xor_b32_e32 v10, v8, v9
	v_sub_co_u32 v8, vcc_lo, v3, v9
	v_sub_co_ci_u32_e64 v9, null, v10, v9, vcc_lo
                                        ; implicit-def: $vgpr10
.LBB2_50:                               ;   in Loop: Header=BB2_47 Depth=1
	s_andn2_saveexec_b32 s16, s22
	s_cbranch_execz .LBB2_52
; %bb.51:                               ;   in Loop: Header=BB2_47 Depth=1
	v_cvt_f32_u32_e32 v3, s25
	v_rcp_iflag_f32_e32 v3, v3
	v_mul_f32_e32 v3, 0x4f7ffffe, v3
	v_cvt_u32_f32_e32 v3, v3
	v_mul_lo_u32 v8, s60, v3
	v_mul_hi_u32 v8, v3, v8
	v_add_nc_u32_e32 v3, v3, v8
	v_mul_hi_u32 v3, v10, v3
	v_mul_lo_u32 v8, v3, s25
	v_add_nc_u32_e32 v9, 1, v3
	v_sub_nc_u32_e32 v8, v10, v8
	v_subrev_nc_u32_e32 v10, s25, v8
	v_cmp_le_u32_e32 vcc_lo, s25, v8
	v_cndmask_b32_e32 v8, v8, v10, vcc_lo
	v_cndmask_b32_e32 v3, v3, v9, vcc_lo
	v_cmp_le_u32_e32 vcc_lo, s25, v8
	v_add_nc_u32_e32 v9, 1, v3
	v_cndmask_b32_e32 v8, v3, v9, vcc_lo
	v_mov_b32_e32 v9, v2
.LBB2_52:                               ;   in Loop: Header=BB2_47 Depth=1
	s_or_b32 exec_lo, exec_lo, s16
	v_add_co_u32 v3, vcc_lo, v8, 15
	v_add_co_ci_u32_e64 v49, null, 0, v9, vcc_lo
	v_and_b32_e32 v48, -16, v3
.LBB2_53:                               ;   in Loop: Header=BB2_47 Depth=1
	s_or_b32 exec_lo, exec_lo, s17
	v_mul_lo_u32 v3, v49, s43
	v_mul_lo_u32 v8, v48, s44
	v_mad_u64_u32 v[10:11], null, v48, s43, 0
	v_mov_b32_e32 v65, 0
	v_add3_u32 v11, v11, v8, v3
	v_sub_co_u32 v8, vcc_lo, v52, v10
	v_sub_co_ci_u32_e64 v9, null, v53, v11, vcc_lo
	v_cmp_lt_i64_e32 vcc_lo, v[48:49], v[8:9]
	v_cndmask_b32_e32 v8, v8, v48, vcc_lo
	v_add_co_u32 v58, vcc_lo, v34, v16
	v_add_co_ci_u32_e64 v59, null, v35, v17, vcc_lo
	v_max_i32_e32 v64, 0, v8
	v_cmp_lt_i32_e32 vcc_lo, 0, v8
	v_add_nc_u32_e32 v3, 31, v64
	s_and_b32 s16, s57, vcc_lo
	v_lshrrev_b32_e32 v3, 1, v3
	v_and_b32_e32 v9, 0x3ffffff0, v3
	v_mov_b32_e32 v3, 0
	v_max_i32_e32 v8, s45, v9
	s_and_saveexec_b32 s18, s16
	s_cbranch_execz .LBB2_195
; %bb.54:                               ;   in Loop: Header=BB2_47 Depth=1
	v_mov_b32_e32 v65, 0
	s_mov_b32 s22, 1
	s_mov_b32 s21, -1
	s_mov_b32 s19, 0
	s_branch .LBB2_57
.LBB2_55:                               ;   in Loop: Header=BB2_57 Depth=2
	s_or_b32 exec_lo, exec_lo, s17
	v_add_co_u32 v50, vcc_lo, v50, 2
	v_add_co_ci_u32_e64 v51, null, 0, v51, vcc_lo
	s_waitcnt vmcnt(0) lgkmcnt(0)
	s_waitcnt_vscnt null, 0x0
	flat_store_dwordx2 v[22:23], v[50:51]
.LBB2_56:                               ;   in Loop: Header=BB2_57 Depth=2
	s_or_b32 exec_lo, exec_lo, s16
	v_add_nc_u32_e32 v65, v8, v65
	s_xor_b32 s16, s21, -1
	v_mov_b32_e32 v3, s22
	s_mov_b32 s21, 0
	s_mov_b32 s22, 2
	v_cmp_ge_i32_e32 vcc_lo, v65, v64
	s_or_b32 s16, s16, vcc_lo
	s_and_b32 s16, exec_lo, s16
	s_or_b32 s19, s16, s19
	s_andn2_b32 exec_lo, exec_lo, s19
	s_cbranch_execz .LBB2_194
.LBB2_57:                               ;   Parent Loop BB2_47 Depth=1
                                        ; =>  This Loop Header: Depth=2
                                        ;       Child Loop BB2_65 Depth 3
                                        ;       Child Loop BB2_89 Depth 3
	;; [unrolled: 1-line block ×9, first 2 shown]
	s_and_saveexec_b32 s16, s4
	s_cbranch_execz .LBB2_59
; %bb.58:                               ;   in Loop: Header=BB2_57 Depth=2
	s_trap 2
	ds_read_b64 v[12:13], v0
	s_waitcnt lgkmcnt(0)
	v_add_co_u32 v3, vcc_lo, v12, v58
	v_add_co_ci_u32_e64 v9, null, v13, v59, vcc_lo
	v_ashrrev_i32_e32 v13, 31, v65
	v_add_co_u32 v3, vcc_lo, v3, v10
	v_add_co_ci_u32_e64 v9, null, v9, v11, vcc_lo
	v_add_co_u32 v12, vcc_lo, v3, v65
	v_add_co_ci_u32_e64 v13, null, v9, v13, vcc_lo
	v_mov_b32_e32 v3, v2
	ds_write_b64 v0, v[12:13]
	ds_write_b64 v0, v[2:3]
.LBB2_59:                               ;   in Loop: Header=BB2_57 Depth=2
	s_or_b32 exec_lo, exec_lo, s16
	v_sub_nc_u32_e32 v3, v64, v65
	v_and_b32_e32 v9, 8, v84
	s_mov_b32 s17, exec_lo
	v_min_i32_e32 v8, v8, v3
	v_cmpx_ne_u32_e32 0, v9
	s_cbranch_execz .LBB2_81
; %bb.60:                               ;   in Loop: Header=BB2_57 Depth=2
	s_waitcnt vmcnt(0) lgkmcnt(1)
	v_add_co_u32 v14, vcc_lo, v32, 8
	v_add_co_ci_u32_e64 v15, null, 0, v33, vcc_lo
	v_add_co_u32 v12, vcc_lo, v50, 2
	v_add_co_ci_u32_e64 v13, null, 0, v51, vcc_lo
	s_mov_b32 s23, exec_lo
	v_cmpx_lt_u64_e64 v[14:15], v[12:13]
	s_cbranch_execz .LBB2_72
; %bb.61:                               ;   in Loop: Header=BB2_57 Depth=2
	v_and_b32_e32 v3, 64, v84
	s_mov_b32 s61, 0
	s_mov_b32 s73, 0
                                        ; implicit-def: $sgpr62
                                        ; implicit-def: $sgpr63
                                        ; implicit-def: $sgpr72
	v_cmp_eq_u32_e32 vcc_lo, 0, v3
	s_branch .LBB2_65
.LBB2_62:                               ;   in Loop: Header=BB2_65 Depth=3
	s_waitcnt vmcnt(0) lgkmcnt(0)
	v_add_co_u32 v14, s16, v32, 8
	v_add_co_ci_u32_e64 v15, null, 0, v33, s16
	s_or_b32 s76, s76, exec_lo
	v_cmp_ge_u64_e64 s16, v[14:15], v[12:13]
	s_orn2_b32 s75, s16, exec_lo
.LBB2_63:                               ;   in Loop: Header=BB2_65 Depth=3
	s_or_b32 exec_lo, exec_lo, s78
	s_andn2_b32 s16, s72, exec_lo
	s_and_b32 s72, s76, exec_lo
	s_andn2_b32 s63, s63, exec_lo
	s_and_b32 s75, s75, exec_lo
	s_or_b32 s72, s16, s72
	s_or_b32 s63, s63, s75
.LBB2_64:                               ;   in Loop: Header=BB2_65 Depth=3
	s_or_b32 exec_lo, exec_lo, s74
	s_and_b32 s16, exec_lo, s63
	s_or_b32 s61, s16, s61
	s_andn2_b32 s16, s62, exec_lo
	s_and_b32 s62, s72, exec_lo
	s_or_b32 s62, s16, s62
	s_andn2_b32 exec_lo, exec_lo, s61
	s_cbranch_execz .LBB2_69
.LBB2_65:                               ;   Parent Loop BB2_47 Depth=1
                                        ;     Parent Loop BB2_57 Depth=2
                                        ; =>    This Inner Loop Header: Depth=3
	s_sleep 1
	s_waitcnt vmcnt(0) lgkmcnt(0)
	flat_load_dwordx2 v[32:33], v[22:23] glc dlc
	s_or_b32 s72, s72, exec_lo
	s_or_b32 s63, s63, exec_lo
                                        ; implicit-def: $vgpr3
	s_and_saveexec_b32 s74, vcc_lo
	s_cbranch_execz .LBB2_64
; %bb.66:                               ;   in Loop: Header=BB2_65 Depth=3
	s_cmpk_lt_i32 s73, 0x270f
	s_mov_b32 s75, -1
	s_cselect_b32 s77, -1, 0
	s_cmpk_gt_i32 s73, 0x270e
	s_cbranch_scc0 .LBB2_68
; %bb.67:                               ;   in Loop: Header=BB2_65 Depth=3
	s_trap 2
	ds_read_b64 v[14:15], v0
	s_andn2_b32 s73, s77, exec_lo
	s_mov_b32 s76, 0
	s_waitcnt vmcnt(0) lgkmcnt(0)
	s_waitcnt_vscnt null, 0x0
	flat_load_dword v3, v[14:15] glc dlc
	s_waitcnt vmcnt(0) lgkmcnt(0)
	buffer_gl1_inv
	buffer_gl0_inv
	v_cmp_eq_u32_e64 s16, 0, v3
	s_and_b32 s16, s16, exec_lo
	s_or_b32 s77, s73, s16
	s_mov_b32 s73, 0
	s_and_saveexec_b32 s78, s77
	s_cbranch_execz .LBB2_63
	s_branch .LBB2_62
.LBB2_68:                               ;   in Loop: Header=BB2_65 Depth=3
	s_add_i32 s73, s73, 1
	s_mov_b32 s76, -1
                                        ; implicit-def: $vgpr3
	s_and_saveexec_b32 s78, s77
	s_cbranch_execz .LBB2_63
	s_branch .LBB2_62
.LBB2_69:                               ;   in Loop: Header=BB2_57 Depth=2
	s_or_b32 exec_lo, exec_lo, s61
	s_xor_b32 s16, s62, -1
	s_and_saveexec_b32 s61, s16
	s_xor_b32 s16, exec_lo, s61
	s_cbranch_execz .LBB2_71
; %bb.70:                               ;   in Loop: Header=BB2_57 Depth=2
	v_or_b32_e32 v84, 64, v84
	s_waitcnt vmcnt(0) lgkmcnt(0)
	s_waitcnt_vscnt null, 0x0
	ds_write_b32 v0, v3
	s_trap 2
.LBB2_71:                               ;   in Loop: Header=BB2_57 Depth=2
	s_or_b32 exec_lo, exec_lo, s16
.LBB2_72:                               ;   in Loop: Header=BB2_57 Depth=2
	s_or_b32 exec_lo, exec_lo, s23
	v_and_b32_e32 v3, 0x100, v84
	s_mov_b32 s16, -1
	;;#ASMSTART
	s_wakeup
	;;#ASMEND
                                        ; implicit-def: $vgpr14_vgpr15
	v_cmp_ne_u32_e32 vcc_lo, 0, v3
	v_and_b32_e32 v3, 7, v50
	s_and_saveexec_b32 s23, vcc_lo
	s_cbranch_execz .LBB2_76
; %bb.73:                               ;   in Loop: Header=BB2_57 Depth=2
	v_mad_u64_u32 v[50:51], null, v3, 24, v[6:7]
	v_ashrrev_i32_e32 v9, 31, v8
	flat_load_dword v14, v[50:51]
	flat_store_dwordx2 v[50:51], v[8:9] offset:8
	s_waitcnt vmcnt(0) lgkmcnt(1)
	v_cmp_eq_u32_e64 s16, 1, v14
	v_cmp_ne_u32_e32 vcc_lo, 1, v14
                                        ; implicit-def: $vgpr14_vgpr15
	s_and_saveexec_b32 s61, s16
	s_cbranch_execz .LBB2_75
; %bb.74:                               ;   in Loop: Header=BB2_57 Depth=2
	flat_load_dword v14, v[50:51] offset:4 glc dlc
	s_waitcnt vmcnt(0) lgkmcnt(0)
	v_ashrrev_i32_e32 v15, 31, v14
.LBB2_75:                               ;   in Loop: Header=BB2_57 Depth=2
	s_or_b32 exec_lo, exec_lo, s61
	s_orn2_b32 s16, vcc_lo, exec_lo
.LBB2_76:                               ;   in Loop: Header=BB2_57 Depth=2
	s_or_b32 exec_lo, exec_lo, s23
	s_and_saveexec_b32 s23, s16
; %bb.77:                               ;   in Loop: Header=BB2_57 Depth=2
	v_mad_i64_i32 v[14:15], null, v3, v85, 0
; %bb.78:                               ;   in Loop: Header=BB2_57 Depth=2
	s_or_b32 exec_lo, exec_lo, s23
	v_add_co_u32 v14, vcc_lo, v24, v14
	v_and_b32_e32 v3, 0x2000, v84
	v_add_co_ci_u32_e64 v15, null, v25, v15, vcc_lo
	s_mov_b32 s16, exec_lo
	ds_write_b64 v0, v[14:15] offset:784
	v_cmpx_ne_u32_e32 0, v3
	s_cbranch_execz .LBB2_80
; %bb.79:                               ;   in Loop: Header=BB2_57 Depth=2
	ds_read_b64 v[14:15], v0 offset:872
	s_waitcnt lgkmcnt(0)
	v_add_co_u32 v14, vcc_lo, v14, 1
	v_add_co_ci_u32_e64 v15, null, 0, v15, vcc_lo
	ds_write_b64 v0, v[14:15] offset:872
.LBB2_80:                               ;   in Loop: Header=BB2_57 Depth=2
	s_or_b32 exec_lo, exec_lo, s16
	v_mov_b32_e32 v51, v13
	v_mov_b32_e32 v50, v12
.LBB2_81:                               ;   in Loop: Header=BB2_57 Depth=2
	s_or_b32 exec_lo, exec_lo, s17
	s_and_saveexec_b32 s16, s6
	s_cbranch_execz .LBB2_100
; %bb.82:                               ;   in Loop: Header=BB2_57 Depth=2
	s_and_saveexec_b32 s17, s29
	s_xor_b32 s17, exec_lo, s17
	s_cbranch_execz .LBB2_97
; %bb.83:                               ;   in Loop: Header=BB2_57 Depth=2
	s_and_saveexec_b32 s23, s11
	s_cbranch_execz .LBB2_96
; %bb.84:                               ;   in Loop: Header=BB2_57 Depth=2
	s_mov_b32 s62, exec_lo
	s_mov_b32 s61, exec_lo
	v_mbcnt_lo_u32_b32 v3, s62, 0
	s_waitcnt vmcnt(0) lgkmcnt(0)
	s_waitcnt_vscnt null, 0x0
	buffer_gl1_inv
	buffer_gl0_inv
	v_cmpx_eq_u32_e32 0, v3
	s_cbranch_execz .LBB2_86
; %bb.85:                               ;   in Loop: Header=BB2_57 Depth=2
	s_bcnt1_i32_b32 s62, s62
	v_mov_b32_e32 v13, v2
	v_mov_b32_e32 v12, s62
	ds_add_u64 v0, v[12:13]
	s_trap 2
.LBB2_86:                               ;   in Loop: Header=BB2_57 Depth=2
	s_or_b32 exec_lo, exec_lo, s61
	s_trap 2
	ds_read_b64 v[12:13], v0
	s_waitcnt lgkmcnt(0)
	buffer_gl0_inv
	v_add_co_u32 v28, vcc_lo, v28, v87
	v_add_co_ci_u32_e64 v29, null, 0, v29, vcc_lo
	s_mov_b32 s61, exec_lo
	v_cmpx_lt_u64_e64 v[12:13], v[28:29]
	s_cbranch_execz .LBB2_95
; %bb.87:                               ;   in Loop: Header=BB2_57 Depth=2
	s_mov_b32 s62, 0
	s_mov_b32 s73, 0
                                        ; implicit-def: $sgpr63
                                        ; implicit-def: $sgpr72
	s_inst_prefetch 0x1
	s_branch .LBB2_89
	.p2align	6
.LBB2_88:                               ;   in Loop: Header=BB2_89 Depth=3
	s_or_b32 exec_lo, exec_lo, s75
	s_and_b32 s74, exec_lo, s76
	s_or_b32 s62, s74, s62
	s_andn2_b32 s63, s63, exec_lo
	s_and_b32 s74, s72, exec_lo
	s_or_b32 s63, s63, s74
	s_andn2_b32 exec_lo, exec_lo, s62
	s_cbranch_execz .LBB2_93
.LBB2_89:                               ;   Parent Loop BB2_47 Depth=1
                                        ;     Parent Loop BB2_57 Depth=2
                                        ; =>    This Inner Loop Header: Depth=3
	s_add_i32 s73, s73, 1
	s_cmpk_lg_i32 s73, 0x2710
	s_cselect_b32 s74, -1, 0
	s_and_b32 vcc_lo, exec_lo, s74
	s_cbranch_vccz .LBB2_91
; %bb.90:                               ;   in Loop: Header=BB2_89 Depth=3
	s_mov_b32 s76, -1
	s_or_b32 s72, s72, exec_lo
	s_and_saveexec_b32 s75, s74
	s_cbranch_execz .LBB2_88
	s_branch .LBB2_92
	.p2align	6
.LBB2_91:                               ;   in Loop: Header=BB2_89 Depth=3
	s_trap 2
	ds_read_b64 v[12:13], v0
	s_andn2_b32 s74, s74, exec_lo
	s_mov_b32 s73, 0
	s_waitcnt lgkmcnt(0)
	flat_load_dword v3, v[12:13] glc dlc
	s_waitcnt vmcnt(0) lgkmcnt(0)
	buffer_gl1_inv
	buffer_gl0_inv
	v_cmp_eq_u32_e32 vcc_lo, 0, v3
	s_and_b32 s75, vcc_lo, exec_lo
	s_or_b32 s74, s74, s75
	s_mov_b32 s76, -1
	s_or_b32 s72, s72, exec_lo
	s_and_saveexec_b32 s75, s74
	s_cbranch_execz .LBB2_88
.LBB2_92:                               ;   in Loop: Header=BB2_89 Depth=3
	s_sleep 1
	s_trap 2
	ds_read_b64 v[12:13], v0
	s_waitcnt lgkmcnt(0)
	buffer_gl0_inv
	s_andn2_b32 s72, s72, exec_lo
	v_cmp_ge_u64_e32 vcc_lo, v[12:13], v[28:29]
	s_orn2_b32 s76, vcc_lo, exec_lo
	s_branch .LBB2_88
.LBB2_93:                               ;   in Loop: Header=BB2_57 Depth=2
	s_inst_prefetch 0x2
	s_or_b32 exec_lo, exec_lo, s62
	s_and_saveexec_b32 s62, s63
	s_xor_b32 s62, exec_lo, s62
	s_cbranch_execz .LBB2_95
; %bb.94:                               ;   in Loop: Header=BB2_57 Depth=2
	ds_write_b32 v0, v98
	s_trap 2
.LBB2_95:                               ;   in Loop: Header=BB2_57 Depth=2
	s_or_b32 exec_lo, exec_lo, s61
	;;#ASMSTART
	s_wakeup
	;;#ASMEND
.LBB2_96:                               ;   in Loop: Header=BB2_57 Depth=2
	s_or_b32 exec_lo, exec_lo, s23
.LBB2_97:                               ;   in Loop: Header=BB2_57 Depth=2
	s_andn2_saveexec_b32 s17, s17
	s_cbranch_execz .LBB2_99
; %bb.98:                               ;   in Loop: Header=BB2_57 Depth=2
	s_waitcnt vmcnt(0) lgkmcnt(0)
	s_waitcnt_vscnt null, 0x0
	buffer_gl1_inv
	buffer_gl0_inv
	s_barrier
.LBB2_99:                               ;   in Loop: Header=BB2_57 Depth=2
	s_or_b32 exec_lo, exec_lo, s17
.LBB2_100:                              ;   in Loop: Header=BB2_57 Depth=2
	s_or_b32 exec_lo, exec_lo, s16
	s_trap 2
	ds_read_b32 v3, v0
	v_and_b32_e32 v9, 0x4000, v84
	s_xor_b32 s16, s5, -1
	v_cmp_ne_u32_e32 vcc_lo, 0, v9
	s_and_b32 s17, s16, vcc_lo
	s_and_saveexec_b32 s16, s17
	s_cbranch_execz .LBB2_119
; %bb.101:                              ;   in Loop: Header=BB2_57 Depth=2
	s_and_saveexec_b32 s17, s29
	s_xor_b32 s17, exec_lo, s17
	s_cbranch_execz .LBB2_116
; %bb.102:                              ;   in Loop: Header=BB2_57 Depth=2
	s_and_saveexec_b32 s23, s11
	s_cbranch_execz .LBB2_115
; %bb.103:                              ;   in Loop: Header=BB2_57 Depth=2
	s_mov_b32 s62, exec_lo
	s_mov_b32 s61, exec_lo
	v_mbcnt_lo_u32_b32 v9, s62, 0
	s_waitcnt vmcnt(0) lgkmcnt(0)
	s_waitcnt_vscnt null, 0x0
	buffer_gl1_inv
	buffer_gl0_inv
	v_cmpx_eq_u32_e32 0, v9
	s_cbranch_execz .LBB2_105
; %bb.104:                              ;   in Loop: Header=BB2_57 Depth=2
	s_bcnt1_i32_b32 s62, s62
	v_mov_b32_e32 v13, v2
	v_mov_b32_e32 v12, s62
	ds_add_u64 v0, v[12:13]
	s_trap 2
.LBB2_105:                              ;   in Loop: Header=BB2_57 Depth=2
	s_or_b32 exec_lo, exec_lo, s61
	s_trap 2
	ds_read_b64 v[12:13], v0
	s_waitcnt lgkmcnt(0)
	buffer_gl0_inv
	v_add_co_u32 v28, vcc_lo, v28, v87
	v_add_co_ci_u32_e64 v29, null, 0, v29, vcc_lo
	s_mov_b32 s61, exec_lo
	v_cmpx_lt_u64_e64 v[12:13], v[28:29]
	s_cbranch_execz .LBB2_114
; %bb.106:                              ;   in Loop: Header=BB2_57 Depth=2
	s_mov_b32 s62, 0
	s_mov_b32 s73, 0
                                        ; implicit-def: $sgpr63
                                        ; implicit-def: $sgpr72
	s_inst_prefetch 0x1
	s_branch .LBB2_108
	.p2align	6
.LBB2_107:                              ;   in Loop: Header=BB2_108 Depth=3
	s_or_b32 exec_lo, exec_lo, s75
	s_and_b32 s74, exec_lo, s76
	s_or_b32 s62, s74, s62
	s_andn2_b32 s63, s63, exec_lo
	s_and_b32 s74, s72, exec_lo
	s_or_b32 s63, s63, s74
	s_andn2_b32 exec_lo, exec_lo, s62
	s_cbranch_execz .LBB2_112
.LBB2_108:                              ;   Parent Loop BB2_47 Depth=1
                                        ;     Parent Loop BB2_57 Depth=2
                                        ; =>    This Inner Loop Header: Depth=3
	s_add_i32 s73, s73, 1
	s_cmpk_lg_i32 s73, 0x2710
	s_cselect_b32 s74, -1, 0
	s_and_b32 vcc_lo, exec_lo, s74
	s_cbranch_vccz .LBB2_110
; %bb.109:                              ;   in Loop: Header=BB2_108 Depth=3
	s_mov_b32 s76, -1
	s_or_b32 s72, s72, exec_lo
	s_and_saveexec_b32 s75, s74
	s_cbranch_execz .LBB2_107
	s_branch .LBB2_111
	.p2align	6
.LBB2_110:                              ;   in Loop: Header=BB2_108 Depth=3
	s_trap 2
	ds_read_b64 v[12:13], v0
	s_andn2_b32 s74, s74, exec_lo
	s_mov_b32 s73, 0
	s_waitcnt lgkmcnt(0)
	flat_load_dword v9, v[12:13] glc dlc
	s_waitcnt vmcnt(0) lgkmcnt(0)
	buffer_gl1_inv
	buffer_gl0_inv
	v_cmp_eq_u32_e32 vcc_lo, 0, v9
	s_and_b32 s75, vcc_lo, exec_lo
	s_or_b32 s74, s74, s75
	s_mov_b32 s76, -1
	s_or_b32 s72, s72, exec_lo
	s_and_saveexec_b32 s75, s74
	s_cbranch_execz .LBB2_107
.LBB2_111:                              ;   in Loop: Header=BB2_108 Depth=3
	s_sleep 1
	s_trap 2
	ds_read_b64 v[12:13], v0
	s_waitcnt lgkmcnt(0)
	buffer_gl0_inv
	s_andn2_b32 s72, s72, exec_lo
	v_cmp_ge_u64_e32 vcc_lo, v[12:13], v[28:29]
	s_orn2_b32 s76, vcc_lo, exec_lo
	s_branch .LBB2_107
.LBB2_112:                              ;   in Loop: Header=BB2_57 Depth=2
	s_inst_prefetch 0x2
	s_or_b32 exec_lo, exec_lo, s62
	s_and_saveexec_b32 s62, s63
	s_xor_b32 s62, exec_lo, s62
	s_cbranch_execz .LBB2_114
; %bb.113:                              ;   in Loop: Header=BB2_57 Depth=2
	ds_write_b32 v0, v98
	s_trap 2
.LBB2_114:                              ;   in Loop: Header=BB2_57 Depth=2
	s_or_b32 exec_lo, exec_lo, s61
	;;#ASMSTART
	s_wakeup
	;;#ASMEND
.LBB2_115:                              ;   in Loop: Header=BB2_57 Depth=2
	s_or_b32 exec_lo, exec_lo, s23
.LBB2_116:                              ;   in Loop: Header=BB2_57 Depth=2
	s_andn2_saveexec_b32 s17, s17
	s_cbranch_execz .LBB2_118
; %bb.117:                              ;   in Loop: Header=BB2_57 Depth=2
	s_waitcnt vmcnt(0) lgkmcnt(0)
	s_waitcnt_vscnt null, 0x0
	buffer_gl1_inv
	buffer_gl0_inv
	s_barrier
.LBB2_118:                              ;   in Loop: Header=BB2_57 Depth=2
	s_or_b32 exec_lo, exec_lo, s17
.LBB2_119:                              ;   in Loop: Header=BB2_57 Depth=2
	s_or_b32 exec_lo, exec_lo, s16
	s_trap 2
	ds_read_b64 v[12:13], v0
	s_waitcnt lgkmcnt(0)
	v_cmp_eq_u64_e32 vcc_lo, 0, v[12:13]
	s_cbranch_vccnz .LBB2_127
; %bb.120:                              ;   in Loop: Header=BB2_57 Depth=2
	s_trap 2
	ds_read_b64 v[14:15], v0
	s_waitcnt lgkmcnt(0)
	v_cmp_eq_u64_e32 vcc_lo, 0, v[14:15]
	s_cbranch_vccnz .LBB2_127
; %bb.121:                              ;   in Loop: Header=BB2_57 Depth=2
	s_mov_b32 s16, -1
	s_and_saveexec_b32 s17, s13
	s_cbranch_execz .LBB2_123
; %bb.122:                              ;   in Loop: Header=BB2_57 Depth=2
	ds_read_b32 v9, v0 offset:720
	s_waitcnt lgkmcnt(0)
	v_and_b32_e32 v9, 15, v9
	v_cmp_eq_u32_e32 vcc_lo, 0, v9
	s_orn2_b32 s16, vcc_lo, exec_lo
.LBB2_123:                              ;   in Loop: Header=BB2_57 Depth=2
	s_or_b32 exec_lo, exec_lo, s17
	s_and_saveexec_b32 s17, s14
	s_cbranch_execz .LBB2_125
; %bb.124:                              ;   in Loop: Header=BB2_57 Depth=2
	ds_read_b32 v9, v0 offset:784
	s_waitcnt lgkmcnt(0)
	v_and_b32_e32 v9, 15, v9
	v_cmp_eq_u32_e32 vcc_lo, 0, v9
	s_and_b32 s23, s16, vcc_lo
	s_andn2_b32 s16, s16, exec_lo
	s_and_b32 s23, s23, exec_lo
	s_or_b32 s16, s16, s23
.LBB2_125:                              ;   in Loop: Header=BB2_57 Depth=2
	s_or_b32 exec_lo, exec_lo, s17
	v_cmp_eq_u32_e32 vcc_lo, 0, v3
	s_xor_b32 s16, s16, -1
	v_mov_b32_e32 v55, v0
	v_cndmask_b32_e64 v9, 0, 1, s16
	v_mov_b32_e32 v71, v42
	v_cndmask_b32_e32 v3, 0, v8, vcc_lo
	s_mov_b32 s16, -1
	v_cmp_ne_u32_e32 vcc_lo, 0, v9
	v_mov_b32_e32 v9, 0
	v_mov_b32_e32 v54, v3
	s_cbranch_vccz .LBB2_128
; %bb.126:                              ;   in Loop: Header=BB2_57 Depth=2
	s_and_saveexec_b32 s17, s16
	s_cbranch_execnz .LBB2_141
	s_branch .LBB2_149
.LBB2_127:                              ;   in Loop: Header=BB2_57 Depth=2
	s_mov_b32 s16, 0
	s_and_saveexec_b32 s17, s6
	s_cbranch_execnz .LBB2_150
	s_branch .LBB2_168
.LBB2_128:                              ;   in Loop: Header=BB2_57 Depth=2
	v_ashrrev_i32_e32 v9, 31, v3
	s_mov_b32 s17, exec_lo
	v_lshrrev_b32_e32 v9, 22, v9
	v_add_nc_u32_e32 v9, v3, v9
	v_ashrrev_i32_e32 v9, 10, v9
	v_sub_nc_u32_e32 v67, v9, v42
	v_cmpx_lt_i32_e32 0, v67
	s_cbranch_execz .LBB2_132
; %bb.129:                              ;   in Loop: Header=BB2_57 Depth=2
	v_mov_b32_e32 v55, v39
	v_mov_b32_e32 v54, v38
	s_mov_b32 s23, 0
	.p2align	6
.LBB2_130:                              ;   Parent Loop BB2_47 Depth=1
                                        ;     Parent Loop BB2_57 Depth=2
                                        ; =>    This Inner Loop Header: Depth=3
	v_add_co_u32 v80, vcc_lo, v12, v54
	v_add_co_ci_u32_e64 v81, null, v13, v55, vcc_lo
	v_sub_nc_u32_e32 v67, v67, v87
	v_add_co_u32 v60, vcc_lo, v14, v54
	s_clause 0x1
	global_load_dwordx4 v[68:71], v[80:81], off slc
	global_load_dwordx4 v[80:83], v[80:81], off offset:512 slc
	v_add_co_ci_u32_e64 v61, null, v15, v55, vcc_lo
	v_cmp_gt_i32_e32 vcc_lo, 1, v67
	v_add_co_u32 v54, s16, v54, v115
	v_add_co_ci_u32_e64 v55, null, 0, v55, s16
	s_or_b32 s23, vcc_lo, s23
	s_waitcnt vmcnt(1)
	global_store_dwordx4 v[60:61], v[68:71], off glc slc
	s_waitcnt vmcnt(0)
	global_store_dwordx4 v[60:61], v[80:83], off offset:512 glc slc
	s_andn2_b32 exec_lo, exec_lo, s23
	s_cbranch_execnz .LBB2_130
; %bb.131:                              ;   in Loop: Header=BB2_57 Depth=2
	s_or_b32 exec_lo, exec_lo, s23
.LBB2_132:                              ;   in Loop: Header=BB2_57 Depth=2
	s_or_b32 exec_lo, exec_lo, s17
	v_lshlrev_b32_e32 v66, 10, v9
	v_mov_b32_e32 v9, 0
	s_mov_b32 s16, 0
	s_mov_b32 s23, exec_lo
                                        ; implicit-def: $vgpr54
                                        ; implicit-def: $vgpr55
                                        ; implicit-def: $vgpr71
	v_cmpx_ne_u32_e64 v3, v66
	s_cbranch_execz .LBB2_140
; %bb.133:                              ;   in Loop: Header=BB2_57 Depth=2
	v_lshlrev_b32_e32 v9, 5, v67
	v_sub_nc_u32_e32 v55, v3, v66
	s_mov_b32 s61, exec_lo
	v_sub_nc_u32_e32 v9, v46, v9
	v_ashrrev_i32_e32 v67, 31, v55
	v_ashrrev_i32_e32 v54, 31, v9
	v_lshrrev_b32_e32 v67, 23, v67
	v_lshrrev_b32_e32 v54, 27, v54
	v_add_nc_u32_e32 v70, v55, v67
	v_add_nc_u32_e32 v54, v9, v54
	v_and_b32_e32 v67, 0xfffffe00, v70
	v_ashrrev_i32_e32 v70, 9, v70
	v_and_b32_e32 v68, 0xffffffe0, v54
	v_sub_nc_u32_e32 v69, v55, v67
	v_ashrrev_i32_e32 v71, 5, v54
	v_sub_nc_u32_e32 v68, v9, v68
	v_cmp_lt_i32_e32 vcc_lo, 15, v69
	v_lshlrev_b32_e32 v9, 4, v68
	v_add_co_ci_u32_e64 v70, null, 0, v70, vcc_lo
	v_lshl_add_u32 v54, v71, 9, v9
	v_sub_nc_u32_e32 v70, v70, v71
	v_sub_nc_u32_e32 v9, v55, v54
	v_cmpx_lt_i32_e32 15, v9
	s_cbranch_execz .LBB2_137
; %bb.134:                              ;   in Loop: Header=BB2_57 Depth=2
	v_add_nc_u32_e32 v54, v54, v66
	s_mov_b32 s62, 0
	v_ashrrev_i32_e32 v55, 31, v54
	.p2align	6
.LBB2_135:                              ;   Parent Loop BB2_47 Depth=1
                                        ;     Parent Loop BB2_57 Depth=2
                                        ; =>    This Inner Loop Header: Depth=3
	v_add_co_u32 v80, s16, v12, v54
	v_add_co_ci_u32_e64 v81, null, v13, v55, s16
	v_sub_nc_u32_e32 v9, v9, v116
	v_add_co_u32 v60, s16, v14, v54
	global_load_dwordx4 v[80:83], v[80:81], off slc
	v_add_co_ci_u32_e64 v61, null, v15, v55, s16
	v_cmp_gt_i32_e64 s16, 16, v9
	v_add_co_u32 v54, s17, v54, v116
	v_sub_nc_u32_e32 v70, v70, v87
	v_add_co_ci_u32_e64 v55, null, 0, v55, s17
	s_or_b32 s62, s16, s62
	s_waitcnt vmcnt(0)
	global_store_dwordx4 v[60:61], v[80:83], off glc slc
	s_andn2_b32 exec_lo, exec_lo, s62
	s_cbranch_execnz .LBB2_135
; %bb.136:                              ;   in Loop: Header=BB2_57 Depth=2
	s_or_b32 exec_lo, exec_lo, s62
.LBB2_137:                              ;   in Loop: Header=BB2_57 Depth=2
	s_or_b32 exec_lo, exec_lo, s61
	v_and_b32_e32 v80, 15, v3
	v_mov_b32_e32 v9, 0
	s_mov_b32 s17, 0
	s_mov_b32 s61, exec_lo
                                        ; implicit-def: $vgpr55
                                        ; implicit-def: $vgpr71
	v_cndmask_b32_e32 v54, v69, v80, vcc_lo
	v_cmpx_ne_u32_e32 0, v54
	s_cbranch_execz .LBB2_139
; %bb.138:                              ;   in Loop: Header=BB2_57 Depth=2
	v_cmp_lt_i32_e64 s16, 0, v70
	s_mov_b32 s17, exec_lo
	v_cndmask_b32_e64 v9, 0, v87, s16
	v_sub_nc_u32_e32 v9, v9, v70
	v_lshl_add_u32 v55, v9, 5, v68
	v_sub_nc_u32_e32 v68, v69, v80
	v_ashrrev_i32_e32 v9, 31, v55
	v_cndmask_b32_e32 v68, 0, v68, vcc_lo
	v_lshrrev_b32_e32 v9, 27, v9
	v_add_nc_u32_e32 v69, v55, v9
	v_add3_u32 v9, v67, v66, v68
	v_ashrrev_i32_e32 v71, 5, v69
.LBB2_139:                              ;   in Loop: Header=BB2_57 Depth=2
	s_or_b32 exec_lo, exec_lo, s61
	s_and_b32 s16, s17, exec_lo
.LBB2_140:                              ;   in Loop: Header=BB2_57 Depth=2
	s_or_b32 exec_lo, exec_lo, s23
	s_and_saveexec_b32 s17, s16
	s_cbranch_execz .LBB2_149
.LBB2_141:                              ;   in Loop: Header=BB2_57 Depth=2
	v_ashrrev_i32_e32 v66, 31, v54
	v_ashrrev_i32_e32 v67, 31, v55
	s_mov_b32 s16, exec_lo
	v_add_nc_u32_sdwa v66, v54, v66 dst_sel:DWORD dst_unused:UNUSED_PAD src0_sel:DWORD src1_sel:BYTE_3
	v_lshrrev_b32_e32 v67, 27, v67
	v_ashrrev_i32_e32 v68, 8, v66
	v_sub_nc_u32_e32 v66, v68, v71
	v_cmpx_lt_i32_e32 0, v66
	s_cbranch_execz .LBB2_145
; %bb.142:                              ;   in Loop: Header=BB2_57 Depth=2
	v_add_nc_u32_e32 v69, v55, v67
	v_lshlrev_b32_e32 v70, 8, v71
	s_mov_b32 s23, 0
	v_and_b32_e32 v69, 0xffffffe0, v69
	v_sub_nc_u32_e32 v69, v55, v69
	v_add3_u32 v69, v9, v69, v70
	v_ashrrev_i32_e32 v70, 31, v69
.LBB2_143:                              ;   Parent Loop BB2_47 Depth=1
                                        ;     Parent Loop BB2_57 Depth=2
                                        ; =>    This Inner Loop Header: Depth=3
	v_add_co_u32 v80, vcc_lo, v69, v12
	v_add_co_ci_u32_e64 v81, null, v70, v13, vcc_lo
	v_sub_nc_u32_e32 v66, v66, v87
	s_clause 0x7
	flat_load_ubyte v71, v[80:81] slc
	flat_load_ubyte v82, v[80:81] offset:32 slc
	flat_load_ubyte v83, v[80:81] offset:64 slc
	;; [unrolled: 1-line block ×7, first 2 shown]
	v_add_co_u32 v80, vcc_lo, v69, v14
	v_add_co_ci_u32_e64 v81, null, v70, v15, vcc_lo
	v_add_co_u32 v12, vcc_lo, v12, v117
	v_add_co_ci_u32_e64 v13, null, 0, v13, vcc_lo
	;; [unrolled: 2-line block ×3, first 2 shown]
	v_cmp_gt_i32_e32 vcc_lo, 1, v66
	s_waitcnt vmcnt(7) lgkmcnt(7)
	flat_store_byte v[80:81], v71 glc slc
	s_waitcnt vmcnt(6) lgkmcnt(7)
	flat_store_byte v[80:81], v82 offset:32 glc slc
	s_waitcnt vmcnt(5) lgkmcnt(7)
	flat_store_byte v[80:81], v83 offset:64 glc slc
	;; [unrolled: 2-line block ×7, first 2 shown]
	s_or_b32 s23, vcc_lo, s23
	s_andn2_b32 exec_lo, exec_lo, s23
	s_cbranch_execnz .LBB2_143
; %bb.144:                              ;   in Loop: Header=BB2_57 Depth=2
	s_or_b32 exec_lo, exec_lo, s23
.LBB2_145:                              ;   in Loop: Header=BB2_57 Depth=2
	s_or_b32 exec_lo, exec_lo, s16
	v_lshlrev_b32_e32 v12, 8, v68
	v_cmp_ne_u32_e32 vcc_lo, v54, v12
	s_and_b32 exec_lo, exec_lo, vcc_lo
	s_cbranch_execz .LBB2_149
; %bb.146:                              ;   in Loop: Header=BB2_57 Depth=2
	v_add_nc_u32_e32 v13, v55, v67
	v_lshlrev_b32_e32 v14, 5, v66
	v_and_b32_e32 v13, 0xffffffe0, v13
	v_sub_nc_u32_e32 v13, v55, v13
	v_sub_nc_u32_e32 v13, v13, v14
	v_add_nc_u32_e32 v15, v12, v13
	v_sub_nc_u32_e32 v14, v54, v15
	v_cmp_lt_i32_e32 vcc_lo, 0, v14
	s_and_b32 exec_lo, exec_lo, vcc_lo
	s_cbranch_execz .LBB2_149
; %bb.147:                              ;   in Loop: Header=BB2_57 Depth=2
	s_trap 2
	ds_read_b64 v[12:13], v0
	v_add_nc_u32_e32 v9, v15, v9
	s_mov_b32 s23, 0
	v_ashrrev_i32_e32 v15, 31, v9
	.p2align	6
.LBB2_148:                              ;   Parent Loop BB2_47 Depth=1
                                        ;     Parent Loop BB2_57 Depth=2
                                        ; =>    This Inner Loop Header: Depth=3
	s_waitcnt lgkmcnt(0)
	v_add_co_u32 v54, vcc_lo, v12, v9
	v_add_co_ci_u32_e64 v55, null, v13, v15, vcc_lo
	v_sub_nc_u32_e32 v14, v14, v96
	v_add_co_u32 v9, s16, v9, v96
	flat_load_ubyte v66, v[54:55] slc
	v_add_co_ci_u32_e64 v15, null, 0, v15, s16
	v_cmp_gt_i32_e32 vcc_lo, 1, v14
	s_or_b32 s23, vcc_lo, s23
	s_waitcnt vmcnt(0) lgkmcnt(0)
	flat_store_byte v[54:55], v66 glc slc
	s_andn2_b32 exec_lo, exec_lo, s23
	s_cbranch_execnz .LBB2_148
.LBB2_149:                              ;   in Loop: Header=BB2_57 Depth=2
	s_or_b32 exec_lo, exec_lo, s17
	v_cmp_lt_i32_e64 s16, 0, v3
	s_and_saveexec_b32 s17, s6
	s_cbranch_execz .LBB2_168
.LBB2_150:                              ;   in Loop: Header=BB2_57 Depth=2
	s_and_saveexec_b32 s23, s29
	s_xor_b32 s23, exec_lo, s23
	s_cbranch_execz .LBB2_165
; %bb.151:                              ;   in Loop: Header=BB2_57 Depth=2
	s_and_saveexec_b32 s61, s11
	s_cbranch_execz .LBB2_164
; %bb.152:                              ;   in Loop: Header=BB2_57 Depth=2
	s_mov_b32 s63, exec_lo
	s_mov_b32 s62, exec_lo
	v_mbcnt_lo_u32_b32 v3, s63, 0
	s_waitcnt vmcnt(0) lgkmcnt(0)
	s_waitcnt_vscnt null, 0x0
	buffer_gl1_inv
	buffer_gl0_inv
	v_cmpx_eq_u32_e32 0, v3
	s_cbranch_execz .LBB2_154
; %bb.153:                              ;   in Loop: Header=BB2_57 Depth=2
	s_bcnt1_i32_b32 s63, s63
	v_mov_b32_e32 v13, v2
	v_mov_b32_e32 v12, s63
	ds_add_u64 v0, v[12:13]
	s_trap 2
.LBB2_154:                              ;   in Loop: Header=BB2_57 Depth=2
	s_or_b32 exec_lo, exec_lo, s62
	s_trap 2
	ds_read_b64 v[12:13], v0
	s_waitcnt lgkmcnt(0)
	buffer_gl0_inv
	v_add_co_u32 v28, vcc_lo, v28, v87
	v_add_co_ci_u32_e64 v29, null, 0, v29, vcc_lo
	s_mov_b32 s62, exec_lo
	v_cmpx_lt_u64_e64 v[12:13], v[28:29]
	s_cbranch_execz .LBB2_163
; %bb.155:                              ;   in Loop: Header=BB2_57 Depth=2
	s_mov_b32 s63, 0
	s_mov_b32 s74, 0
                                        ; implicit-def: $sgpr72
                                        ; implicit-def: $sgpr73
	s_inst_prefetch 0x1
	s_branch .LBB2_157
	.p2align	6
.LBB2_156:                              ;   in Loop: Header=BB2_157 Depth=3
	s_or_b32 exec_lo, exec_lo, s76
	s_and_b32 s75, exec_lo, s77
	s_or_b32 s63, s75, s63
	s_andn2_b32 s72, s72, exec_lo
	s_and_b32 s75, s73, exec_lo
	s_or_b32 s72, s72, s75
	s_andn2_b32 exec_lo, exec_lo, s63
	s_cbranch_execz .LBB2_161
.LBB2_157:                              ;   Parent Loop BB2_47 Depth=1
                                        ;     Parent Loop BB2_57 Depth=2
                                        ; =>    This Inner Loop Header: Depth=3
	s_add_i32 s74, s74, 1
	s_cmpk_lg_i32 s74, 0x2710
	s_cselect_b32 s75, -1, 0
	s_and_b32 vcc_lo, exec_lo, s75
	s_cbranch_vccz .LBB2_159
; %bb.158:                              ;   in Loop: Header=BB2_157 Depth=3
	s_mov_b32 s77, -1
	s_or_b32 s73, s73, exec_lo
	s_and_saveexec_b32 s76, s75
	s_cbranch_execz .LBB2_156
	s_branch .LBB2_160
	.p2align	6
.LBB2_159:                              ;   in Loop: Header=BB2_157 Depth=3
	s_trap 2
	ds_read_b64 v[12:13], v0
	s_andn2_b32 s75, s75, exec_lo
	s_mov_b32 s74, 0
	s_waitcnt lgkmcnt(0)
	flat_load_dword v3, v[12:13] glc dlc
	s_waitcnt vmcnt(0) lgkmcnt(0)
	buffer_gl1_inv
	buffer_gl0_inv
	v_cmp_eq_u32_e32 vcc_lo, 0, v3
	s_and_b32 s76, vcc_lo, exec_lo
	s_or_b32 s75, s75, s76
	s_mov_b32 s77, -1
	s_or_b32 s73, s73, exec_lo
	s_and_saveexec_b32 s76, s75
	s_cbranch_execz .LBB2_156
.LBB2_160:                              ;   in Loop: Header=BB2_157 Depth=3
	s_sleep 1
	s_trap 2
	ds_read_b64 v[12:13], v0
	s_waitcnt lgkmcnt(0)
	buffer_gl0_inv
	s_andn2_b32 s73, s73, exec_lo
	v_cmp_ge_u64_e32 vcc_lo, v[12:13], v[28:29]
	s_orn2_b32 s77, vcc_lo, exec_lo
	s_branch .LBB2_156
.LBB2_161:                              ;   in Loop: Header=BB2_57 Depth=2
	s_inst_prefetch 0x2
	s_or_b32 exec_lo, exec_lo, s63
	s_and_saveexec_b32 s63, s72
	s_xor_b32 s63, exec_lo, s63
	s_cbranch_execz .LBB2_163
; %bb.162:                              ;   in Loop: Header=BB2_57 Depth=2
	ds_write_b32 v0, v98
	s_trap 2
.LBB2_163:                              ;   in Loop: Header=BB2_57 Depth=2
	s_or_b32 exec_lo, exec_lo, s62
	;;#ASMSTART
	s_wakeup
	;;#ASMEND
.LBB2_164:                              ;   in Loop: Header=BB2_57 Depth=2
	s_or_b32 exec_lo, exec_lo, s61
.LBB2_165:                              ;   in Loop: Header=BB2_57 Depth=2
	s_andn2_saveexec_b32 s23, s23
	s_cbranch_execz .LBB2_167
; %bb.166:                              ;   in Loop: Header=BB2_57 Depth=2
	s_waitcnt vmcnt(0) lgkmcnt(0)
	s_waitcnt_vscnt null, 0x0
	buffer_gl1_inv
	buffer_gl0_inv
	s_barrier
.LBB2_167:                              ;   in Loop: Header=BB2_57 Depth=2
	s_or_b32 exec_lo, exec_lo, s23
.LBB2_168:                              ;   in Loop: Header=BB2_57 Depth=2
	s_or_b32 exec_lo, exec_lo, s17
	v_and_b32_e32 v3, 16, v84
	s_and_saveexec_b32 s17, s12
	s_xor_b32 s17, exec_lo, s17
	s_cbranch_execz .LBB2_172
; %bb.169:                              ;   in Loop: Header=BB2_57 Depth=2
	v_and_b32_e32 v3, 16, v84
	v_cmp_ne_u32_e32 vcc_lo, 0, v3
	v_and_b32_e32 v3, 16, v84
	s_and_b32 s23, vcc_lo, s16
	s_and_saveexec_b32 s16, s23
	s_cbranch_execz .LBB2_171
; %bb.170:                              ;   in Loop: Header=BB2_57 Depth=2
	v_mov_b32_e32 v3, 1
	s_waitcnt vmcnt(0) lgkmcnt(0)
	s_waitcnt_vscnt null, 0x0
	buffer_gl1_inv
	buffer_gl0_inv
.LBB2_171:                              ;   in Loop: Header=BB2_57 Depth=2
	s_or_b32 exec_lo, exec_lo, s16
.LBB2_172:                              ;   in Loop: Header=BB2_57 Depth=2
	s_andn2_saveexec_b32 s16, s17
	s_cbranch_execz .LBB2_191
; %bb.173:                              ;   in Loop: Header=BB2_57 Depth=2
	s_and_saveexec_b32 s17, s29
	s_xor_b32 s17, exec_lo, s17
	s_cbranch_execz .LBB2_188
; %bb.174:                              ;   in Loop: Header=BB2_57 Depth=2
	s_and_saveexec_b32 s23, s11
	s_cbranch_execz .LBB2_187
; %bb.175:                              ;   in Loop: Header=BB2_57 Depth=2
	s_mov_b32 s62, exec_lo
	s_mov_b32 s61, exec_lo
	v_mbcnt_lo_u32_b32 v9, s62, 0
	;;#ASMSTART
	s_waitcnt lgkmcnt(0) vmcnt(0)
	;;#ASMEND
	v_cmpx_eq_u32_e32 0, v9
	s_cbranch_execz .LBB2_177
; %bb.176:                              ;   in Loop: Header=BB2_57 Depth=2
	s_bcnt1_i32_b32 s62, s62
	v_mov_b32_e32 v13, v2
	v_mov_b32_e32 v12, s62
	s_waitcnt vmcnt(0) lgkmcnt(0)
	s_waitcnt_vscnt null, 0x0
	ds_add_u64 v0, v[12:13]
	s_trap 2
.LBB2_177:                              ;   in Loop: Header=BB2_57 Depth=2
	s_or_b32 exec_lo, exec_lo, s61
	s_trap 2
	ds_read_b64 v[12:13], v0
	s_waitcnt vmcnt(0) lgkmcnt(0)
	buffer_gl0_inv
	v_add_co_u32 v28, vcc_lo, v28, v87
	v_add_co_ci_u32_e64 v29, null, 0, v29, vcc_lo
	s_mov_b32 s61, exec_lo
	v_cmpx_lt_u64_e64 v[12:13], v[28:29]
	s_cbranch_execz .LBB2_186
; %bb.178:                              ;   in Loop: Header=BB2_57 Depth=2
	s_mov_b32 s62, 0
	s_mov_b32 s73, 0
                                        ; implicit-def: $sgpr63
                                        ; implicit-def: $sgpr72
	s_inst_prefetch 0x1
	s_branch .LBB2_180
	.p2align	6
.LBB2_179:                              ;   in Loop: Header=BB2_180 Depth=3
	s_or_b32 exec_lo, exec_lo, s75
	s_and_b32 s74, exec_lo, s76
	s_or_b32 s62, s74, s62
	s_andn2_b32 s63, s63, exec_lo
	s_and_b32 s74, s72, exec_lo
	s_or_b32 s63, s63, s74
	s_andn2_b32 exec_lo, exec_lo, s62
	s_cbranch_execz .LBB2_184
.LBB2_180:                              ;   Parent Loop BB2_47 Depth=1
                                        ;     Parent Loop BB2_57 Depth=2
                                        ; =>    This Inner Loop Header: Depth=3
	s_add_i32 s73, s73, 1
	s_cmpk_lg_i32 s73, 0x2710
	s_cselect_b32 s74, -1, 0
	s_and_b32 vcc_lo, exec_lo, s74
	s_cbranch_vccz .LBB2_182
; %bb.181:                              ;   in Loop: Header=BB2_180 Depth=3
	s_mov_b32 s76, -1
	s_or_b32 s72, s72, exec_lo
	s_and_saveexec_b32 s75, s74
	s_cbranch_execz .LBB2_179
	s_branch .LBB2_183
	.p2align	6
.LBB2_182:                              ;   in Loop: Header=BB2_180 Depth=3
	s_trap 2
	ds_read_b64 v[12:13], v0
	s_andn2_b32 s74, s74, exec_lo
	s_mov_b32 s73, 0
	s_waitcnt lgkmcnt(0)
	s_waitcnt_vscnt null, 0x0
	flat_load_dword v9, v[12:13] glc dlc
	s_waitcnt vmcnt(0) lgkmcnt(0)
	buffer_gl1_inv
	buffer_gl0_inv
	v_cmp_eq_u32_e32 vcc_lo, 0, v9
	s_and_b32 s75, vcc_lo, exec_lo
	s_or_b32 s74, s74, s75
	s_mov_b32 s76, -1
	s_or_b32 s72, s72, exec_lo
	s_and_saveexec_b32 s75, s74
	s_cbranch_execz .LBB2_179
.LBB2_183:                              ;   in Loop: Header=BB2_180 Depth=3
	s_sleep 1
	s_trap 2
	ds_read_b64 v[12:13], v0
	s_waitcnt lgkmcnt(0)
	buffer_gl0_inv
	s_andn2_b32 s72, s72, exec_lo
	v_cmp_ge_u64_e32 vcc_lo, v[12:13], v[28:29]
	s_orn2_b32 s76, vcc_lo, exec_lo
	s_branch .LBB2_179
.LBB2_184:                              ;   in Loop: Header=BB2_57 Depth=2
	s_inst_prefetch 0x2
	s_or_b32 exec_lo, exec_lo, s62
	s_and_saveexec_b32 s62, s63
	s_xor_b32 s62, exec_lo, s62
	s_cbranch_execz .LBB2_186
; %bb.185:                              ;   in Loop: Header=BB2_57 Depth=2
	ds_write_b32 v0, v98
	s_trap 2
.LBB2_186:                              ;   in Loop: Header=BB2_57 Depth=2
	s_or_b32 exec_lo, exec_lo, s61
	;;#ASMSTART
	s_wakeup
	;;#ASMEND
.LBB2_187:                              ;   in Loop: Header=BB2_57 Depth=2
	s_or_b32 exec_lo, exec_lo, s23
.LBB2_188:                              ;   in Loop: Header=BB2_57 Depth=2
	s_andn2_saveexec_b32 s17, s17
	s_cbranch_execz .LBB2_190
; %bb.189:                              ;   in Loop: Header=BB2_57 Depth=2
	;;#ASMSTART
	s_waitcnt lgkmcnt(0) vmcnt(0)
	;;#ASMEND
	s_barrier
.LBB2_190:                              ;   in Loop: Header=BB2_57 Depth=2
	s_or_b32 exec_lo, exec_lo, s17
.LBB2_191:                              ;   in Loop: Header=BB2_57 Depth=2
	s_or_b32 exec_lo, exec_lo, s16
	s_mov_b32 s16, exec_lo
	v_cmpx_ne_u32_e32 0, v3
	s_cbranch_execz .LBB2_56
; %bb.192:                              ;   in Loop: Header=BB2_57 Depth=2
	s_and_saveexec_b32 s17, s10
	s_cbranch_execz .LBB2_55
; %bb.193:                              ;   in Loop: Header=BB2_57 Depth=2
	s_waitcnt vmcnt(0) lgkmcnt(0)
	s_waitcnt_vscnt null, 0x0
	flat_store_dword v[26:27], v98
	s_branch .LBB2_55
.LBB2_194:                              ;   in Loop: Header=BB2_47 Depth=1
	s_or_b32 exec_lo, exec_lo, s19
.LBB2_195:                              ;   in Loop: Header=BB2_47 Depth=1
	s_or_b32 exec_lo, exec_lo, s18
	s_mov_b32 s17, exec_lo
	v_cmpx_gt_i32_e32 2, v3
	s_cbranch_execz .LBB2_267
; %bb.196:                              ;   in Loop: Header=BB2_47 Depth=1
	v_cmp_eq_u32_e64 s19, 0, v3
	s_mov_b32 s18, 0
	s_branch .LBB2_199
.LBB2_197:                              ;   in Loop: Header=BB2_199 Depth=2
	s_or_b32 exec_lo, exec_lo, s19
	v_add_co_u32 v50, vcc_lo, v50, 2
	v_add_co_ci_u32_e64 v51, null, 0, v51, vcc_lo
	s_waitcnt vmcnt(0) lgkmcnt(0)
	s_waitcnt_vscnt null, 0x0
	flat_store_dwordx2 v[22:23], v[50:51]
.LBB2_198:                              ;   in Loop: Header=BB2_199 Depth=2
	s_or_b32 exec_lo, exec_lo, s16
	v_add_nc_u32_e32 v65, v8, v65
	s_mov_b32 s19, 0
	s_andn2_b32 exec_lo, exec_lo, s18
	s_cbranch_execz .LBB2_266
.LBB2_199:                              ;   Parent Loop BB2_47 Depth=1
                                        ; =>  This Loop Header: Depth=2
                                        ;       Child Loop BB2_205 Depth 3
                                        ;       Child Loop BB2_229 Depth 3
                                        ;       Child Loop BB2_252 Depth 3
	v_sub_nc_u32_e32 v3, v64, v65
	v_and_b32_e32 v9, 8, v84
	s_mov_b32 s21, exec_lo
	v_min_i32_e32 v8, v8, v3
	v_cmpx_ne_u32_e32 0, v9
	s_cbranch_execz .LBB2_221
; %bb.200:                              ;   in Loop: Header=BB2_199 Depth=2
	s_waitcnt vmcnt(0) lgkmcnt(1)
	v_add_co_u32 v12, vcc_lo, v32, 8
	v_add_co_ci_u32_e64 v13, null, 0, v33, vcc_lo
	v_add_co_u32 v10, vcc_lo, v50, 2
	v_add_co_ci_u32_e64 v11, null, 0, v51, vcc_lo
	s_mov_b32 s22, exec_lo
	v_cmpx_lt_u64_e64 v[12:13], v[10:11]
	s_cbranch_execz .LBB2_212
; %bb.201:                              ;   in Loop: Header=BB2_199 Depth=2
	v_and_b32_e32 v3, 64, v84
	s_mov_b32 s23, 0
	s_mov_b32 s72, 0
                                        ; implicit-def: $sgpr61
                                        ; implicit-def: $sgpr62
                                        ; implicit-def: $sgpr63
	v_cmp_eq_u32_e32 vcc_lo, 0, v3
	s_branch .LBB2_205
.LBB2_202:                              ;   in Loop: Header=BB2_205 Depth=3
	s_waitcnt vmcnt(0) lgkmcnt(0)
	v_add_co_u32 v12, s16, v32, 8
	v_add_co_ci_u32_e64 v13, null, 0, v33, s16
	s_or_b32 s75, s75, exec_lo
	v_cmp_ge_u64_e64 s16, v[12:13], v[10:11]
	s_orn2_b32 s74, s16, exec_lo
.LBB2_203:                              ;   in Loop: Header=BB2_205 Depth=3
	s_or_b32 exec_lo, exec_lo, s77
	s_andn2_b32 s16, s63, exec_lo
	s_and_b32 s63, s75, exec_lo
	s_andn2_b32 s62, s62, exec_lo
	s_and_b32 s74, s74, exec_lo
	s_or_b32 s63, s16, s63
	s_or_b32 s62, s62, s74
.LBB2_204:                              ;   in Loop: Header=BB2_205 Depth=3
	s_or_b32 exec_lo, exec_lo, s73
	s_and_b32 s16, exec_lo, s62
	s_or_b32 s23, s16, s23
	s_andn2_b32 s16, s61, exec_lo
	s_and_b32 s61, s63, exec_lo
	s_or_b32 s61, s16, s61
	s_andn2_b32 exec_lo, exec_lo, s23
	s_cbranch_execz .LBB2_209
.LBB2_205:                              ;   Parent Loop BB2_47 Depth=1
                                        ;     Parent Loop BB2_199 Depth=2
                                        ; =>    This Inner Loop Header: Depth=3
	s_sleep 1
	s_waitcnt vmcnt(0) lgkmcnt(0)
	flat_load_dwordx2 v[32:33], v[22:23] glc dlc
	s_or_b32 s63, s63, exec_lo
	s_or_b32 s62, s62, exec_lo
                                        ; implicit-def: $vgpr3
	s_and_saveexec_b32 s73, vcc_lo
	s_cbranch_execz .LBB2_204
; %bb.206:                              ;   in Loop: Header=BB2_205 Depth=3
	s_cmpk_lt_i32 s72, 0x270f
	s_mov_b32 s74, -1
	s_cselect_b32 s76, -1, 0
	s_cmpk_gt_i32 s72, 0x270e
	s_cbranch_scc0 .LBB2_208
; %bb.207:                              ;   in Loop: Header=BB2_205 Depth=3
	s_trap 2
	ds_read_b64 v[12:13], v0
	s_andn2_b32 s72, s76, exec_lo
	s_mov_b32 s75, 0
	s_waitcnt vmcnt(0) lgkmcnt(0)
	s_waitcnt_vscnt null, 0x0
	flat_load_dword v3, v[12:13] glc dlc
	s_waitcnt vmcnt(0) lgkmcnt(0)
	buffer_gl1_inv
	buffer_gl0_inv
	v_cmp_eq_u32_e64 s16, 0, v3
	s_and_b32 s16, s16, exec_lo
	s_or_b32 s76, s72, s16
	s_mov_b32 s72, 0
	s_and_saveexec_b32 s77, s76
	s_cbranch_execz .LBB2_203
	s_branch .LBB2_202
.LBB2_208:                              ;   in Loop: Header=BB2_205 Depth=3
	s_add_i32 s72, s72, 1
	s_mov_b32 s75, -1
                                        ; implicit-def: $vgpr3
	s_and_saveexec_b32 s77, s76
	s_cbranch_execz .LBB2_203
	s_branch .LBB2_202
.LBB2_209:                              ;   in Loop: Header=BB2_199 Depth=2
	s_or_b32 exec_lo, exec_lo, s23
	s_xor_b32 s16, s61, -1
	s_and_saveexec_b32 s23, s16
	s_xor_b32 s16, exec_lo, s23
	s_cbranch_execz .LBB2_211
; %bb.210:                              ;   in Loop: Header=BB2_199 Depth=2
	v_or_b32_e32 v84, 64, v84
	s_waitcnt vmcnt(0) lgkmcnt(0)
	s_waitcnt_vscnt null, 0x0
	ds_write_b32 v0, v3
	s_trap 2
.LBB2_211:                              ;   in Loop: Header=BB2_199 Depth=2
	s_or_b32 exec_lo, exec_lo, s16
.LBB2_212:                              ;   in Loop: Header=BB2_199 Depth=2
	s_or_b32 exec_lo, exec_lo, s22
	v_and_b32_e32 v3, 0x100, v84
	s_mov_b32 s16, -1
	;;#ASMSTART
	s_wakeup
	;;#ASMEND
                                        ; implicit-def: $vgpr12_vgpr13
	v_cmp_ne_u32_e32 vcc_lo, 0, v3
	v_and_b32_e32 v3, 7, v50
	s_and_saveexec_b32 s22, vcc_lo
	s_cbranch_execz .LBB2_216
; %bb.213:                              ;   in Loop: Header=BB2_199 Depth=2
	v_mad_u64_u32 v[14:15], null, v3, 24, v[6:7]
	v_ashrrev_i32_e32 v9, 31, v8
	flat_load_dword v12, v[14:15]
	flat_store_dwordx2 v[14:15], v[8:9] offset:8
	s_waitcnt vmcnt(0) lgkmcnt(1)
	v_cmp_eq_u32_e64 s16, 1, v12
	v_cmp_ne_u32_e32 vcc_lo, 1, v12
                                        ; implicit-def: $vgpr12_vgpr13
	s_and_saveexec_b32 s23, s16
	s_cbranch_execz .LBB2_215
; %bb.214:                              ;   in Loop: Header=BB2_199 Depth=2
	flat_load_dword v12, v[14:15] offset:4 glc dlc
	s_waitcnt vmcnt(0) lgkmcnt(0)
	v_ashrrev_i32_e32 v13, 31, v12
.LBB2_215:                              ;   in Loop: Header=BB2_199 Depth=2
	s_or_b32 exec_lo, exec_lo, s23
	s_orn2_b32 s16, vcc_lo, exec_lo
.LBB2_216:                              ;   in Loop: Header=BB2_199 Depth=2
	s_or_b32 exec_lo, exec_lo, s22
	s_and_saveexec_b32 s22, s16
; %bb.217:                              ;   in Loop: Header=BB2_199 Depth=2
	v_mad_i64_i32 v[12:13], null, v3, v85, 0
; %bb.218:                              ;   in Loop: Header=BB2_199 Depth=2
	s_or_b32 exec_lo, exec_lo, s22
	v_add_co_u32 v12, vcc_lo, v24, v12
	v_and_b32_e32 v3, 0x2000, v84
	v_add_co_ci_u32_e64 v13, null, v25, v13, vcc_lo
	s_mov_b32 s16, exec_lo
	ds_write_b64 v0, v[12:13] offset:784
	v_cmpx_ne_u32_e32 0, v3
	s_cbranch_execz .LBB2_220
; %bb.219:                              ;   in Loop: Header=BB2_199 Depth=2
	ds_read_b64 v[12:13], v0 offset:872
	s_waitcnt lgkmcnt(0)
	v_add_co_u32 v12, vcc_lo, v12, 1
	v_add_co_ci_u32_e64 v13, null, 0, v13, vcc_lo
	ds_write_b64 v0, v[12:13] offset:872
.LBB2_220:                              ;   in Loop: Header=BB2_199 Depth=2
	s_or_b32 exec_lo, exec_lo, s16
	v_mov_b32_e32 v51, v11
	v_mov_b32_e32 v50, v10
.LBB2_221:                              ;   in Loop: Header=BB2_199 Depth=2
	s_or_b32 exec_lo, exec_lo, s21
	s_xor_b32 s16, s19, -1
	s_and_b32 s16, exec_lo, s16
	s_or_b32 s18, s16, s18
	s_and_saveexec_b32 s16, s6
	s_cbranch_execz .LBB2_240
; %bb.222:                              ;   in Loop: Header=BB2_199 Depth=2
	s_and_saveexec_b32 s19, s29
	s_xor_b32 s19, exec_lo, s19
	s_cbranch_execz .LBB2_237
; %bb.223:                              ;   in Loop: Header=BB2_199 Depth=2
	s_and_saveexec_b32 s21, s11
	s_cbranch_execz .LBB2_236
; %bb.224:                              ;   in Loop: Header=BB2_199 Depth=2
	s_mov_b32 s23, exec_lo
	s_mov_b32 s22, exec_lo
	v_mbcnt_lo_u32_b32 v3, s23, 0
	s_waitcnt vmcnt(0) lgkmcnt(0)
	s_waitcnt_vscnt null, 0x0
	buffer_gl1_inv
	buffer_gl0_inv
	v_cmpx_eq_u32_e32 0, v3
	s_cbranch_execz .LBB2_226
; %bb.225:                              ;   in Loop: Header=BB2_199 Depth=2
	s_bcnt1_i32_b32 s23, s23
	v_mov_b32_e32 v10, v2
	v_mov_b32_e32 v9, s23
	ds_add_u64 v0, v[9:10]
	s_trap 2
.LBB2_226:                              ;   in Loop: Header=BB2_199 Depth=2
	s_or_b32 exec_lo, exec_lo, s22
	s_trap 2
	ds_read_b64 v[9:10], v0
	s_waitcnt lgkmcnt(0)
	buffer_gl0_inv
	v_add_co_u32 v28, vcc_lo, v28, v87
	v_add_co_ci_u32_e64 v29, null, 0, v29, vcc_lo
	s_mov_b32 s22, exec_lo
	v_cmpx_lt_u64_e64 v[9:10], v[28:29]
	s_cbranch_execz .LBB2_235
; %bb.227:                              ;   in Loop: Header=BB2_199 Depth=2
	s_mov_b32 s23, 0
	s_mov_b32 s63, 0
                                        ; implicit-def: $sgpr61
                                        ; implicit-def: $sgpr62
	s_inst_prefetch 0x1
	s_branch .LBB2_229
	.p2align	6
.LBB2_228:                              ;   in Loop: Header=BB2_229 Depth=3
	s_or_b32 exec_lo, exec_lo, s73
	s_and_b32 s72, exec_lo, s74
	s_or_b32 s23, s72, s23
	s_andn2_b32 s61, s61, exec_lo
	s_and_b32 s72, s62, exec_lo
	s_or_b32 s61, s61, s72
	s_andn2_b32 exec_lo, exec_lo, s23
	s_cbranch_execz .LBB2_233
.LBB2_229:                              ;   Parent Loop BB2_47 Depth=1
                                        ;     Parent Loop BB2_199 Depth=2
                                        ; =>    This Inner Loop Header: Depth=3
	s_add_i32 s63, s63, 1
	s_cmpk_lg_i32 s63, 0x2710
	s_cselect_b32 s72, -1, 0
	s_and_b32 vcc_lo, exec_lo, s72
	s_cbranch_vccz .LBB2_231
; %bb.230:                              ;   in Loop: Header=BB2_229 Depth=3
	s_mov_b32 s74, -1
	s_or_b32 s62, s62, exec_lo
	s_and_saveexec_b32 s73, s72
	s_cbranch_execz .LBB2_228
	s_branch .LBB2_232
	.p2align	6
.LBB2_231:                              ;   in Loop: Header=BB2_229 Depth=3
	s_trap 2
	ds_read_b64 v[9:10], v0
	s_andn2_b32 s72, s72, exec_lo
	s_mov_b32 s63, 0
	s_waitcnt lgkmcnt(0)
	flat_load_dword v3, v[9:10] glc dlc
	s_waitcnt vmcnt(0) lgkmcnt(0)
	buffer_gl1_inv
	buffer_gl0_inv
	v_cmp_eq_u32_e32 vcc_lo, 0, v3
	s_and_b32 s73, vcc_lo, exec_lo
	s_or_b32 s72, s72, s73
	s_mov_b32 s74, -1
	s_or_b32 s62, s62, exec_lo
	s_and_saveexec_b32 s73, s72
	s_cbranch_execz .LBB2_228
.LBB2_232:                              ;   in Loop: Header=BB2_229 Depth=3
	s_sleep 1
	s_trap 2
	ds_read_b64 v[9:10], v0
	s_waitcnt lgkmcnt(0)
	buffer_gl0_inv
	s_andn2_b32 s62, s62, exec_lo
	v_cmp_ge_u64_e32 vcc_lo, v[9:10], v[28:29]
	s_orn2_b32 s74, vcc_lo, exec_lo
	s_branch .LBB2_228
.LBB2_233:                              ;   in Loop: Header=BB2_199 Depth=2
	s_inst_prefetch 0x2
	s_or_b32 exec_lo, exec_lo, s23
	s_and_saveexec_b32 s23, s61
	s_xor_b32 s23, exec_lo, s23
	s_cbranch_execz .LBB2_235
; %bb.234:                              ;   in Loop: Header=BB2_199 Depth=2
	ds_write_b32 v0, v98
	s_trap 2
.LBB2_235:                              ;   in Loop: Header=BB2_199 Depth=2
	s_or_b32 exec_lo, exec_lo, s22
	;;#ASMSTART
	s_wakeup
	;;#ASMEND
.LBB2_236:                              ;   in Loop: Header=BB2_199 Depth=2
	s_or_b32 exec_lo, exec_lo, s21
.LBB2_237:                              ;   in Loop: Header=BB2_199 Depth=2
	s_andn2_saveexec_b32 s19, s19
	s_cbranch_execz .LBB2_239
; %bb.238:                              ;   in Loop: Header=BB2_199 Depth=2
	s_waitcnt vmcnt(0) lgkmcnt(0)
	s_waitcnt_vscnt null, 0x0
	buffer_gl1_inv
	buffer_gl0_inv
	s_barrier
.LBB2_239:                              ;   in Loop: Header=BB2_199 Depth=2
	s_or_b32 exec_lo, exec_lo, s19
.LBB2_240:                              ;   in Loop: Header=BB2_199 Depth=2
	s_or_b32 exec_lo, exec_lo, s16
	v_and_b32_e32 v3, 16, v84
	s_and_saveexec_b32 s16, s12
	s_xor_b32 s19, exec_lo, s16
	s_cbranch_execz .LBB2_244
; %bb.241:                              ;   in Loop: Header=BB2_199 Depth=2
	s_trap 2
	ds_read_b32 v3, v0
	v_cmp_lt_i32_e32 vcc_lo, 0, v8
	s_waitcnt lgkmcnt(0)
	v_readfirstlane_b32 s16, v3
	v_and_b32_e32 v3, 16, v84
	s_cmp_eq_u32 s16, 0
	v_cmp_ne_u32_e64 s16, 0, v3
	s_cselect_b32 s21, -1, 0
	v_and_b32_e32 v3, 16, v84
	s_and_b32 s21, vcc_lo, s21
	s_and_b32 s21, s16, s21
	s_and_saveexec_b32 s16, s21
	s_cbranch_execz .LBB2_243
; %bb.242:                              ;   in Loop: Header=BB2_199 Depth=2
	v_mov_b32_e32 v3, 1
	s_waitcnt vmcnt(0)
	s_waitcnt_vscnt null, 0x0
	buffer_gl1_inv
	buffer_gl0_inv
.LBB2_243:                              ;   in Loop: Header=BB2_199 Depth=2
	s_or_b32 exec_lo, exec_lo, s16
.LBB2_244:                              ;   in Loop: Header=BB2_199 Depth=2
	s_andn2_saveexec_b32 s16, s19
	s_cbranch_execz .LBB2_263
; %bb.245:                              ;   in Loop: Header=BB2_199 Depth=2
	s_and_saveexec_b32 s19, s29
	s_xor_b32 s19, exec_lo, s19
	s_cbranch_execz .LBB2_260
; %bb.246:                              ;   in Loop: Header=BB2_199 Depth=2
	s_and_saveexec_b32 s21, s11
	s_cbranch_execz .LBB2_259
; %bb.247:                              ;   in Loop: Header=BB2_199 Depth=2
	s_mov_b32 s23, exec_lo
	s_mov_b32 s22, exec_lo
	v_mbcnt_lo_u32_b32 v9, s23, 0
	;;#ASMSTART
	s_waitcnt lgkmcnt(0) vmcnt(0)
	;;#ASMEND
	v_cmpx_eq_u32_e32 0, v9
	s_cbranch_execz .LBB2_249
; %bb.248:                              ;   in Loop: Header=BB2_199 Depth=2
	s_bcnt1_i32_b32 s23, s23
	v_mov_b32_e32 v10, v2
	v_mov_b32_e32 v9, s23
	s_waitcnt vmcnt(0) lgkmcnt(0)
	s_waitcnt_vscnt null, 0x0
	ds_add_u64 v0, v[9:10]
	s_trap 2
.LBB2_249:                              ;   in Loop: Header=BB2_199 Depth=2
	s_or_b32 exec_lo, exec_lo, s22
	s_trap 2
	ds_read_b64 v[9:10], v0
	s_waitcnt vmcnt(0) lgkmcnt(0)
	buffer_gl0_inv
	v_add_co_u32 v28, vcc_lo, v28, v87
	v_add_co_ci_u32_e64 v29, null, 0, v29, vcc_lo
	s_mov_b32 s22, exec_lo
	v_cmpx_lt_u64_e64 v[9:10], v[28:29]
	s_cbranch_execz .LBB2_258
; %bb.250:                              ;   in Loop: Header=BB2_199 Depth=2
	s_mov_b32 s23, 0
	s_mov_b32 s63, 0
                                        ; implicit-def: $sgpr61
                                        ; implicit-def: $sgpr62
	s_inst_prefetch 0x1
	s_branch .LBB2_252
	.p2align	6
.LBB2_251:                              ;   in Loop: Header=BB2_252 Depth=3
	s_or_b32 exec_lo, exec_lo, s73
	s_and_b32 s72, exec_lo, s74
	s_or_b32 s23, s72, s23
	s_andn2_b32 s61, s61, exec_lo
	s_and_b32 s72, s62, exec_lo
	s_or_b32 s61, s61, s72
	s_andn2_b32 exec_lo, exec_lo, s23
	s_cbranch_execz .LBB2_256
.LBB2_252:                              ;   Parent Loop BB2_47 Depth=1
                                        ;     Parent Loop BB2_199 Depth=2
                                        ; =>    This Inner Loop Header: Depth=3
	s_add_i32 s63, s63, 1
	s_cmpk_lg_i32 s63, 0x2710
	s_cselect_b32 s72, -1, 0
	s_and_b32 vcc_lo, exec_lo, s72
	s_cbranch_vccz .LBB2_254
; %bb.253:                              ;   in Loop: Header=BB2_252 Depth=3
	s_mov_b32 s74, -1
	s_or_b32 s62, s62, exec_lo
	s_and_saveexec_b32 s73, s72
	s_cbranch_execz .LBB2_251
	s_branch .LBB2_255
	.p2align	6
.LBB2_254:                              ;   in Loop: Header=BB2_252 Depth=3
	s_trap 2
	ds_read_b64 v[9:10], v0
	s_andn2_b32 s72, s72, exec_lo
	s_mov_b32 s63, 0
	s_waitcnt lgkmcnt(0)
	s_waitcnt_vscnt null, 0x0
	flat_load_dword v9, v[9:10] glc dlc
	s_waitcnt vmcnt(0) lgkmcnt(0)
	buffer_gl1_inv
	buffer_gl0_inv
	v_cmp_eq_u32_e32 vcc_lo, 0, v9
	s_and_b32 s73, vcc_lo, exec_lo
	s_or_b32 s72, s72, s73
	s_mov_b32 s74, -1
	s_or_b32 s62, s62, exec_lo
	s_and_saveexec_b32 s73, s72
	s_cbranch_execz .LBB2_251
.LBB2_255:                              ;   in Loop: Header=BB2_252 Depth=3
	s_sleep 1
	s_trap 2
	ds_read_b64 v[9:10], v0
	s_waitcnt lgkmcnt(0)
	buffer_gl0_inv
	s_andn2_b32 s62, s62, exec_lo
	v_cmp_ge_u64_e32 vcc_lo, v[9:10], v[28:29]
	s_orn2_b32 s74, vcc_lo, exec_lo
	s_branch .LBB2_251
.LBB2_256:                              ;   in Loop: Header=BB2_199 Depth=2
	s_inst_prefetch 0x2
	s_or_b32 exec_lo, exec_lo, s23
	s_and_saveexec_b32 s23, s61
	s_xor_b32 s23, exec_lo, s23
	s_cbranch_execz .LBB2_258
; %bb.257:                              ;   in Loop: Header=BB2_199 Depth=2
	ds_write_b32 v0, v98
	s_trap 2
.LBB2_258:                              ;   in Loop: Header=BB2_199 Depth=2
	s_or_b32 exec_lo, exec_lo, s22
	;;#ASMSTART
	s_wakeup
	;;#ASMEND
.LBB2_259:                              ;   in Loop: Header=BB2_199 Depth=2
	s_or_b32 exec_lo, exec_lo, s21
.LBB2_260:                              ;   in Loop: Header=BB2_199 Depth=2
	s_andn2_saveexec_b32 s19, s19
	s_cbranch_execz .LBB2_262
; %bb.261:                              ;   in Loop: Header=BB2_199 Depth=2
	;;#ASMSTART
	s_waitcnt lgkmcnt(0) vmcnt(0)
	;;#ASMEND
	s_barrier
.LBB2_262:                              ;   in Loop: Header=BB2_199 Depth=2
	s_or_b32 exec_lo, exec_lo, s19
.LBB2_263:                              ;   in Loop: Header=BB2_199 Depth=2
	s_or_b32 exec_lo, exec_lo, s16
	s_mov_b32 s16, exec_lo
	v_cmpx_ne_u32_e32 0, v3
	s_cbranch_execz .LBB2_198
; %bb.264:                              ;   in Loop: Header=BB2_199 Depth=2
	s_and_saveexec_b32 s19, s10
	s_cbranch_execz .LBB2_197
; %bb.265:                              ;   in Loop: Header=BB2_199 Depth=2
	s_waitcnt vmcnt(0) lgkmcnt(0)
	s_waitcnt_vscnt null, 0x0
	flat_store_dword v[26:27], v98
	s_branch .LBB2_197
.LBB2_266:                              ;   in Loop: Header=BB2_47 Depth=1
	s_or_b32 exec_lo, exec_lo, s18
.LBB2_267:                              ;   in Loop: Header=BB2_47 Depth=1
	s_or_b32 exec_lo, exec_lo, s17
	s_andn2_b32 vcc_lo, exec_lo, s46
	s_cbranch_vccnz .LBB2_1476
; %bb.268:                              ;   in Loop: Header=BB2_47 Depth=1
	s_mov_b32 s18, 2
	s_branch .LBB2_271
.LBB2_269:                              ;   in Loop: Header=BB2_271 Depth=2
	s_or_b32 exec_lo, exec_lo, s19
.LBB2_270:                              ;   in Loop: Header=BB2_271 Depth=2
	s_or_b32 exec_lo, exec_lo, s17
	s_add_i32 s18, s18, 1
	s_cmp_eq_u32 s18, s25
	s_cbranch_scc1 .LBB2_1476
.LBB2_271:                              ;   Parent Loop BB2_47 Depth=1
                                        ; =>  This Loop Header: Depth=2
                                        ;       Child Loop BB2_274 Depth 3
                                        ;         Child Loop BB2_282 Depth 4
                                        ;         Child Loop BB2_310 Depth 4
	;; [unrolled: 1-line block ×9, first 2 shown]
                                        ;       Child Loop BB2_1404 Depth 3
                                        ;         Child Loop BB2_1410 Depth 4
                                        ;         Child Loop BB2_1438 Depth 4
	;; [unrolled: 1-line block ×3, first 2 shown]
	s_sub_i32 s16, s42, s18
	v_mov_b32_e32 v61, 0
	s_cmp_ge_i32 s16, s25
	s_mov_b32 s21, 0
	s_cselect_b32 s17, s25, 0
	s_sub_i32 s16, s16, s17
	s_ashr_i32 s17, s16, 31
	v_mul_lo_u32 v3, v49, s16
	v_mad_u64_u32 v[64:65], null, v48, s16, 0
	v_mul_lo_u32 v8, v48, s17
	v_add3_u32 v65, v65, v8, v3
	v_sub_co_u32 v8, vcc_lo, v52, v64
	v_sub_co_ci_u32_e64 v9, null, v53, v65, vcc_lo
	v_cmp_lt_i64_e32 vcc_lo, v[48:49], v[8:9]
	v_cndmask_b32_e32 v8, v8, v48, vcc_lo
	v_max_i32_e32 v60, 0, v8
	v_cmp_lt_i32_e32 vcc_lo, 0, v8
	v_add_nc_u32_e32 v3, 31, v60
	s_and_b32 s16, s57, vcc_lo
	v_lshrrev_b32_e32 v3, 1, v3
	v_and_b32_e32 v9, 0x3ffffff0, v3
	v_mov_b32_e32 v3, 0
	v_max_i32_e32 v54, s45, v9
	s_and_saveexec_b32 s19, s16
	s_cbranch_execz .LBB2_1401
; %bb.272:                              ;   in Loop: Header=BB2_271 Depth=2
	v_mov_b32_e32 v61, 0
	s_mov_b32 s23, 1
	s_mov_b32 s22, -1
	s_branch .LBB2_274
.LBB2_273:                              ;   in Loop: Header=BB2_274 Depth=3
	s_or_b32 exec_lo, exec_lo, s16
	v_add_nc_u32_e32 v61, v54, v61
	s_xor_b32 s16, s22, -1
	v_mov_b32_e32 v3, s23
	s_mov_b32 s22, 0
	s_mov_b32 s23, 2
	v_cmp_ge_i32_e32 vcc_lo, v61, v60
	s_or_b32 s16, s16, vcc_lo
	s_and_b32 s16, exec_lo, s16
	s_or_b32 s21, s16, s21
	s_andn2_b32 exec_lo, exec_lo, s21
	s_cbranch_execz .LBB2_1400
.LBB2_274:                              ;   Parent Loop BB2_47 Depth=1
                                        ;     Parent Loop BB2_271 Depth=2
                                        ; =>    This Loop Header: Depth=3
                                        ;         Child Loop BB2_282 Depth 4
                                        ;         Child Loop BB2_310 Depth 4
	;; [unrolled: 1-line block ×9, first 2 shown]
	s_and_saveexec_b32 s16, s4
	s_cbranch_execz .LBB2_276
; %bb.275:                              ;   in Loop: Header=BB2_274 Depth=3
	s_trap 2
	ds_read_b64 v[8:9], v0
	s_waitcnt lgkmcnt(0)
	v_add_co_u32 v3, vcc_lo, v8, v58
	v_add_co_ci_u32_e64 v8, null, v9, v59, vcc_lo
	v_ashrrev_i32_e32 v9, 31, v61
	v_add_co_u32 v3, vcc_lo, v3, v64
	v_add_co_ci_u32_e64 v10, null, v8, v65, vcc_lo
	v_add_co_u32 v8, vcc_lo, v3, v61
	v_add_co_ci_u32_e64 v9, null, v10, v9, vcc_lo
	v_mov_b32_e32 v3, v2
	ds_write_b64 v0, v[8:9]
	ds_write_b64 v0, v[2:3]
.LBB2_276:                              ;   in Loop: Header=BB2_274 Depth=3
	s_or_b32 exec_lo, exec_lo, s16
	v_sub_nc_u32_e32 v3, v60, v61
	v_and_b32_e32 v8, 12, v84
	s_mov_b32 s17, exec_lo
	v_min_i32_e32 v54, v54, v3
	v_cmpx_ne_u32_e32 0, v8
	s_cbranch_execz .LBB2_302
; %bb.277:                              ;   in Loop: Header=BB2_274 Depth=3
	v_and_b32_e32 v3, 8, v84
	s_mov_b32 s61, exec_lo
	s_waitcnt vmcnt(0) lgkmcnt(1)
	v_add_co_u32 v10, vcc_lo, v32, v3
	v_add_co_ci_u32_e64 v11, null, 0, v33, vcc_lo
	v_add_co_u32 v8, vcc_lo, v50, 2
	v_add_co_ci_u32_e64 v9, null, 0, v51, vcc_lo
	v_cmpx_lt_u64_e64 v[10:11], v[8:9]
	s_cbranch_execz .LBB2_289
; %bb.278:                              ;   in Loop: Header=BB2_274 Depth=3
	v_and_b32_e32 v10, 64, v84
	s_mov_b32 s62, 0
	s_mov_b32 s74, 0
                                        ; implicit-def: $sgpr63
                                        ; implicit-def: $sgpr72
                                        ; implicit-def: $sgpr73
	v_cmp_eq_u32_e32 vcc_lo, 0, v10
	s_branch .LBB2_282
.LBB2_279:                              ;   in Loop: Header=BB2_282 Depth=4
	s_waitcnt vmcnt(0) lgkmcnt(0)
	v_add_co_u32 v11, s16, v32, v3
	v_add_co_ci_u32_e64 v12, null, 0, v33, s16
	s_or_b32 s77, s77, exec_lo
	v_cmp_ge_u64_e64 s16, v[11:12], v[8:9]
	s_orn2_b32 s76, s16, exec_lo
.LBB2_280:                              ;   in Loop: Header=BB2_282 Depth=4
	s_or_b32 exec_lo, exec_lo, s79
	s_andn2_b32 s16, s73, exec_lo
	s_and_b32 s73, s77, exec_lo
	s_andn2_b32 s72, s72, exec_lo
	s_and_b32 s76, s76, exec_lo
	s_or_b32 s73, s16, s73
	s_or_b32 s72, s72, s76
.LBB2_281:                              ;   in Loop: Header=BB2_282 Depth=4
	s_or_b32 exec_lo, exec_lo, s75
	s_and_b32 s16, exec_lo, s72
	s_or_b32 s62, s16, s62
	s_andn2_b32 s16, s63, exec_lo
	s_and_b32 s63, s73, exec_lo
	s_or_b32 s63, s16, s63
	s_andn2_b32 exec_lo, exec_lo, s62
	s_cbranch_execz .LBB2_286
.LBB2_282:                              ;   Parent Loop BB2_47 Depth=1
                                        ;     Parent Loop BB2_271 Depth=2
                                        ;       Parent Loop BB2_274 Depth=3
                                        ; =>      This Inner Loop Header: Depth=4
	s_sleep 1
	s_waitcnt vmcnt(0) lgkmcnt(0)
	flat_load_dwordx2 v[32:33], v[22:23] glc dlc
	s_or_b32 s73, s73, exec_lo
	s_or_b32 s72, s72, exec_lo
                                        ; implicit-def: $vgpr10
	s_and_saveexec_b32 s75, vcc_lo
	s_cbranch_execz .LBB2_281
; %bb.283:                              ;   in Loop: Header=BB2_282 Depth=4
	s_cmpk_lt_i32 s74, 0x270f
	s_mov_b32 s76, -1
	s_cselect_b32 s78, -1, 0
	s_cmpk_gt_i32 s74, 0x270e
	s_cbranch_scc0 .LBB2_285
; %bb.284:                              ;   in Loop: Header=BB2_282 Depth=4
	s_trap 2
	ds_read_b64 v[10:11], v0
	s_andn2_b32 s74, s78, exec_lo
	s_mov_b32 s77, 0
	s_waitcnt vmcnt(0) lgkmcnt(0)
	s_waitcnt_vscnt null, 0x0
	flat_load_dword v10, v[10:11] glc dlc
	s_waitcnt vmcnt(0) lgkmcnt(0)
	buffer_gl1_inv
	buffer_gl0_inv
	v_cmp_eq_u32_e64 s16, 0, v10
	s_and_b32 s16, s16, exec_lo
	s_or_b32 s78, s74, s16
	s_mov_b32 s74, 0
	s_and_saveexec_b32 s79, s78
	s_cbranch_execz .LBB2_280
	s_branch .LBB2_279
.LBB2_285:                              ;   in Loop: Header=BB2_282 Depth=4
	s_add_i32 s74, s74, 1
	s_mov_b32 s77, -1
                                        ; implicit-def: $vgpr10
	s_and_saveexec_b32 s79, s78
	s_cbranch_execz .LBB2_280
	s_branch .LBB2_279
.LBB2_286:                              ;   in Loop: Header=BB2_274 Depth=3
	s_or_b32 exec_lo, exec_lo, s62
	s_xor_b32 s16, s63, -1
	s_and_saveexec_b32 s62, s16
	s_xor_b32 s16, exec_lo, s62
	s_cbranch_execz .LBB2_288
; %bb.287:                              ;   in Loop: Header=BB2_274 Depth=3
	v_or_b32_e32 v84, 64, v84
	s_waitcnt vmcnt(0) lgkmcnt(0)
	s_waitcnt_vscnt null, 0x0
	ds_write_b32 v0, v10
	s_trap 2
.LBB2_288:                              ;   in Loop: Header=BB2_274 Depth=3
	s_or_b32 exec_lo, exec_lo, s16
.LBB2_289:                              ;   in Loop: Header=BB2_274 Depth=3
	s_or_b32 exec_lo, exec_lo, s61
	v_and_b32_e32 v10, 0x108, v84
	;;#ASMSTART
	s_wakeup
	;;#ASMEND
	v_cmp_ne_u32_e32 vcc_lo, 0x108, v10
                                        ; implicit-def: $vgpr10_vgpr11
	s_and_saveexec_b32 s16, vcc_lo
	s_xor_b32 s16, exec_lo, s16
; %bb.290:                              ;   in Loop: Header=BB2_274 Depth=3
	v_and_b32_e32 v10, 7, v50
	v_mov_b32_e32 v11, v2
                                        ; implicit-def: $vgpr50_vgpr51
; %bb.291:                              ;   in Loop: Header=BB2_274 Depth=3
	s_andn2_saveexec_b32 s16, s16
	s_cbranch_execz .LBB2_293
; %bb.292:                              ;   in Loop: Header=BB2_274 Depth=3
	v_and_b32_e32 v10, 7, v50
	v_ashrrev_i32_e32 v55, 31, v54
	v_mov_b32_e32 v11, v2
	v_mad_u64_u32 v[12:13], null, v10, 24, v[6:7]
	flat_store_dwordx2 v[12:13], v[54:55] offset:8
.LBB2_293:                              ;   in Loop: Header=BB2_274 Depth=3
	s_or_b32 exec_lo, exec_lo, s16
	v_and_b32_e32 v12, 0x100, v84
	s_mov_b32 s16, -1
	v_cmp_ne_u32_e32 vcc_lo, 0, v12
                                        ; implicit-def: $vgpr12_vgpr13
	s_and_saveexec_b32 s61, vcc_lo
	s_cbranch_execz .LBB2_297
; %bb.294:                              ;   in Loop: Header=BB2_274 Depth=3
	v_mad_u64_u32 v[14:15], null, v10, 24, v[6:7]
	v_mov_b32_e32 v12, v15
	v_mad_u64_u32 v[12:13], null, v11, 24, v[12:13]
	v_mov_b32_e32 v15, v12
	flat_load_dword v12, v[14:15]
	s_waitcnt vmcnt(0) lgkmcnt(0)
	v_cmp_eq_u32_e64 s16, 1, v12
	v_cmp_ne_u32_e32 vcc_lo, 1, v12
                                        ; implicit-def: $vgpr12_vgpr13
	s_and_saveexec_b32 s62, s16
	s_cbranch_execz .LBB2_296
; %bb.295:                              ;   in Loop: Header=BB2_274 Depth=3
	flat_load_dword v12, v[14:15] offset:4 glc dlc
	s_waitcnt vmcnt(0) lgkmcnt(0)
	v_ashrrev_i32_e32 v13, 31, v12
.LBB2_296:                              ;   in Loop: Header=BB2_274 Depth=3
	s_or_b32 exec_lo, exec_lo, s62
	s_orn2_b32 s16, vcc_lo, exec_lo
.LBB2_297:                              ;   in Loop: Header=BB2_274 Depth=3
	s_or_b32 exec_lo, exec_lo, s61
	s_and_saveexec_b32 s61, s16
; %bb.298:                              ;   in Loop: Header=BB2_274 Depth=3
	v_mul_lo_u32 v11, v11, v85
	v_mul_lo_u32 v14, v10, v86
	v_mad_u64_u32 v[12:13], null, v10, v85, 0
	v_add3_u32 v13, v13, v14, v11
; %bb.299:                              ;   in Loop: Header=BB2_274 Depth=3
	s_or_b32 exec_lo, exec_lo, s61
	v_cmp_eq_u32_e32 vcc_lo, 0, v3
	v_and_b32_e32 v14, 0x2000, v84
	s_mov_b32 s16, exec_lo
	v_cndmask_b32_e32 v3, 0xc8, v99, vcc_lo
	v_add_co_u32 v10, vcc_lo, v24, v12
	v_add_co_ci_u32_e64 v11, null, v25, v13, vcc_lo
	v_add_nc_u32_e32 v3, v0, v3
	ds_write_b64 v3, v[10:11] offset:584
	v_cmpx_ne_u32_e32 0, v14
	s_cbranch_execz .LBB2_301
; %bb.300:                              ;   in Loop: Header=BB2_274 Depth=3
	ds_read_b64 v[10:11], v0 offset:872
	s_waitcnt lgkmcnt(0)
	v_add_co_u32 v10, vcc_lo, v10, 1
	v_add_co_ci_u32_e64 v11, null, 0, v11, vcc_lo
	ds_write_b64 v0, v[10:11] offset:872
.LBB2_301:                              ;   in Loop: Header=BB2_274 Depth=3
	s_or_b32 exec_lo, exec_lo, s16
	v_mov_b32_e32 v51, v9
	v_mov_b32_e32 v50, v8
.LBB2_302:                              ;   in Loop: Header=BB2_274 Depth=3
	s_or_b32 exec_lo, exec_lo, s17
	s_and_saveexec_b32 s16, s6
	s_cbranch_execz .LBB2_321
; %bb.303:                              ;   in Loop: Header=BB2_274 Depth=3
	s_and_saveexec_b32 s17, s29
	s_xor_b32 s17, exec_lo, s17
	s_cbranch_execz .LBB2_318
; %bb.304:                              ;   in Loop: Header=BB2_274 Depth=3
	s_and_saveexec_b32 s61, s11
	s_cbranch_execz .LBB2_317
; %bb.305:                              ;   in Loop: Header=BB2_274 Depth=3
	s_mov_b32 s63, exec_lo
	s_mov_b32 s62, exec_lo
	v_mbcnt_lo_u32_b32 v3, s63, 0
	s_waitcnt vmcnt(0) lgkmcnt(0)
	s_waitcnt_vscnt null, 0x0
	buffer_gl1_inv
	buffer_gl0_inv
	v_cmpx_eq_u32_e32 0, v3
	s_cbranch_execz .LBB2_307
; %bb.306:                              ;   in Loop: Header=BB2_274 Depth=3
	s_bcnt1_i32_b32 s63, s63
	v_mov_b32_e32 v9, v2
	v_mov_b32_e32 v8, s63
	ds_add_u64 v0, v[8:9]
	s_trap 2
.LBB2_307:                              ;   in Loop: Header=BB2_274 Depth=3
	s_or_b32 exec_lo, exec_lo, s62
	s_trap 2
	ds_read_b64 v[8:9], v0
	s_waitcnt lgkmcnt(0)
	buffer_gl0_inv
	v_add_co_u32 v28, vcc_lo, v28, v87
	v_add_co_ci_u32_e64 v29, null, 0, v29, vcc_lo
	s_mov_b32 s62, exec_lo
	v_cmpx_lt_u64_e64 v[8:9], v[28:29]
	s_cbranch_execz .LBB2_316
; %bb.308:                              ;   in Loop: Header=BB2_274 Depth=3
	s_mov_b32 s63, 0
	s_mov_b32 s74, 0
                                        ; implicit-def: $sgpr72
                                        ; implicit-def: $sgpr73
	s_inst_prefetch 0x1
	s_branch .LBB2_310
	.p2align	6
.LBB2_309:                              ;   in Loop: Header=BB2_310 Depth=4
	s_or_b32 exec_lo, exec_lo, s76
	s_and_b32 s75, exec_lo, s77
	s_or_b32 s63, s75, s63
	s_andn2_b32 s72, s72, exec_lo
	s_and_b32 s75, s73, exec_lo
	s_or_b32 s72, s72, s75
	s_andn2_b32 exec_lo, exec_lo, s63
	s_cbranch_execz .LBB2_314
.LBB2_310:                              ;   Parent Loop BB2_47 Depth=1
                                        ;     Parent Loop BB2_271 Depth=2
                                        ;       Parent Loop BB2_274 Depth=3
                                        ; =>      This Inner Loop Header: Depth=4
	s_add_i32 s74, s74, 1
	s_cmpk_lg_i32 s74, 0x2710
	s_cselect_b32 s75, -1, 0
	s_and_b32 vcc_lo, exec_lo, s75
	s_cbranch_vccz .LBB2_312
; %bb.311:                              ;   in Loop: Header=BB2_310 Depth=4
	s_mov_b32 s77, -1
	s_or_b32 s73, s73, exec_lo
	s_and_saveexec_b32 s76, s75
	s_cbranch_execz .LBB2_309
	s_branch .LBB2_313
	.p2align	6
.LBB2_312:                              ;   in Loop: Header=BB2_310 Depth=4
	s_trap 2
	ds_read_b64 v[8:9], v0
	s_andn2_b32 s75, s75, exec_lo
	s_mov_b32 s74, 0
	s_waitcnt lgkmcnt(0)
	flat_load_dword v3, v[8:9] glc dlc
	s_waitcnt vmcnt(0) lgkmcnt(0)
	buffer_gl1_inv
	buffer_gl0_inv
	v_cmp_eq_u32_e32 vcc_lo, 0, v3
	s_and_b32 s76, vcc_lo, exec_lo
	s_or_b32 s75, s75, s76
	s_mov_b32 s77, -1
	s_or_b32 s73, s73, exec_lo
	s_and_saveexec_b32 s76, s75
	s_cbranch_execz .LBB2_309
.LBB2_313:                              ;   in Loop: Header=BB2_310 Depth=4
	s_sleep 1
	s_trap 2
	ds_read_b64 v[8:9], v0
	s_waitcnt lgkmcnt(0)
	buffer_gl0_inv
	s_andn2_b32 s73, s73, exec_lo
	v_cmp_ge_u64_e32 vcc_lo, v[8:9], v[28:29]
	s_orn2_b32 s77, vcc_lo, exec_lo
	s_branch .LBB2_309
.LBB2_314:                              ;   in Loop: Header=BB2_274 Depth=3
	s_inst_prefetch 0x2
	s_or_b32 exec_lo, exec_lo, s63
	s_and_saveexec_b32 s63, s72
	s_xor_b32 s63, exec_lo, s63
	s_cbranch_execz .LBB2_316
; %bb.315:                              ;   in Loop: Header=BB2_274 Depth=3
	ds_write_b32 v0, v98
	s_trap 2
.LBB2_316:                              ;   in Loop: Header=BB2_274 Depth=3
	s_or_b32 exec_lo, exec_lo, s62
	;;#ASMSTART
	s_wakeup
	;;#ASMEND
.LBB2_317:                              ;   in Loop: Header=BB2_274 Depth=3
	s_or_b32 exec_lo, exec_lo, s61
.LBB2_318:                              ;   in Loop: Header=BB2_274 Depth=3
	s_andn2_saveexec_b32 s17, s17
	s_cbranch_execz .LBB2_320
; %bb.319:                              ;   in Loop: Header=BB2_274 Depth=3
	s_waitcnt vmcnt(0) lgkmcnt(0)
	s_waitcnt_vscnt null, 0x0
	buffer_gl1_inv
	buffer_gl0_inv
	s_barrier
.LBB2_320:                              ;   in Loop: Header=BB2_274 Depth=3
	s_or_b32 exec_lo, exec_lo, s17
.LBB2_321:                              ;   in Loop: Header=BB2_274 Depth=3
	s_or_b32 exec_lo, exec_lo, s16
	s_trap 2
	ds_read_b32 v3, v0
	v_and_b32_e32 v8, 0x4000, v84
	s_xor_b32 s16, s5, -1
	v_cmp_ne_u32_e32 vcc_lo, 0, v8
	s_and_b32 s17, s16, vcc_lo
	s_and_saveexec_b32 s16, s17
	s_cbranch_execz .LBB2_340
; %bb.322:                              ;   in Loop: Header=BB2_274 Depth=3
	s_and_saveexec_b32 s17, s29
	s_xor_b32 s17, exec_lo, s17
	s_cbranch_execz .LBB2_337
; %bb.323:                              ;   in Loop: Header=BB2_274 Depth=3
	s_and_saveexec_b32 s61, s11
	s_cbranch_execz .LBB2_336
; %bb.324:                              ;   in Loop: Header=BB2_274 Depth=3
	s_mov_b32 s63, exec_lo
	s_mov_b32 s62, exec_lo
	v_mbcnt_lo_u32_b32 v8, s63, 0
	s_waitcnt vmcnt(0) lgkmcnt(0)
	s_waitcnt_vscnt null, 0x0
	buffer_gl1_inv
	buffer_gl0_inv
	v_cmpx_eq_u32_e32 0, v8
	s_cbranch_execz .LBB2_326
; %bb.325:                              ;   in Loop: Header=BB2_274 Depth=3
	s_bcnt1_i32_b32 s63, s63
	v_mov_b32_e32 v9, v2
	v_mov_b32_e32 v8, s63
	ds_add_u64 v0, v[8:9]
	s_trap 2
.LBB2_326:                              ;   in Loop: Header=BB2_274 Depth=3
	s_or_b32 exec_lo, exec_lo, s62
	s_trap 2
	ds_read_b64 v[8:9], v0
	s_waitcnt lgkmcnt(0)
	buffer_gl0_inv
	v_add_co_u32 v28, vcc_lo, v28, v87
	v_add_co_ci_u32_e64 v29, null, 0, v29, vcc_lo
	s_mov_b32 s62, exec_lo
	v_cmpx_lt_u64_e64 v[8:9], v[28:29]
	s_cbranch_execz .LBB2_335
; %bb.327:                              ;   in Loop: Header=BB2_274 Depth=3
	s_mov_b32 s63, 0
	s_mov_b32 s74, 0
                                        ; implicit-def: $sgpr72
                                        ; implicit-def: $sgpr73
	s_inst_prefetch 0x1
	s_branch .LBB2_329
	.p2align	6
.LBB2_328:                              ;   in Loop: Header=BB2_329 Depth=4
	s_or_b32 exec_lo, exec_lo, s76
	s_and_b32 s75, exec_lo, s77
	s_or_b32 s63, s75, s63
	s_andn2_b32 s72, s72, exec_lo
	s_and_b32 s75, s73, exec_lo
	s_or_b32 s72, s72, s75
	s_andn2_b32 exec_lo, exec_lo, s63
	s_cbranch_execz .LBB2_333
.LBB2_329:                              ;   Parent Loop BB2_47 Depth=1
                                        ;     Parent Loop BB2_271 Depth=2
                                        ;       Parent Loop BB2_274 Depth=3
                                        ; =>      This Inner Loop Header: Depth=4
	s_add_i32 s74, s74, 1
	s_cmpk_lg_i32 s74, 0x2710
	s_cselect_b32 s75, -1, 0
	s_and_b32 vcc_lo, exec_lo, s75
	s_cbranch_vccz .LBB2_331
; %bb.330:                              ;   in Loop: Header=BB2_329 Depth=4
	s_mov_b32 s77, -1
	s_or_b32 s73, s73, exec_lo
	s_and_saveexec_b32 s76, s75
	s_cbranch_execz .LBB2_328
	s_branch .LBB2_332
	.p2align	6
.LBB2_331:                              ;   in Loop: Header=BB2_329 Depth=4
	s_trap 2
	ds_read_b64 v[8:9], v0
	s_andn2_b32 s75, s75, exec_lo
	s_mov_b32 s74, 0
	s_waitcnt lgkmcnt(0)
	flat_load_dword v8, v[8:9] glc dlc
	s_waitcnt vmcnt(0) lgkmcnt(0)
	buffer_gl1_inv
	buffer_gl0_inv
	v_cmp_eq_u32_e32 vcc_lo, 0, v8
	s_and_b32 s76, vcc_lo, exec_lo
	s_or_b32 s75, s75, s76
	s_mov_b32 s77, -1
	s_or_b32 s73, s73, exec_lo
	s_and_saveexec_b32 s76, s75
	s_cbranch_execz .LBB2_328
.LBB2_332:                              ;   in Loop: Header=BB2_329 Depth=4
	s_sleep 1
	s_trap 2
	ds_read_b64 v[8:9], v0
	s_waitcnt lgkmcnt(0)
	buffer_gl0_inv
	s_andn2_b32 s73, s73, exec_lo
	v_cmp_ge_u64_e32 vcc_lo, v[8:9], v[28:29]
	s_orn2_b32 s77, vcc_lo, exec_lo
	s_branch .LBB2_328
.LBB2_333:                              ;   in Loop: Header=BB2_274 Depth=3
	s_inst_prefetch 0x2
	s_or_b32 exec_lo, exec_lo, s63
	s_and_saveexec_b32 s63, s72
	s_xor_b32 s63, exec_lo, s63
	s_cbranch_execz .LBB2_335
; %bb.334:                              ;   in Loop: Header=BB2_274 Depth=3
	ds_write_b32 v0, v98
	s_trap 2
.LBB2_335:                              ;   in Loop: Header=BB2_274 Depth=3
	s_or_b32 exec_lo, exec_lo, s62
	;;#ASMSTART
	s_wakeup
	;;#ASMEND
.LBB2_336:                              ;   in Loop: Header=BB2_274 Depth=3
	s_or_b32 exec_lo, exec_lo, s61
.LBB2_337:                              ;   in Loop: Header=BB2_274 Depth=3
	s_andn2_saveexec_b32 s17, s17
	s_cbranch_execz .LBB2_339
; %bb.338:                              ;   in Loop: Header=BB2_274 Depth=3
	s_waitcnt vmcnt(0) lgkmcnt(0)
	s_waitcnt_vscnt null, 0x0
	buffer_gl1_inv
	buffer_gl0_inv
	s_barrier
.LBB2_339:                              ;   in Loop: Header=BB2_274 Depth=3
	s_or_b32 exec_lo, exec_lo, s17
.LBB2_340:                              ;   in Loop: Header=BB2_274 Depth=3
	s_or_b32 exec_lo, exec_lo, s16
	s_trap 2
	ds_read_b64 v[66:67], v0
	s_waitcnt lgkmcnt(0)
	v_cmp_eq_u64_e32 vcc_lo, 0, v[66:67]
	s_cbranch_vccnz .LBB2_348
; %bb.341:                              ;   in Loop: Header=BB2_274 Depth=3
	s_trap 2
	ds_read_b64 v[68:69], v0
	s_waitcnt lgkmcnt(0)
	v_cmp_eq_u64_e32 vcc_lo, 0, v[68:69]
	s_cbranch_vccnz .LBB2_348
; %bb.342:                              ;   in Loop: Header=BB2_274 Depth=3
	s_mov_b32 s16, -1
	s_and_saveexec_b32 s17, s15
	s_cbranch_execz .LBB2_344
; %bb.343:                              ;   in Loop: Header=BB2_274 Depth=3
	ds_read_b32 v8, v0 offset:720
	s_waitcnt lgkmcnt(0)
	v_and_b32_e32 v8, 15, v8
	v_cmp_eq_u32_e32 vcc_lo, 0, v8
	s_orn2_b32 s16, vcc_lo, exec_lo
.LBB2_344:                              ;   in Loop: Header=BB2_274 Depth=3
	s_or_b32 exec_lo, exec_lo, s17
	s_and_saveexec_b32 s17, s14
	s_cbranch_execz .LBB2_346
; %bb.345:                              ;   in Loop: Header=BB2_274 Depth=3
	ds_read_b32 v8, v0 offset:784
	s_waitcnt lgkmcnt(0)
	v_and_b32_e32 v8, 15, v8
	v_cmp_eq_u32_e32 vcc_lo, 0, v8
	s_and_b32 s61, s16, vcc_lo
	s_andn2_b32 s16, s16, exec_lo
	s_and_b32 s61, s61, exec_lo
	s_or_b32 s16, s16, s61
.LBB2_346:                              ;   in Loop: Header=BB2_274 Depth=3
	s_or_b32 exec_lo, exec_lo, s17
	v_cmp_eq_u32_e32 vcc_lo, 0, v3
	s_xor_b32 s16, s16, -1
	v_mov_b32_e32 v14, 0
	v_cndmask_b32_e64 v8, 0, 1, s16
	v_mov_b32_e32 v70, v0
	v_cndmask_b32_e32 v3, 0, v54, vcc_lo
	s_mov_b32 s62, -1
	v_cmp_ne_u32_e32 vcc_lo, 0, v8
	v_mov_b32_e32 v8, v42
	v_mov_b32_e32 v15, v3
	s_cbranch_vccz .LBB2_349
; %bb.347:                              ;   in Loop: Header=BB2_274 Depth=3
	s_and_saveexec_b32 s17, s62
	s_cbranch_execnz .LBB2_1130
	s_branch .LBB2_1354
.LBB2_348:                              ;   in Loop: Header=BB2_274 Depth=3
	s_mov_b32 s16, 0
	s_and_saveexec_b32 s17, s6
	s_cbranch_execnz .LBB2_1355
	s_branch .LBB2_1373
.LBB2_349:                              ;   in Loop: Header=BB2_274 Depth=3
	v_ashrrev_i32_e32 v8, 31, v3
	v_sub_nc_u32_e32 v62, v3, v97
	s_mov_b32 s61, exec_lo
	v_lshrrev_b32_e32 v8, 23, v8
	v_add_nc_u32_e32 v8, v3, v8
	v_and_b32_e32 v55, 0xfffffe00, v8
	v_ashrrev_i32_e32 v8, 9, v8
	v_sub_nc_u32_e32 v63, v3, v55
	v_cmp_lt_i32_e32 vcc_lo, 15, v63
	v_add_co_ci_u32_e64 v72, null, v8, v47, vcc_lo
	v_cmpx_lt_i32_e32 15, v62
	s_cbranch_execz .LBB2_737
; %bb.350:                              ;   in Loop: Header=BB2_274 Depth=3
	s_trap 2
	ds_read_b64 v[8:9], v0
	v_add_co_u32 v70, s16, v66, v97
	v_add_co_ci_u32_e64 v71, null, v67, v118, s16
	s_mov_b32 s62, 0
	s_waitcnt lgkmcnt(0)
	v_add_co_u32 v80, s16, v8, v97
	v_add_co_ci_u32_e64 v81, null, v9, v118, s16
	v_add_co_u32 v82, s16, v68, v97
	v_add_co_ci_u32_e64 v83, null, v69, v118, s16
	s_branch .LBB2_354
.LBB2_351:                              ;   in Loop: Header=BB2_354 Depth=4
	s_or_b32 exec_lo, exec_lo, s16
	v_lshrrev_b32_e32 v90, 21, v90
	v_min_i32_e32 v91, 31, v15
	v_cmp_gt_i32_e64 s16, 32, v15
	v_and_b32_sdwa v11, v11, v101 dst_sel:DWORD dst_unused:UNUSED_PAD src0_sel:BYTE_3 src1_sel:DWORD
	v_lshlrev_b32_e32 v91, 2, v91
	v_cndmask_b32_e64 v90, 3, v90, s16
	v_and_b32_e32 v91, 0xfc, v91
	v_and_b32_e32 v92, 3, v90
	v_or_b32_e32 v15, v15, v90
	v_or3_b32 v11, v11, v91, v92
	v_cmp_ne_u32_e64 s16, 0, v15
	v_lshlrev_b32_e32 v11, 8, v11
	v_cndmask_b32_e64 v15, 0, v11, s16
.LBB2_352:                              ;   in Loop: Header=BB2_354 Depth=4
	s_or_b32 exec_lo, exec_lo, s72
.LBB2_353:                              ;   in Loop: Header=BB2_354 Depth=4
	s_or_b32 exec_lo, exec_lo, s63
	v_or_b32_sdwa v9, v9, v77 dst_sel:WORD_1 dst_unused:UNUSED_PAD src0_sel:DWORD src1_sel:DWORD
	v_or_b32_sdwa v8, v8, v75 dst_sel:WORD_1 dst_unused:UNUSED_PAD src0_sel:DWORD src1_sel:DWORD
	;; [unrolled: 1-line block ×4, first 2 shown]
	v_sub_nc_u32_e32 v62, v62, v116
	v_or3_b32 v9, v76, v12, v9
	v_or3_b32 v8, v74, v73, v8
	v_or3_b32 v10, v78, v13, v10
	v_or3_b32 v11, v88, v14, v11
	v_add_co_u32 v70, s16, v70, v116
	v_add_co_ci_u32_e64 v71, null, 0, v71, s16
	v_add_co_u32 v80, s16, v80, v116
	global_store_dwordx4 v[82:83], v[8:11], off glc slc
	v_add_co_ci_u32_e64 v81, null, 0, v81, s16
	v_cmp_gt_i32_e64 s16, 16, v62
	v_add_co_u32 v82, s17, v82, v116
	v_add_co_ci_u32_e64 v83, null, 0, v83, s17
	v_sub_nc_u32_e32 v72, v72, v87
	s_or_b32 s62, s16, s62
	s_andn2_b32 exec_lo, exec_lo, s62
	s_cbranch_execz .LBB2_736
.LBB2_354:                              ;   Parent Loop BB2_47 Depth=1
                                        ;     Parent Loop BB2_271 Depth=2
                                        ;       Parent Loop BB2_274 Depth=3
                                        ; =>      This Inner Loop Header: Depth=4
	global_load_dwordx4 v[12:15], v[70:71], off slc
	global_load_dwordx4 v[8:11], v[80:81], off slc
	s_mov_b32 s16, 0
	s_waitcnt vmcnt(1)
	v_cmp_gt_i16_sdwa s17, v12, v100 src0_sel:BYTE_0 src1_sel:DWORD
	s_and_saveexec_b32 s63, s17
	s_xor_b32 s17, exec_lo, s63
	s_cbranch_execz .LBB2_672
; %bb.355:                              ;   in Loop: Header=BB2_354 Depth=4
	v_cmp_eq_u16_sdwa s72, v12, v101 src0_sel:BYTE_0 src1_sel:DWORD
	s_mov_b32 s16, -1
	s_and_saveexec_b32 s63, s72
; %bb.356:                              ;   in Loop: Header=BB2_354 Depth=4
	s_xor_b32 s16, exec_lo, -1
; %bb.357:                              ;   in Loop: Header=BB2_354 Depth=4
	s_or_b32 exec_lo, exec_lo, s63
	s_and_b32 s16, s16, exec_lo
	s_or_saveexec_b32 s17, s17
	v_mov_b32_e32 v73, 0x7f800001
	s_xor_b32 exec_lo, exec_lo, s17
	s_cbranch_execnz .LBB2_673
.LBB2_358:                              ;   in Loop: Header=BB2_354 Depth=4
	s_or_b32 exec_lo, exec_lo, s17
	s_and_saveexec_b32 s17, s16
	s_cbranch_execz .LBB2_360
.LBB2_359:                              ;   in Loop: Header=BB2_354 Depth=4
	v_and_b32_e32 v73, 3, v12
	v_bfe_u32 v76, v12, 2, 5
	v_lshlrev_b32_e32 v77, 24, v12
	v_ffbh_u32_e32 v74, v73
	v_cmp_eq_u32_e64 s16, 0, v76
	v_min_u32_e32 v74, 32, v74
	v_subrev_nc_u32_e32 v75, 29, v74
	v_sub_nc_u32_e32 v74, 30, v74
	v_lshlrev_b32_e32 v75, v75, v12
	v_cndmask_b32_e64 v74, v76, v74, s16
	v_and_b32_e32 v75, 3, v75
	v_lshl_add_u32 v74, v74, 23, 0x37800000
	v_cndmask_b32_e64 v73, v73, v75, s16
	v_and_b32_e32 v75, 0x80000000, v77
	v_lshlrev_b32_e32 v73, 21, v73
	v_or3_b32 v73, v75, v74, v73
.LBB2_360:                              ;   in Loop: Header=BB2_354 Depth=4
	s_or_b32 exec_lo, exec_lo, s17
	s_waitcnt vmcnt(0)
	v_cmp_gt_i16_sdwa s17, v8, v100 src0_sel:BYTE_0 src1_sel:DWORD
	s_mov_b32 s16, 0
	s_and_saveexec_b32 s63, s17
	s_xor_b32 s17, exec_lo, s63
	s_cbranch_execz .LBB2_674
; %bb.361:                              ;   in Loop: Header=BB2_354 Depth=4
	v_cmp_eq_u16_sdwa s72, v8, v101 src0_sel:BYTE_0 src1_sel:DWORD
	s_mov_b32 s16, -1
	s_and_saveexec_b32 s63, s72
; %bb.362:                              ;   in Loop: Header=BB2_354 Depth=4
	s_xor_b32 s16, exec_lo, -1
; %bb.363:                              ;   in Loop: Header=BB2_354 Depth=4
	s_or_b32 exec_lo, exec_lo, s63
	s_and_b32 s16, s16, exec_lo
	s_or_saveexec_b32 s17, s17
	v_mov_b32_e32 v74, 0x7f800001
	s_xor_b32 exec_lo, exec_lo, s17
	s_cbranch_execnz .LBB2_675
.LBB2_364:                              ;   in Loop: Header=BB2_354 Depth=4
	s_or_b32 exec_lo, exec_lo, s17
	s_and_saveexec_b32 s17, s16
	s_cbranch_execz .LBB2_366
.LBB2_365:                              ;   in Loop: Header=BB2_354 Depth=4
	v_and_b32_e32 v74, 3, v8
	v_bfe_u32 v77, v8, 2, 5
	v_lshlrev_b32_e32 v78, 24, v8
	v_ffbh_u32_e32 v75, v74
	v_cmp_eq_u32_e64 s16, 0, v77
	v_min_u32_e32 v75, 32, v75
	v_subrev_nc_u32_e32 v76, 29, v75
	v_sub_nc_u32_e32 v75, 30, v75
	v_lshlrev_b32_e32 v76, v76, v8
	v_cndmask_b32_e64 v75, v77, v75, s16
	v_and_b32_e32 v76, 3, v76
	v_lshl_add_u32 v75, v75, 23, 0x37800000
	v_cndmask_b32_e64 v74, v74, v76, s16
	v_and_b32_e32 v76, 0x80000000, v78
	v_lshlrev_b32_e32 v74, 21, v74
	v_or3_b32 v74, v76, v75, v74
.LBB2_366:                              ;   in Loop: Header=BB2_354 Depth=4
	s_or_b32 exec_lo, exec_lo, s17
	v_mul_f32_e32 v74, v73, v74
	v_and_b32_e32 v73, 0x7f800000, v74
	v_cmp_ne_u32_e64 s16, 0x7f800000, v73
	v_mov_b32_e32 v73, 0x80
	s_and_saveexec_b32 s63, s16
	s_cbranch_execz .LBB2_374
; %bb.367:                              ;   in Loop: Header=BB2_354 Depth=4
	v_mov_b32_e32 v73, 0
	s_mov_b32 s72, exec_lo
	v_cmpx_ne_u32_e32 0, v74
	s_cbranch_execz .LBB2_373
; %bb.368:                              ;   in Loop: Header=BB2_354 Depth=4
	v_bfe_u32 v73, v74, 23, 8
	v_and_b32_e32 v75, 0x7fffff, v74
	v_sub_nc_u32_e32 v76, 0x70, v73
	v_cmp_gt_u32_e64 s16, 0x71, v73
	v_or_b32_e32 v77, 0x800000, v75
	v_cndmask_b32_e64 v76, 0, v76, s16
	v_cmp_eq_u32_e64 s16, 0, v73
	v_add_nc_u32_e32 v73, 0xffffff91, v73
	v_cndmask_b32_e64 v76, v76, 0x6f, s16
	v_cndmask_b32_e64 v75, v77, v75, s16
	;; [unrolled: 1-line block ×3, first 2 shown]
	v_lshl_add_u32 v77, 0x200000, v76, -1
	v_lshrrev_b32_e32 v78, v76, v75
	v_lshlrev_b32_e64 v88, v76, 0x100000
	v_add_nc_u32_e32 v76, v76, v73
	v_and_b32_e32 v75, v77, v75
	v_bfe_u32 v79, v78, 21, 1
	v_cmp_eq_u32_e64 s17, v75, v88
	v_add_nc_u32_e32 v77, -1, v79
	v_cndmask_b32_e64 v75, 0, v77, s17
	v_lshrrev_b32_e32 v77, 23, v78
	s_mov_b32 s17, exec_lo
	v_add_nc_u32_e32 v75, v75, v78
	v_xor_b32_e32 v77, 1, v77
	v_and_b32_e32 v73, 0x1fffff, v75
	v_add_nc_u32_e32 v75, v73, v78
                                        ; implicit-def: $vgpr73
	v_cmpx_ne_u32_e64 v76, v77
	s_xor_b32 s17, exec_lo, s17
; %bb.369:                              ;   in Loop: Header=BB2_354 Depth=4
	v_cmp_lt_u32_e64 s16, 0xffffff, v75
	v_sub_nc_u32_e32 v73, v76, v77
	v_cndmask_b32_e64 v76, 0, 1, s16
	v_add_co_ci_u32_e64 v73, null, 0, v73, s16
	v_lshrrev_b32_e32 v75, v76, v75
; %bb.370:                              ;   in Loop: Header=BB2_354 Depth=4
	s_andn2_saveexec_b32 s16, s17
; %bb.371:                              ;   in Loop: Header=BB2_354 Depth=4
	v_bfe_u32 v73, v75, 23, 1
; %bb.372:                              ;   in Loop: Header=BB2_354 Depth=4
	s_or_b32 exec_lo, exec_lo, s16
	v_lshrrev_b32_e32 v75, 21, v75
	v_min_i32_e32 v76, 31, v73
	v_cmp_gt_i32_e64 s16, 32, v73
	v_and_b32_sdwa v74, v74, v101 dst_sel:DWORD dst_unused:UNUSED_PAD src0_sel:BYTE_3 src1_sel:DWORD
	v_lshlrev_b32_e32 v76, 2, v76
	v_cndmask_b32_e64 v75, 3, v75, s16
	v_and_b32_e32 v76, 0xfc, v76
	v_and_b32_e32 v77, 3, v75
	v_or_b32_e32 v73, v73, v75
	v_or3_b32 v74, v76, v74, v77
	v_cmp_ne_u32_e64 s16, 0, v73
	v_cndmask_b32_e64 v73, 0, v74, s16
.LBB2_373:                              ;   in Loop: Header=BB2_354 Depth=4
	s_or_b32 exec_lo, exec_lo, s72
.LBB2_374:                              ;   in Loop: Header=BB2_354 Depth=4
	s_or_b32 exec_lo, exec_lo, s63
	v_cmp_gt_i16_sdwa s17, v12, v100 src0_sel:BYTE_1 src1_sel:DWORD
	s_mov_b32 s16, 0
	s_and_saveexec_b32 s63, s17
	s_xor_b32 s17, exec_lo, s63
	s_cbranch_execz .LBB2_676
; %bb.375:                              ;   in Loop: Header=BB2_354 Depth=4
	v_cmp_eq_u16_sdwa s72, v12, v101 src0_sel:BYTE_1 src1_sel:DWORD
	s_mov_b32 s16, -1
	s_and_saveexec_b32 s63, s72
; %bb.376:                              ;   in Loop: Header=BB2_354 Depth=4
	s_xor_b32 s16, exec_lo, -1
; %bb.377:                              ;   in Loop: Header=BB2_354 Depth=4
	s_or_b32 exec_lo, exec_lo, s63
	s_and_b32 s16, s16, exec_lo
	s_or_saveexec_b32 s17, s17
	v_mov_b32_e32 v74, 0x7f800001
	s_xor_b32 exec_lo, exec_lo, s17
	s_cbranch_execnz .LBB2_677
.LBB2_378:                              ;   in Loop: Header=BB2_354 Depth=4
	s_or_b32 exec_lo, exec_lo, s17
	s_and_saveexec_b32 s17, s16
	s_cbranch_execz .LBB2_380
.LBB2_379:                              ;   in Loop: Header=BB2_354 Depth=4
	v_and_b32_sdwa v74, v102, v12 dst_sel:DWORD dst_unused:UNUSED_PAD src0_sel:DWORD src1_sel:BYTE_1
	v_and_b32_e32 v75, 3, v74
	v_bfe_u32 v78, v74, 2, 5
	v_ffbh_u32_e32 v76, v75
	v_cmp_eq_u32_e64 s16, 0, v78
	v_min_u32_e32 v76, 32, v76
	v_subrev_nc_u32_e32 v77, 29, v76
	v_sub_nc_u32_e32 v76, 30, v76
	v_lshlrev_b32_e32 v74, v77, v74
	v_lshlrev_b32_sdwa v77, v103, v12 dst_sel:DWORD dst_unused:UNUSED_PAD src0_sel:DWORD src1_sel:BYTE_1
	v_cndmask_b32_e64 v76, v78, v76, s16
	v_and_b32_e32 v74, 3, v74
	v_lshl_add_u32 v76, v76, 23, 0x37800000
	v_cndmask_b32_e64 v74, v75, v74, s16
	v_and_b32_e32 v75, 0x80000000, v77
	v_lshlrev_b32_e32 v74, 21, v74
	v_or3_b32 v74, v75, v76, v74
.LBB2_380:                              ;   in Loop: Header=BB2_354 Depth=4
	s_or_b32 exec_lo, exec_lo, s17
	v_cmp_gt_i16_sdwa s17, v8, v100 src0_sel:BYTE_1 src1_sel:DWORD
	s_mov_b32 s16, 0
	s_and_saveexec_b32 s63, s17
	s_xor_b32 s17, exec_lo, s63
	s_cbranch_execz .LBB2_678
; %bb.381:                              ;   in Loop: Header=BB2_354 Depth=4
	v_cmp_eq_u16_sdwa s72, v8, v101 src0_sel:BYTE_1 src1_sel:DWORD
	s_mov_b32 s16, -1
	s_and_saveexec_b32 s63, s72
; %bb.382:                              ;   in Loop: Header=BB2_354 Depth=4
	s_xor_b32 s16, exec_lo, -1
; %bb.383:                              ;   in Loop: Header=BB2_354 Depth=4
	s_or_b32 exec_lo, exec_lo, s63
	s_and_b32 s16, s16, exec_lo
	s_or_saveexec_b32 s17, s17
	v_mov_b32_e32 v75, 0x7f800001
	s_xor_b32 exec_lo, exec_lo, s17
	s_cbranch_execnz .LBB2_679
.LBB2_384:                              ;   in Loop: Header=BB2_354 Depth=4
	s_or_b32 exec_lo, exec_lo, s17
	s_and_saveexec_b32 s17, s16
	s_cbranch_execz .LBB2_386
.LBB2_385:                              ;   in Loop: Header=BB2_354 Depth=4
	v_and_b32_sdwa v75, v102, v8 dst_sel:DWORD dst_unused:UNUSED_PAD src0_sel:DWORD src1_sel:BYTE_1
	v_and_b32_e32 v76, 3, v75
	v_bfe_u32 v79, v75, 2, 5
	v_ffbh_u32_e32 v77, v76
	v_cmp_eq_u32_e64 s16, 0, v79
	v_min_u32_e32 v77, 32, v77
	v_subrev_nc_u32_e32 v78, 29, v77
	v_sub_nc_u32_e32 v77, 30, v77
	v_lshlrev_b32_e32 v75, v78, v75
	v_lshlrev_b32_sdwa v78, v103, v8 dst_sel:DWORD dst_unused:UNUSED_PAD src0_sel:DWORD src1_sel:BYTE_1
	v_cndmask_b32_e64 v77, v79, v77, s16
	v_and_b32_e32 v75, 3, v75
	v_lshl_add_u32 v77, v77, 23, 0x37800000
	v_cndmask_b32_e64 v75, v76, v75, s16
	v_and_b32_e32 v76, 0x80000000, v78
	v_lshlrev_b32_e32 v75, 21, v75
	v_or3_b32 v75, v76, v77, v75
.LBB2_386:                              ;   in Loop: Header=BB2_354 Depth=4
	s_or_b32 exec_lo, exec_lo, s17
	v_mul_f32_e32 v75, v74, v75
	v_and_b32_e32 v74, 0x7f800000, v75
	v_cmp_ne_u32_e64 s16, 0x7f800000, v74
	v_mov_b32_e32 v74, 0x8000
	s_and_saveexec_b32 s63, s16
	s_cbranch_execz .LBB2_394
; %bb.387:                              ;   in Loop: Header=BB2_354 Depth=4
	v_mov_b32_e32 v74, 0
	s_mov_b32 s72, exec_lo
	v_cmpx_ne_u32_e32 0, v75
	s_cbranch_execz .LBB2_393
; %bb.388:                              ;   in Loop: Header=BB2_354 Depth=4
	v_bfe_u32 v74, v75, 23, 8
	v_and_b32_e32 v76, 0x7fffff, v75
	v_sub_nc_u32_e32 v77, 0x70, v74
	v_cmp_gt_u32_e64 s16, 0x71, v74
	v_or_b32_e32 v78, 0x800000, v76
	v_cndmask_b32_e64 v77, 0, v77, s16
	v_cmp_eq_u32_e64 s16, 0, v74
	v_add_nc_u32_e32 v74, 0xffffff91, v74
	v_cndmask_b32_e64 v77, v77, 0x6f, s16
	v_cndmask_b32_e64 v76, v78, v76, s16
	;; [unrolled: 1-line block ×3, first 2 shown]
	v_lshl_add_u32 v78, 0x200000, v77, -1
	v_lshrrev_b32_e32 v79, v77, v76
	v_lshlrev_b32_e64 v89, v77, 0x100000
	v_add_nc_u32_e32 v77, v77, v74
	v_and_b32_e32 v76, v78, v76
	v_bfe_u32 v88, v79, 21, 1
	v_cmp_eq_u32_e64 s17, v76, v89
	v_add_nc_u32_e32 v78, -1, v88
	v_cndmask_b32_e64 v76, 0, v78, s17
	v_lshrrev_b32_e32 v78, 23, v79
	s_mov_b32 s17, exec_lo
	v_add_nc_u32_e32 v76, v76, v79
	v_xor_b32_e32 v78, 1, v78
	v_and_b32_e32 v74, 0x1fffff, v76
	v_add_nc_u32_e32 v76, v74, v79
                                        ; implicit-def: $vgpr74
	v_cmpx_ne_u32_e64 v77, v78
	s_xor_b32 s17, exec_lo, s17
; %bb.389:                              ;   in Loop: Header=BB2_354 Depth=4
	v_cmp_lt_u32_e64 s16, 0xffffff, v76
	v_sub_nc_u32_e32 v74, v77, v78
	v_cndmask_b32_e64 v77, 0, 1, s16
	v_add_co_ci_u32_e64 v74, null, 0, v74, s16
	v_lshrrev_b32_e32 v76, v77, v76
; %bb.390:                              ;   in Loop: Header=BB2_354 Depth=4
	s_andn2_saveexec_b32 s16, s17
; %bb.391:                              ;   in Loop: Header=BB2_354 Depth=4
	v_bfe_u32 v74, v76, 23, 1
; %bb.392:                              ;   in Loop: Header=BB2_354 Depth=4
	s_or_b32 exec_lo, exec_lo, s16
	v_lshrrev_b32_e32 v76, 21, v76
	v_min_i32_e32 v77, 31, v74
	v_cmp_gt_i32_e64 s16, 32, v74
	v_and_b32_sdwa v75, v75, v101 dst_sel:DWORD dst_unused:UNUSED_PAD src0_sel:BYTE_3 src1_sel:DWORD
	v_lshlrev_b32_e32 v77, 2, v77
	v_cndmask_b32_e64 v76, 3, v76, s16
	v_and_b32_e32 v77, 0xfc, v77
	v_and_b32_e32 v78, 3, v76
	v_or_b32_e32 v74, v74, v76
	v_or3_b32 v75, v75, v77, v78
	v_cmp_ne_u32_e64 s16, 0, v74
	v_lshlrev_b32_e32 v75, 8, v75
	v_cndmask_b32_e64 v74, 0, v75, s16
.LBB2_393:                              ;   in Loop: Header=BB2_354 Depth=4
	s_or_b32 exec_lo, exec_lo, s72
.LBB2_394:                              ;   in Loop: Header=BB2_354 Depth=4
	s_or_b32 exec_lo, exec_lo, s63
	v_and_b32_sdwa v76, v12, v112 dst_sel:DWORD dst_unused:UNUSED_PAD src0_sel:WORD_1 src1_sel:DWORD
	s_mov_b32 s17, 0
	s_mov_b32 s63, exec_lo
	v_cmpx_lt_i16_e32 0x7f, v76
	s_xor_b32 s63, exec_lo, s63
	s_cbranch_execz .LBB2_680
; %bb.395:                              ;   in Loop: Header=BB2_354 Depth=4
	s_mov_b32 s17, -1
	s_mov_b32 s72, exec_lo
	v_cmpx_eq_u16_e32 0x80, v76
; %bb.396:                              ;   in Loop: Header=BB2_354 Depth=4
	s_xor_b32 s17, exec_lo, -1
; %bb.397:                              ;   in Loop: Header=BB2_354 Depth=4
	s_or_b32 exec_lo, exec_lo, s72
	s_and_b32 s17, s17, exec_lo
                                        ; implicit-def: $vgpr76
	s_or_saveexec_b32 s63, s63
	v_mov_b32_e32 v75, 0x7f800001
	s_xor_b32 exec_lo, exec_lo, s63
	s_cbranch_execnz .LBB2_681
.LBB2_398:                              ;   in Loop: Header=BB2_354 Depth=4
	s_or_b32 exec_lo, exec_lo, s63
	s_and_saveexec_b32 s63, s17
	s_cbranch_execz .LBB2_400
.LBB2_399:                              ;   in Loop: Header=BB2_354 Depth=4
	v_bfe_u32 v75, v12, 16, 2
	v_bfe_u32 v78, v12, 18, 5
	v_lshlrev_b32_e32 v79, 8, v12
	v_ffbh_u32_e32 v76, v75
	v_cmp_eq_u32_e64 s16, 0, v78
	v_min_u32_e32 v76, 32, v76
	v_subrev_nc_u32_e32 v77, 29, v76
	v_sub_nc_u32_e32 v76, 30, v76
	v_lshlrev_b32_sdwa v77, v77, v12 dst_sel:DWORD dst_unused:UNUSED_PAD src0_sel:DWORD src1_sel:WORD_1
	v_cndmask_b32_e64 v76, v78, v76, s16
	v_and_b32_e32 v77, 3, v77
	v_lshl_add_u32 v76, v76, 23, 0x37800000
	v_cndmask_b32_e64 v75, v75, v77, s16
	v_and_b32_e32 v77, 0x80000000, v79
	v_lshlrev_b32_e32 v75, 21, v75
	v_or3_b32 v75, v77, v76, v75
.LBB2_400:                              ;   in Loop: Header=BB2_354 Depth=4
	s_or_b32 exec_lo, exec_lo, s63
	v_and_b32_sdwa v77, v8, v112 dst_sel:DWORD dst_unused:UNUSED_PAD src0_sel:WORD_1 src1_sel:DWORD
	s_mov_b32 s17, 0
	s_mov_b32 s63, exec_lo
	v_cmpx_lt_i16_e32 0x7f, v77
	s_xor_b32 s63, exec_lo, s63
	s_cbranch_execz .LBB2_682
; %bb.401:                              ;   in Loop: Header=BB2_354 Depth=4
	s_mov_b32 s17, -1
	s_mov_b32 s72, exec_lo
	v_cmpx_eq_u16_e32 0x80, v77
; %bb.402:                              ;   in Loop: Header=BB2_354 Depth=4
	s_xor_b32 s17, exec_lo, -1
; %bb.403:                              ;   in Loop: Header=BB2_354 Depth=4
	s_or_b32 exec_lo, exec_lo, s72
	s_and_b32 s17, s17, exec_lo
                                        ; implicit-def: $vgpr77
	s_or_saveexec_b32 s63, s63
	v_mov_b32_e32 v76, 0x7f800001
	s_xor_b32 exec_lo, exec_lo, s63
	s_cbranch_execnz .LBB2_683
.LBB2_404:                              ;   in Loop: Header=BB2_354 Depth=4
	s_or_b32 exec_lo, exec_lo, s63
	s_and_saveexec_b32 s63, s17
	s_cbranch_execz .LBB2_406
.LBB2_405:                              ;   in Loop: Header=BB2_354 Depth=4
	v_and_b32_sdwa v76, v8, v113 dst_sel:DWORD dst_unused:UNUSED_PAD src0_sel:WORD_1 src1_sel:DWORD
	v_bfe_u32 v79, v8, 18, 5
	v_lshlrev_b32_sdwa v88, v103, v8 dst_sel:DWORD dst_unused:UNUSED_PAD src0_sel:DWORD src1_sel:WORD_1
	v_ffbh_u32_e32 v77, v76
	v_cmp_eq_u32_e64 s16, 0, v79
	v_min_u32_e32 v77, 32, v77
	v_subrev_nc_u32_e32 v78, 29, v77
	v_sub_nc_u32_e32 v77, 30, v77
	v_lshlrev_b32_sdwa v78, v78, v8 dst_sel:DWORD dst_unused:UNUSED_PAD src0_sel:DWORD src1_sel:WORD_1
	v_cndmask_b32_e64 v77, v79, v77, s16
	v_and_b32_e32 v78, 3, v78
	v_lshl_add_u32 v77, v77, 23, 0x37800000
	v_cndmask_b32_e64 v76, v76, v78, s16
	v_and_b32_e32 v78, 0x80000000, v88
	v_lshlrev_b32_e32 v76, 21, v76
	v_or3_b32 v76, v78, v77, v76
.LBB2_406:                              ;   in Loop: Header=BB2_354 Depth=4
	s_or_b32 exec_lo, exec_lo, s63
	v_mul_f32_e32 v76, v75, v76
	v_and_b32_e32 v75, 0x7f800000, v76
	v_cmp_ne_u32_e64 s16, 0x7f800000, v75
	v_mov_b32_e32 v75, 0x80
	s_and_saveexec_b32 s63, s16
	s_cbranch_execz .LBB2_414
; %bb.407:                              ;   in Loop: Header=BB2_354 Depth=4
	v_mov_b32_e32 v75, 0
	s_mov_b32 s72, exec_lo
	v_cmpx_ne_u32_e32 0, v76
	s_cbranch_execz .LBB2_413
; %bb.408:                              ;   in Loop: Header=BB2_354 Depth=4
	v_bfe_u32 v75, v76, 23, 8
	v_and_b32_e32 v77, 0x7fffff, v76
	v_sub_nc_u32_e32 v78, 0x70, v75
	v_cmp_gt_u32_e64 s16, 0x71, v75
	v_or_b32_e32 v79, 0x800000, v77
	v_cndmask_b32_e64 v78, 0, v78, s16
	v_cmp_eq_u32_e64 s16, 0, v75
	v_add_nc_u32_e32 v75, 0xffffff91, v75
	v_cndmask_b32_e64 v78, v78, 0x6f, s16
	v_cndmask_b32_e64 v77, v79, v77, s16
	;; [unrolled: 1-line block ×3, first 2 shown]
	v_lshl_add_u32 v79, 0x200000, v78, -1
	v_lshrrev_b32_e32 v88, v78, v77
	v_lshlrev_b32_e64 v90, v78, 0x100000
	v_add_nc_u32_e32 v78, v78, v75
	v_and_b32_e32 v77, v79, v77
	v_bfe_u32 v89, v88, 21, 1
	v_cmp_eq_u32_e64 s17, v77, v90
	v_add_nc_u32_e32 v79, -1, v89
	v_cndmask_b32_e64 v77, 0, v79, s17
	v_lshrrev_b32_e32 v79, 23, v88
	s_mov_b32 s17, exec_lo
	v_add_nc_u32_e32 v77, v77, v88
	v_xor_b32_e32 v79, 1, v79
	v_and_b32_e32 v75, 0x1fffff, v77
	v_add_nc_u32_e32 v77, v75, v88
                                        ; implicit-def: $vgpr75
	v_cmpx_ne_u32_e64 v78, v79
	s_xor_b32 s17, exec_lo, s17
; %bb.409:                              ;   in Loop: Header=BB2_354 Depth=4
	v_cmp_lt_u32_e64 s16, 0xffffff, v77
	v_sub_nc_u32_e32 v75, v78, v79
	v_cndmask_b32_e64 v78, 0, 1, s16
	v_add_co_ci_u32_e64 v75, null, 0, v75, s16
	v_lshrrev_b32_e32 v77, v78, v77
; %bb.410:                              ;   in Loop: Header=BB2_354 Depth=4
	s_andn2_saveexec_b32 s16, s17
; %bb.411:                              ;   in Loop: Header=BB2_354 Depth=4
	v_bfe_u32 v75, v77, 23, 1
; %bb.412:                              ;   in Loop: Header=BB2_354 Depth=4
	s_or_b32 exec_lo, exec_lo, s16
	v_lshrrev_b32_e32 v77, 21, v77
	v_min_i32_e32 v78, 31, v75
	v_cmp_gt_i32_e64 s16, 32, v75
	v_and_b32_sdwa v76, v76, v101 dst_sel:DWORD dst_unused:UNUSED_PAD src0_sel:BYTE_3 src1_sel:DWORD
	v_lshlrev_b32_e32 v78, 2, v78
	v_cndmask_b32_e64 v77, 3, v77, s16
	v_and_b32_e32 v78, 0xfc, v78
	v_and_b32_e32 v79, 3, v77
	v_or_b32_e32 v75, v75, v77
	v_or3_b32 v76, v78, v76, v79
	v_cmp_ne_u32_e64 s16, 0, v75
	v_cndmask_b32_e64 v75, 0, v76, s16
.LBB2_413:                              ;   in Loop: Header=BB2_354 Depth=4
	s_or_b32 exec_lo, exec_lo, s72
.LBB2_414:                              ;   in Loop: Header=BB2_354 Depth=4
	s_or_b32 exec_lo, exec_lo, s63
	v_cmp_gt_i16_sdwa s17, v12, v100 src0_sel:BYTE_3 src1_sel:DWORD
	s_mov_b32 s16, 0
	s_and_saveexec_b32 s63, s17
	s_xor_b32 s17, exec_lo, s63
	s_cbranch_execz .LBB2_684
; %bb.415:                              ;   in Loop: Header=BB2_354 Depth=4
	v_cmp_eq_u16_sdwa s72, v12, v101 src0_sel:BYTE_3 src1_sel:DWORD
	s_mov_b32 s16, -1
	s_and_saveexec_b32 s63, s72
; %bb.416:                              ;   in Loop: Header=BB2_354 Depth=4
	s_xor_b32 s16, exec_lo, -1
; %bb.417:                              ;   in Loop: Header=BB2_354 Depth=4
	s_or_b32 exec_lo, exec_lo, s63
	s_and_b32 s16, s16, exec_lo
	s_or_saveexec_b32 s17, s17
	v_mov_b32_e32 v76, 0x7f800001
	s_xor_b32 exec_lo, exec_lo, s17
	s_cbranch_execnz .LBB2_685
.LBB2_418:                              ;   in Loop: Header=BB2_354 Depth=4
	s_or_b32 exec_lo, exec_lo, s17
	s_and_saveexec_b32 s17, s16
	s_cbranch_execz .LBB2_420
.LBB2_419:                              ;   in Loop: Header=BB2_354 Depth=4
	v_bfe_u32 v76, v12, 24, 2
	v_bfe_u32 v79, v12, 26, 5
	v_ffbh_u32_e32 v77, v76
	v_cmp_eq_u32_e64 s16, 0, v79
	v_min_u32_e32 v77, 32, v77
	v_subrev_nc_u32_e32 v78, 29, v77
	v_sub_nc_u32_e32 v77, 30, v77
	v_lshlrev_b32_sdwa v78, v78, v12 dst_sel:DWORD dst_unused:UNUSED_PAD src0_sel:DWORD src1_sel:BYTE_3
	v_cndmask_b32_e64 v77, v79, v77, s16
	v_and_b32_e32 v12, 0x80000000, v12
	v_and_b32_e32 v78, 3, v78
	v_lshl_add_u32 v77, v77, 23, 0x37800000
	v_cndmask_b32_e64 v76, v76, v78, s16
	v_lshlrev_b32_e32 v76, 21, v76
	v_or3_b32 v76, v12, v77, v76
.LBB2_420:                              ;   in Loop: Header=BB2_354 Depth=4
	s_or_b32 exec_lo, exec_lo, s17
	v_cmp_gt_i16_sdwa s17, v8, v100 src0_sel:BYTE_3 src1_sel:DWORD
	s_mov_b32 s16, 0
	s_and_saveexec_b32 s63, s17
	s_xor_b32 s17, exec_lo, s63
	s_cbranch_execz .LBB2_686
; %bb.421:                              ;   in Loop: Header=BB2_354 Depth=4
	v_cmp_eq_u16_sdwa s72, v8, v101 src0_sel:BYTE_3 src1_sel:DWORD
	s_mov_b32 s16, -1
	s_and_saveexec_b32 s63, s72
; %bb.422:                              ;   in Loop: Header=BB2_354 Depth=4
	s_xor_b32 s16, exec_lo, -1
; %bb.423:                              ;   in Loop: Header=BB2_354 Depth=4
	s_or_b32 exec_lo, exec_lo, s63
	s_and_b32 s16, s16, exec_lo
	s_or_saveexec_b32 s17, s17
	v_mov_b32_e32 v12, 0x7f800001
	s_xor_b32 exec_lo, exec_lo, s17
	s_cbranch_execnz .LBB2_687
.LBB2_424:                              ;   in Loop: Header=BB2_354 Depth=4
	s_or_b32 exec_lo, exec_lo, s17
	s_and_saveexec_b32 s17, s16
	s_cbranch_execz .LBB2_426
.LBB2_425:                              ;   in Loop: Header=BB2_354 Depth=4
	v_and_b32_sdwa v12, v8, v113 dst_sel:DWORD dst_unused:UNUSED_PAD src0_sel:BYTE_3 src1_sel:DWORD
	v_bfe_u32 v79, v8, 26, 5
	v_ffbh_u32_e32 v77, v12
	v_cmp_eq_u32_e64 s16, 0, v79
	v_min_u32_e32 v77, 32, v77
	v_subrev_nc_u32_e32 v78, 29, v77
	v_sub_nc_u32_e32 v77, 30, v77
	v_lshlrev_b32_sdwa v78, v78, v8 dst_sel:DWORD dst_unused:UNUSED_PAD src0_sel:DWORD src1_sel:BYTE_3
	v_cndmask_b32_e64 v77, v79, v77, s16
	v_and_b32_e32 v8, 0x80000000, v8
	v_and_b32_e32 v78, 3, v78
	v_lshl_add_u32 v77, v77, 23, 0x37800000
	v_cndmask_b32_e64 v12, v12, v78, s16
	v_lshlrev_b32_e32 v12, 21, v12
	v_or3_b32 v12, v8, v77, v12
.LBB2_426:                              ;   in Loop: Header=BB2_354 Depth=4
	s_or_b32 exec_lo, exec_lo, s17
	v_mul_f32_e32 v12, v76, v12
	v_and_b32_e32 v8, 0x7f800000, v12
	v_cmp_ne_u32_e64 s16, 0x7f800000, v8
	v_mov_b32_e32 v8, 0x8000
	s_and_saveexec_b32 s63, s16
	s_cbranch_execz .LBB2_434
; %bb.427:                              ;   in Loop: Header=BB2_354 Depth=4
	v_mov_b32_e32 v8, 0
	s_mov_b32 s72, exec_lo
	v_cmpx_ne_u32_e32 0, v12
	s_cbranch_execz .LBB2_433
; %bb.428:                              ;   in Loop: Header=BB2_354 Depth=4
	v_bfe_u32 v8, v12, 23, 8
	v_and_b32_e32 v76, 0x7fffff, v12
	v_sub_nc_u32_e32 v77, 0x70, v8
	v_cmp_gt_u32_e64 s16, 0x71, v8
	v_or_b32_e32 v78, 0x800000, v76
	v_cndmask_b32_e64 v77, 0, v77, s16
	v_cmp_eq_u32_e64 s16, 0, v8
	v_add_nc_u32_e32 v8, 0xffffff91, v8
	v_cndmask_b32_e64 v77, v77, 0x6f, s16
	v_cndmask_b32_e64 v76, v78, v76, s16
	;; [unrolled: 1-line block ×3, first 2 shown]
	v_lshl_add_u32 v78, 0x200000, v77, -1
	v_lshrrev_b32_e32 v79, v77, v76
	v_lshlrev_b32_e64 v89, v77, 0x100000
	v_add_nc_u32_e32 v77, v77, v8
	v_and_b32_e32 v76, v78, v76
	v_bfe_u32 v88, v79, 21, 1
	v_cmp_eq_u32_e64 s17, v76, v89
	v_add_nc_u32_e32 v78, -1, v88
	v_cndmask_b32_e64 v76, 0, v78, s17
	v_lshrrev_b32_e32 v78, 23, v79
	s_mov_b32 s17, exec_lo
	v_add_nc_u32_e32 v76, v76, v79
	v_xor_b32_e32 v78, 1, v78
	v_and_b32_e32 v8, 0x1fffff, v76
	v_add_nc_u32_e32 v76, v8, v79
                                        ; implicit-def: $vgpr8
	v_cmpx_ne_u32_e64 v77, v78
	s_xor_b32 s17, exec_lo, s17
; %bb.429:                              ;   in Loop: Header=BB2_354 Depth=4
	v_cmp_lt_u32_e64 s16, 0xffffff, v76
	v_sub_nc_u32_e32 v8, v77, v78
	v_cndmask_b32_e64 v77, 0, 1, s16
	v_add_co_ci_u32_e64 v8, null, 0, v8, s16
	v_lshrrev_b32_e32 v76, v77, v76
; %bb.430:                              ;   in Loop: Header=BB2_354 Depth=4
	s_andn2_saveexec_b32 s16, s17
; %bb.431:                              ;   in Loop: Header=BB2_354 Depth=4
	v_bfe_u32 v8, v76, 23, 1
; %bb.432:                              ;   in Loop: Header=BB2_354 Depth=4
	s_or_b32 exec_lo, exec_lo, s16
	v_lshrrev_b32_e32 v76, 21, v76
	v_min_i32_e32 v77, 31, v8
	v_cmp_gt_i32_e64 s16, 32, v8
	v_and_b32_sdwa v12, v12, v101 dst_sel:DWORD dst_unused:UNUSED_PAD src0_sel:BYTE_3 src1_sel:DWORD
	v_lshlrev_b32_e32 v77, 2, v77
	v_cndmask_b32_e64 v76, 3, v76, s16
	v_and_b32_e32 v77, 0xfc, v77
	v_and_b32_e32 v78, 3, v76
	v_or_b32_e32 v8, v8, v76
	v_or3_b32 v12, v12, v77, v78
	v_cmp_ne_u32_e64 s16, 0, v8
	v_lshlrev_b32_e32 v12, 8, v12
	v_cndmask_b32_e64 v8, 0, v12, s16
.LBB2_433:                              ;   in Loop: Header=BB2_354 Depth=4
	s_or_b32 exec_lo, exec_lo, s72
.LBB2_434:                              ;   in Loop: Header=BB2_354 Depth=4
	s_or_b32 exec_lo, exec_lo, s63
	v_cmp_gt_i16_sdwa s17, v13, v100 src0_sel:BYTE_0 src1_sel:DWORD
	s_mov_b32 s16, 0
	s_and_saveexec_b32 s63, s17
	s_xor_b32 s17, exec_lo, s63
	s_cbranch_execz .LBB2_688
; %bb.435:                              ;   in Loop: Header=BB2_354 Depth=4
	v_cmp_eq_u16_sdwa s72, v13, v101 src0_sel:BYTE_0 src1_sel:DWORD
	s_mov_b32 s16, -1
	s_and_saveexec_b32 s63, s72
; %bb.436:                              ;   in Loop: Header=BB2_354 Depth=4
	s_xor_b32 s16, exec_lo, -1
; %bb.437:                              ;   in Loop: Header=BB2_354 Depth=4
	s_or_b32 exec_lo, exec_lo, s63
	s_and_b32 s16, s16, exec_lo
	s_or_saveexec_b32 s17, s17
	v_mov_b32_e32 v12, 0x7f800001
	s_xor_b32 exec_lo, exec_lo, s17
	s_cbranch_execnz .LBB2_689
.LBB2_438:                              ;   in Loop: Header=BB2_354 Depth=4
	s_or_b32 exec_lo, exec_lo, s17
	s_and_saveexec_b32 s17, s16
	s_cbranch_execz .LBB2_440
.LBB2_439:                              ;   in Loop: Header=BB2_354 Depth=4
	v_and_b32_e32 v12, 3, v13
	v_bfe_u32 v78, v13, 2, 5
	v_lshlrev_b32_e32 v79, 24, v13
	v_ffbh_u32_e32 v76, v12
	v_cmp_eq_u32_e64 s16, 0, v78
	v_min_u32_e32 v76, 32, v76
	v_subrev_nc_u32_e32 v77, 29, v76
	v_sub_nc_u32_e32 v76, 30, v76
	v_lshlrev_b32_e32 v77, v77, v13
	v_cndmask_b32_e64 v76, v78, v76, s16
	v_and_b32_e32 v77, 3, v77
	v_lshl_add_u32 v76, v76, 23, 0x37800000
	v_cndmask_b32_e64 v12, v12, v77, s16
	v_and_b32_e32 v77, 0x80000000, v79
	v_lshlrev_b32_e32 v12, 21, v12
	v_or3_b32 v12, v77, v76, v12
.LBB2_440:                              ;   in Loop: Header=BB2_354 Depth=4
	s_or_b32 exec_lo, exec_lo, s17
	v_cmp_gt_i16_sdwa s17, v9, v100 src0_sel:BYTE_0 src1_sel:DWORD
	s_mov_b32 s16, 0
	s_and_saveexec_b32 s63, s17
	s_xor_b32 s17, exec_lo, s63
	s_cbranch_execz .LBB2_690
; %bb.441:                              ;   in Loop: Header=BB2_354 Depth=4
	v_cmp_eq_u16_sdwa s72, v9, v101 src0_sel:BYTE_0 src1_sel:DWORD
	s_mov_b32 s16, -1
	s_and_saveexec_b32 s63, s72
; %bb.442:                              ;   in Loop: Header=BB2_354 Depth=4
	s_xor_b32 s16, exec_lo, -1
; %bb.443:                              ;   in Loop: Header=BB2_354 Depth=4
	s_or_b32 exec_lo, exec_lo, s63
	s_and_b32 s16, s16, exec_lo
	s_or_saveexec_b32 s17, s17
	v_mov_b32_e32 v76, 0x7f800001
	s_xor_b32 exec_lo, exec_lo, s17
	s_cbranch_execnz .LBB2_691
.LBB2_444:                              ;   in Loop: Header=BB2_354 Depth=4
	s_or_b32 exec_lo, exec_lo, s17
	s_and_saveexec_b32 s17, s16
	s_cbranch_execz .LBB2_446
.LBB2_445:                              ;   in Loop: Header=BB2_354 Depth=4
	v_and_b32_e32 v76, 3, v9
	v_bfe_u32 v79, v9, 2, 5
	v_lshlrev_b32_e32 v88, 24, v9
	v_ffbh_u32_e32 v77, v76
	v_cmp_eq_u32_e64 s16, 0, v79
	v_min_u32_e32 v77, 32, v77
	v_subrev_nc_u32_e32 v78, 29, v77
	v_sub_nc_u32_e32 v77, 30, v77
	v_lshlrev_b32_e32 v78, v78, v9
	v_cndmask_b32_e64 v77, v79, v77, s16
	v_and_b32_e32 v78, 3, v78
	v_lshl_add_u32 v77, v77, 23, 0x37800000
	v_cndmask_b32_e64 v76, v76, v78, s16
	v_and_b32_e32 v78, 0x80000000, v88
	v_lshlrev_b32_e32 v76, 21, v76
	v_or3_b32 v76, v78, v77, v76
.LBB2_446:                              ;   in Loop: Header=BB2_354 Depth=4
	s_or_b32 exec_lo, exec_lo, s17
	v_mul_f32_e32 v76, v12, v76
	v_and_b32_e32 v12, 0x7f800000, v76
	v_cmp_ne_u32_e64 s16, 0x7f800000, v12
	v_mov_b32_e32 v12, 0x80
	s_and_saveexec_b32 s63, s16
	s_cbranch_execz .LBB2_454
; %bb.447:                              ;   in Loop: Header=BB2_354 Depth=4
	v_mov_b32_e32 v12, 0
	s_mov_b32 s72, exec_lo
	v_cmpx_ne_u32_e32 0, v76
	s_cbranch_execz .LBB2_453
; %bb.448:                              ;   in Loop: Header=BB2_354 Depth=4
	v_bfe_u32 v12, v76, 23, 8
	v_and_b32_e32 v77, 0x7fffff, v76
	v_sub_nc_u32_e32 v78, 0x70, v12
	v_cmp_gt_u32_e64 s16, 0x71, v12
	v_or_b32_e32 v79, 0x800000, v77
	v_cndmask_b32_e64 v78, 0, v78, s16
	v_cmp_eq_u32_e64 s16, 0, v12
	v_add_nc_u32_e32 v12, 0xffffff91, v12
	v_cndmask_b32_e64 v78, v78, 0x6f, s16
	v_cndmask_b32_e64 v77, v79, v77, s16
	;; [unrolled: 1-line block ×3, first 2 shown]
	v_lshl_add_u32 v79, 0x200000, v78, -1
	v_lshrrev_b32_e32 v88, v78, v77
	v_lshlrev_b32_e64 v90, v78, 0x100000
	v_add_nc_u32_e32 v78, v78, v12
	v_and_b32_e32 v77, v79, v77
	v_bfe_u32 v89, v88, 21, 1
	v_cmp_eq_u32_e64 s17, v77, v90
	v_add_nc_u32_e32 v79, -1, v89
	v_cndmask_b32_e64 v77, 0, v79, s17
	v_lshrrev_b32_e32 v79, 23, v88
	s_mov_b32 s17, exec_lo
	v_add_nc_u32_e32 v77, v77, v88
	v_xor_b32_e32 v79, 1, v79
	v_and_b32_e32 v12, 0x1fffff, v77
	v_add_nc_u32_e32 v77, v12, v88
                                        ; implicit-def: $vgpr12
	v_cmpx_ne_u32_e64 v78, v79
	s_xor_b32 s17, exec_lo, s17
; %bb.449:                              ;   in Loop: Header=BB2_354 Depth=4
	v_cmp_lt_u32_e64 s16, 0xffffff, v77
	v_sub_nc_u32_e32 v12, v78, v79
	v_cndmask_b32_e64 v78, 0, 1, s16
	v_add_co_ci_u32_e64 v12, null, 0, v12, s16
	v_lshrrev_b32_e32 v77, v78, v77
; %bb.450:                              ;   in Loop: Header=BB2_354 Depth=4
	s_andn2_saveexec_b32 s16, s17
; %bb.451:                              ;   in Loop: Header=BB2_354 Depth=4
	v_bfe_u32 v12, v77, 23, 1
; %bb.452:                              ;   in Loop: Header=BB2_354 Depth=4
	s_or_b32 exec_lo, exec_lo, s16
	v_lshrrev_b32_e32 v77, 21, v77
	v_min_i32_e32 v78, 31, v12
	v_cmp_gt_i32_e64 s16, 32, v12
	v_and_b32_sdwa v76, v76, v101 dst_sel:DWORD dst_unused:UNUSED_PAD src0_sel:BYTE_3 src1_sel:DWORD
	v_lshlrev_b32_e32 v78, 2, v78
	v_cndmask_b32_e64 v77, 3, v77, s16
	v_and_b32_e32 v78, 0xfc, v78
	v_and_b32_e32 v79, 3, v77
	v_or_b32_e32 v12, v12, v77
	v_or3_b32 v76, v78, v76, v79
	v_cmp_ne_u32_e64 s16, 0, v12
	v_cndmask_b32_e64 v12, 0, v76, s16
.LBB2_453:                              ;   in Loop: Header=BB2_354 Depth=4
	s_or_b32 exec_lo, exec_lo, s72
.LBB2_454:                              ;   in Loop: Header=BB2_354 Depth=4
	s_or_b32 exec_lo, exec_lo, s63
	v_cmp_gt_i16_sdwa s17, v13, v100 src0_sel:BYTE_1 src1_sel:DWORD
	s_mov_b32 s16, 0
	s_and_saveexec_b32 s63, s17
	s_xor_b32 s17, exec_lo, s63
	s_cbranch_execz .LBB2_692
; %bb.455:                              ;   in Loop: Header=BB2_354 Depth=4
	v_cmp_eq_u16_sdwa s72, v13, v101 src0_sel:BYTE_1 src1_sel:DWORD
	s_mov_b32 s16, -1
	s_and_saveexec_b32 s63, s72
; %bb.456:                              ;   in Loop: Header=BB2_354 Depth=4
	s_xor_b32 s16, exec_lo, -1
; %bb.457:                              ;   in Loop: Header=BB2_354 Depth=4
	s_or_b32 exec_lo, exec_lo, s63
	s_and_b32 s16, s16, exec_lo
	s_or_saveexec_b32 s17, s17
	v_mov_b32_e32 v76, 0x7f800001
	s_xor_b32 exec_lo, exec_lo, s17
	s_cbranch_execnz .LBB2_693
.LBB2_458:                              ;   in Loop: Header=BB2_354 Depth=4
	s_or_b32 exec_lo, exec_lo, s17
	s_and_saveexec_b32 s17, s16
	s_cbranch_execz .LBB2_460
.LBB2_459:                              ;   in Loop: Header=BB2_354 Depth=4
	v_and_b32_sdwa v76, v102, v13 dst_sel:DWORD dst_unused:UNUSED_PAD src0_sel:DWORD src1_sel:BYTE_1
	v_and_b32_e32 v77, 3, v76
	v_bfe_u32 v88, v76, 2, 5
	v_ffbh_u32_e32 v78, v77
	v_cmp_eq_u32_e64 s16, 0, v88
	v_min_u32_e32 v78, 32, v78
	v_subrev_nc_u32_e32 v79, 29, v78
	v_sub_nc_u32_e32 v78, 30, v78
	v_lshlrev_b32_e32 v76, v79, v76
	v_lshlrev_b32_sdwa v79, v103, v13 dst_sel:DWORD dst_unused:UNUSED_PAD src0_sel:DWORD src1_sel:BYTE_1
	v_cndmask_b32_e64 v78, v88, v78, s16
	v_and_b32_e32 v76, 3, v76
	v_lshl_add_u32 v78, v78, 23, 0x37800000
	v_cndmask_b32_e64 v76, v77, v76, s16
	v_and_b32_e32 v77, 0x80000000, v79
	v_lshlrev_b32_e32 v76, 21, v76
	v_or3_b32 v76, v77, v78, v76
.LBB2_460:                              ;   in Loop: Header=BB2_354 Depth=4
	s_or_b32 exec_lo, exec_lo, s17
	v_cmp_gt_i16_sdwa s17, v9, v100 src0_sel:BYTE_1 src1_sel:DWORD
	s_mov_b32 s16, 0
	s_and_saveexec_b32 s63, s17
	s_xor_b32 s17, exec_lo, s63
	s_cbranch_execz .LBB2_694
; %bb.461:                              ;   in Loop: Header=BB2_354 Depth=4
	v_cmp_eq_u16_sdwa s72, v9, v101 src0_sel:BYTE_1 src1_sel:DWORD
	s_mov_b32 s16, -1
	s_and_saveexec_b32 s63, s72
; %bb.462:                              ;   in Loop: Header=BB2_354 Depth=4
	s_xor_b32 s16, exec_lo, -1
; %bb.463:                              ;   in Loop: Header=BB2_354 Depth=4
	s_or_b32 exec_lo, exec_lo, s63
	s_and_b32 s16, s16, exec_lo
	s_or_saveexec_b32 s17, s17
	v_mov_b32_e32 v77, 0x7f800001
	s_xor_b32 exec_lo, exec_lo, s17
	s_cbranch_execnz .LBB2_695
.LBB2_464:                              ;   in Loop: Header=BB2_354 Depth=4
	s_or_b32 exec_lo, exec_lo, s17
	s_and_saveexec_b32 s17, s16
	s_cbranch_execz .LBB2_466
.LBB2_465:                              ;   in Loop: Header=BB2_354 Depth=4
	v_and_b32_sdwa v77, v102, v9 dst_sel:DWORD dst_unused:UNUSED_PAD src0_sel:DWORD src1_sel:BYTE_1
	v_and_b32_e32 v78, 3, v77
	v_bfe_u32 v89, v77, 2, 5
	v_ffbh_u32_e32 v79, v78
	v_cmp_eq_u32_e64 s16, 0, v89
	v_min_u32_e32 v79, 32, v79
	v_subrev_nc_u32_e32 v88, 29, v79
	v_sub_nc_u32_e32 v79, 30, v79
	v_lshlrev_b32_e32 v77, v88, v77
	v_lshlrev_b32_sdwa v88, v103, v9 dst_sel:DWORD dst_unused:UNUSED_PAD src0_sel:DWORD src1_sel:BYTE_1
	v_cndmask_b32_e64 v79, v89, v79, s16
	v_and_b32_e32 v77, 3, v77
	v_lshl_add_u32 v79, v79, 23, 0x37800000
	v_cndmask_b32_e64 v77, v78, v77, s16
	v_and_b32_e32 v78, 0x80000000, v88
	v_lshlrev_b32_e32 v77, 21, v77
	v_or3_b32 v77, v78, v79, v77
.LBB2_466:                              ;   in Loop: Header=BB2_354 Depth=4
	s_or_b32 exec_lo, exec_lo, s17
	v_mul_f32_e32 v77, v76, v77
	v_and_b32_e32 v76, 0x7f800000, v77
	v_cmp_ne_u32_e64 s16, 0x7f800000, v76
	v_mov_b32_e32 v76, 0x8000
	s_and_saveexec_b32 s63, s16
	s_cbranch_execz .LBB2_474
; %bb.467:                              ;   in Loop: Header=BB2_354 Depth=4
	v_mov_b32_e32 v76, 0
	s_mov_b32 s72, exec_lo
	v_cmpx_ne_u32_e32 0, v77
	s_cbranch_execz .LBB2_473
; %bb.468:                              ;   in Loop: Header=BB2_354 Depth=4
	v_bfe_u32 v76, v77, 23, 8
	v_and_b32_e32 v78, 0x7fffff, v77
	v_sub_nc_u32_e32 v79, 0x70, v76
	v_cmp_gt_u32_e64 s16, 0x71, v76
	v_or_b32_e32 v88, 0x800000, v78
	v_cndmask_b32_e64 v79, 0, v79, s16
	v_cmp_eq_u32_e64 s16, 0, v76
	v_add_nc_u32_e32 v76, 0xffffff91, v76
	v_cndmask_b32_e64 v79, v79, 0x6f, s16
	v_cndmask_b32_e64 v78, v88, v78, s16
	;; [unrolled: 1-line block ×3, first 2 shown]
	v_lshl_add_u32 v88, 0x200000, v79, -1
	v_lshrrev_b32_e32 v89, v79, v78
	v_lshlrev_b32_e64 v91, v79, 0x100000
	v_add_nc_u32_e32 v79, v79, v76
	v_and_b32_e32 v78, v88, v78
	v_bfe_u32 v90, v89, 21, 1
	v_cmp_eq_u32_e64 s17, v78, v91
	v_add_nc_u32_e32 v88, -1, v90
	v_cndmask_b32_e64 v78, 0, v88, s17
	v_lshrrev_b32_e32 v88, 23, v89
	s_mov_b32 s17, exec_lo
	v_add_nc_u32_e32 v78, v78, v89
	v_xor_b32_e32 v88, 1, v88
	v_and_b32_e32 v76, 0x1fffff, v78
	v_add_nc_u32_e32 v78, v76, v89
                                        ; implicit-def: $vgpr76
	v_cmpx_ne_u32_e64 v79, v88
	s_xor_b32 s17, exec_lo, s17
; %bb.469:                              ;   in Loop: Header=BB2_354 Depth=4
	v_cmp_lt_u32_e64 s16, 0xffffff, v78
	v_sub_nc_u32_e32 v76, v79, v88
	v_cndmask_b32_e64 v79, 0, 1, s16
	v_add_co_ci_u32_e64 v76, null, 0, v76, s16
	v_lshrrev_b32_e32 v78, v79, v78
; %bb.470:                              ;   in Loop: Header=BB2_354 Depth=4
	s_andn2_saveexec_b32 s16, s17
; %bb.471:                              ;   in Loop: Header=BB2_354 Depth=4
	v_bfe_u32 v76, v78, 23, 1
; %bb.472:                              ;   in Loop: Header=BB2_354 Depth=4
	s_or_b32 exec_lo, exec_lo, s16
	v_lshrrev_b32_e32 v78, 21, v78
	v_min_i32_e32 v79, 31, v76
	v_cmp_gt_i32_e64 s16, 32, v76
	v_and_b32_sdwa v77, v77, v101 dst_sel:DWORD dst_unused:UNUSED_PAD src0_sel:BYTE_3 src1_sel:DWORD
	v_lshlrev_b32_e32 v79, 2, v79
	v_cndmask_b32_e64 v78, 3, v78, s16
	v_and_b32_e32 v79, 0xfc, v79
	v_and_b32_e32 v88, 3, v78
	v_or_b32_e32 v76, v76, v78
	v_or3_b32 v77, v77, v79, v88
	v_cmp_ne_u32_e64 s16, 0, v76
	v_lshlrev_b32_e32 v77, 8, v77
	v_cndmask_b32_e64 v76, 0, v77, s16
.LBB2_473:                              ;   in Loop: Header=BB2_354 Depth=4
	s_or_b32 exec_lo, exec_lo, s72
.LBB2_474:                              ;   in Loop: Header=BB2_354 Depth=4
	s_or_b32 exec_lo, exec_lo, s63
	v_and_b32_sdwa v78, v13, v112 dst_sel:DWORD dst_unused:UNUSED_PAD src0_sel:WORD_1 src1_sel:DWORD
	s_mov_b32 s17, 0
	s_mov_b32 s63, exec_lo
	v_cmpx_lt_i16_e32 0x7f, v78
	s_xor_b32 s63, exec_lo, s63
	s_cbranch_execz .LBB2_696
; %bb.475:                              ;   in Loop: Header=BB2_354 Depth=4
	s_mov_b32 s17, -1
	s_mov_b32 s72, exec_lo
	v_cmpx_eq_u16_e32 0x80, v78
; %bb.476:                              ;   in Loop: Header=BB2_354 Depth=4
	s_xor_b32 s17, exec_lo, -1
; %bb.477:                              ;   in Loop: Header=BB2_354 Depth=4
	s_or_b32 exec_lo, exec_lo, s72
	s_and_b32 s17, s17, exec_lo
                                        ; implicit-def: $vgpr78
	s_or_saveexec_b32 s63, s63
	v_mov_b32_e32 v77, 0x7f800001
	s_xor_b32 exec_lo, exec_lo, s63
	s_cbranch_execnz .LBB2_697
.LBB2_478:                              ;   in Loop: Header=BB2_354 Depth=4
	s_or_b32 exec_lo, exec_lo, s63
	s_and_saveexec_b32 s63, s17
	s_cbranch_execz .LBB2_480
.LBB2_479:                              ;   in Loop: Header=BB2_354 Depth=4
	v_bfe_u32 v77, v13, 16, 2
	v_bfe_u32 v88, v13, 18, 5
	v_lshlrev_b32_e32 v89, 8, v13
	v_ffbh_u32_e32 v78, v77
	v_cmp_eq_u32_e64 s16, 0, v88
	v_min_u32_e32 v78, 32, v78
	v_subrev_nc_u32_e32 v79, 29, v78
	v_sub_nc_u32_e32 v78, 30, v78
	v_lshlrev_b32_sdwa v79, v79, v13 dst_sel:DWORD dst_unused:UNUSED_PAD src0_sel:DWORD src1_sel:WORD_1
	v_cndmask_b32_e64 v78, v88, v78, s16
	v_and_b32_e32 v79, 3, v79
	v_lshl_add_u32 v78, v78, 23, 0x37800000
	v_cndmask_b32_e64 v77, v77, v79, s16
	v_and_b32_e32 v79, 0x80000000, v89
	v_lshlrev_b32_e32 v77, 21, v77
	v_or3_b32 v77, v79, v78, v77
.LBB2_480:                              ;   in Loop: Header=BB2_354 Depth=4
	s_or_b32 exec_lo, exec_lo, s63
	v_and_b32_sdwa v79, v9, v112 dst_sel:DWORD dst_unused:UNUSED_PAD src0_sel:WORD_1 src1_sel:DWORD
	s_mov_b32 s17, 0
	s_mov_b32 s63, exec_lo
	v_cmpx_lt_i16_e32 0x7f, v79
	s_xor_b32 s63, exec_lo, s63
	s_cbranch_execz .LBB2_698
; %bb.481:                              ;   in Loop: Header=BB2_354 Depth=4
	s_mov_b32 s17, -1
	s_mov_b32 s72, exec_lo
	v_cmpx_eq_u16_e32 0x80, v79
; %bb.482:                              ;   in Loop: Header=BB2_354 Depth=4
	s_xor_b32 s17, exec_lo, -1
; %bb.483:                              ;   in Loop: Header=BB2_354 Depth=4
	s_or_b32 exec_lo, exec_lo, s72
	s_and_b32 s17, s17, exec_lo
                                        ; implicit-def: $vgpr79
	s_or_saveexec_b32 s63, s63
	v_mov_b32_e32 v78, 0x7f800001
	s_xor_b32 exec_lo, exec_lo, s63
	s_cbranch_execnz .LBB2_699
.LBB2_484:                              ;   in Loop: Header=BB2_354 Depth=4
	s_or_b32 exec_lo, exec_lo, s63
	s_and_saveexec_b32 s63, s17
	s_cbranch_execz .LBB2_486
.LBB2_485:                              ;   in Loop: Header=BB2_354 Depth=4
	v_and_b32_sdwa v78, v9, v113 dst_sel:DWORD dst_unused:UNUSED_PAD src0_sel:WORD_1 src1_sel:DWORD
	v_bfe_u32 v89, v9, 18, 5
	v_lshlrev_b32_sdwa v90, v103, v9 dst_sel:DWORD dst_unused:UNUSED_PAD src0_sel:DWORD src1_sel:WORD_1
	v_ffbh_u32_e32 v79, v78
	v_cmp_eq_u32_e64 s16, 0, v89
	v_min_u32_e32 v79, 32, v79
	v_subrev_nc_u32_e32 v88, 29, v79
	v_sub_nc_u32_e32 v79, 30, v79
	v_lshlrev_b32_sdwa v88, v88, v9 dst_sel:DWORD dst_unused:UNUSED_PAD src0_sel:DWORD src1_sel:WORD_1
	v_cndmask_b32_e64 v79, v89, v79, s16
	v_and_b32_e32 v88, 3, v88
	v_lshl_add_u32 v79, v79, 23, 0x37800000
	v_cndmask_b32_e64 v78, v78, v88, s16
	v_and_b32_e32 v88, 0x80000000, v90
	v_lshlrev_b32_e32 v78, 21, v78
	v_or3_b32 v78, v88, v79, v78
.LBB2_486:                              ;   in Loop: Header=BB2_354 Depth=4
	s_or_b32 exec_lo, exec_lo, s63
	v_mul_f32_e32 v78, v77, v78
	v_and_b32_e32 v77, 0x7f800000, v78
	v_cmp_ne_u32_e64 s16, 0x7f800000, v77
	v_mov_b32_e32 v77, 0x80
	s_and_saveexec_b32 s63, s16
	s_cbranch_execz .LBB2_494
; %bb.487:                              ;   in Loop: Header=BB2_354 Depth=4
	v_mov_b32_e32 v77, 0
	s_mov_b32 s72, exec_lo
	v_cmpx_ne_u32_e32 0, v78
	s_cbranch_execz .LBB2_493
; %bb.488:                              ;   in Loop: Header=BB2_354 Depth=4
	v_bfe_u32 v77, v78, 23, 8
	v_and_b32_e32 v79, 0x7fffff, v78
	v_sub_nc_u32_e32 v88, 0x70, v77
	v_cmp_gt_u32_e64 s16, 0x71, v77
	v_or_b32_e32 v89, 0x800000, v79
	v_cndmask_b32_e64 v88, 0, v88, s16
	v_cmp_eq_u32_e64 s16, 0, v77
	v_add_nc_u32_e32 v77, 0xffffff91, v77
	v_cndmask_b32_e64 v88, v88, 0x6f, s16
	v_cndmask_b32_e64 v79, v89, v79, s16
	;; [unrolled: 1-line block ×3, first 2 shown]
	v_lshl_add_u32 v89, 0x200000, v88, -1
	v_lshrrev_b32_e32 v90, v88, v79
	v_lshlrev_b32_e64 v92, v88, 0x100000
	v_add_nc_u32_e32 v88, v88, v77
	v_and_b32_e32 v79, v89, v79
	v_bfe_u32 v91, v90, 21, 1
	v_cmp_eq_u32_e64 s17, v79, v92
	v_add_nc_u32_e32 v89, -1, v91
	v_cndmask_b32_e64 v79, 0, v89, s17
	v_lshrrev_b32_e32 v89, 23, v90
	s_mov_b32 s17, exec_lo
	v_add_nc_u32_e32 v79, v79, v90
	v_xor_b32_e32 v89, 1, v89
	v_and_b32_e32 v77, 0x1fffff, v79
	v_add_nc_u32_e32 v79, v77, v90
                                        ; implicit-def: $vgpr77
	v_cmpx_ne_u32_e64 v88, v89
	s_xor_b32 s17, exec_lo, s17
; %bb.489:                              ;   in Loop: Header=BB2_354 Depth=4
	v_cmp_lt_u32_e64 s16, 0xffffff, v79
	v_sub_nc_u32_e32 v77, v88, v89
	v_cndmask_b32_e64 v88, 0, 1, s16
	v_add_co_ci_u32_e64 v77, null, 0, v77, s16
	v_lshrrev_b32_e32 v79, v88, v79
; %bb.490:                              ;   in Loop: Header=BB2_354 Depth=4
	s_andn2_saveexec_b32 s16, s17
; %bb.491:                              ;   in Loop: Header=BB2_354 Depth=4
	v_bfe_u32 v77, v79, 23, 1
; %bb.492:                              ;   in Loop: Header=BB2_354 Depth=4
	s_or_b32 exec_lo, exec_lo, s16
	v_lshrrev_b32_e32 v79, 21, v79
	v_min_i32_e32 v88, 31, v77
	v_cmp_gt_i32_e64 s16, 32, v77
	v_and_b32_sdwa v78, v78, v101 dst_sel:DWORD dst_unused:UNUSED_PAD src0_sel:BYTE_3 src1_sel:DWORD
	v_lshlrev_b32_e32 v88, 2, v88
	v_cndmask_b32_e64 v79, 3, v79, s16
	v_and_b32_e32 v88, 0xfc, v88
	v_and_b32_e32 v89, 3, v79
	v_or_b32_e32 v77, v77, v79
	v_or3_b32 v78, v88, v78, v89
	v_cmp_ne_u32_e64 s16, 0, v77
	v_cndmask_b32_e64 v77, 0, v78, s16
.LBB2_493:                              ;   in Loop: Header=BB2_354 Depth=4
	s_or_b32 exec_lo, exec_lo, s72
.LBB2_494:                              ;   in Loop: Header=BB2_354 Depth=4
	s_or_b32 exec_lo, exec_lo, s63
	v_cmp_gt_i16_sdwa s17, v13, v100 src0_sel:BYTE_3 src1_sel:DWORD
	s_mov_b32 s16, 0
	s_and_saveexec_b32 s63, s17
	s_xor_b32 s17, exec_lo, s63
	s_cbranch_execz .LBB2_700
; %bb.495:                              ;   in Loop: Header=BB2_354 Depth=4
	v_cmp_eq_u16_sdwa s72, v13, v101 src0_sel:BYTE_3 src1_sel:DWORD
	s_mov_b32 s16, -1
	s_and_saveexec_b32 s63, s72
; %bb.496:                              ;   in Loop: Header=BB2_354 Depth=4
	s_xor_b32 s16, exec_lo, -1
; %bb.497:                              ;   in Loop: Header=BB2_354 Depth=4
	s_or_b32 exec_lo, exec_lo, s63
	s_and_b32 s16, s16, exec_lo
	s_or_saveexec_b32 s17, s17
	v_mov_b32_e32 v78, 0x7f800001
	s_xor_b32 exec_lo, exec_lo, s17
	s_cbranch_execnz .LBB2_701
.LBB2_498:                              ;   in Loop: Header=BB2_354 Depth=4
	s_or_b32 exec_lo, exec_lo, s17
	s_and_saveexec_b32 s17, s16
	s_cbranch_execz .LBB2_500
.LBB2_499:                              ;   in Loop: Header=BB2_354 Depth=4
	v_bfe_u32 v78, v13, 24, 2
	v_bfe_u32 v89, v13, 26, 5
	v_ffbh_u32_e32 v79, v78
	v_cmp_eq_u32_e64 s16, 0, v89
	v_min_u32_e32 v79, 32, v79
	v_subrev_nc_u32_e32 v88, 29, v79
	v_sub_nc_u32_e32 v79, 30, v79
	v_lshlrev_b32_sdwa v88, v88, v13 dst_sel:DWORD dst_unused:UNUSED_PAD src0_sel:DWORD src1_sel:BYTE_3
	v_cndmask_b32_e64 v79, v89, v79, s16
	v_and_b32_e32 v13, 0x80000000, v13
	v_and_b32_e32 v88, 3, v88
	v_lshl_add_u32 v79, v79, 23, 0x37800000
	v_cndmask_b32_e64 v78, v78, v88, s16
	v_lshlrev_b32_e32 v78, 21, v78
	v_or3_b32 v78, v13, v79, v78
.LBB2_500:                              ;   in Loop: Header=BB2_354 Depth=4
	s_or_b32 exec_lo, exec_lo, s17
	v_cmp_gt_i16_sdwa s17, v9, v100 src0_sel:BYTE_3 src1_sel:DWORD
	s_mov_b32 s16, 0
	s_and_saveexec_b32 s63, s17
	s_xor_b32 s17, exec_lo, s63
	s_cbranch_execz .LBB2_702
; %bb.501:                              ;   in Loop: Header=BB2_354 Depth=4
	v_cmp_eq_u16_sdwa s72, v9, v101 src0_sel:BYTE_3 src1_sel:DWORD
	s_mov_b32 s16, -1
	s_and_saveexec_b32 s63, s72
; %bb.502:                              ;   in Loop: Header=BB2_354 Depth=4
	s_xor_b32 s16, exec_lo, -1
; %bb.503:                              ;   in Loop: Header=BB2_354 Depth=4
	s_or_b32 exec_lo, exec_lo, s63
	s_and_b32 s16, s16, exec_lo
	s_or_saveexec_b32 s17, s17
	v_mov_b32_e32 v13, 0x7f800001
	s_xor_b32 exec_lo, exec_lo, s17
	s_cbranch_execnz .LBB2_703
.LBB2_504:                              ;   in Loop: Header=BB2_354 Depth=4
	s_or_b32 exec_lo, exec_lo, s17
	s_and_saveexec_b32 s17, s16
	s_cbranch_execz .LBB2_506
.LBB2_505:                              ;   in Loop: Header=BB2_354 Depth=4
	v_and_b32_sdwa v13, v9, v113 dst_sel:DWORD dst_unused:UNUSED_PAD src0_sel:BYTE_3 src1_sel:DWORD
	v_bfe_u32 v89, v9, 26, 5
	v_ffbh_u32_e32 v79, v13
	v_cmp_eq_u32_e64 s16, 0, v89
	v_min_u32_e32 v79, 32, v79
	v_subrev_nc_u32_e32 v88, 29, v79
	v_sub_nc_u32_e32 v79, 30, v79
	v_lshlrev_b32_sdwa v88, v88, v9 dst_sel:DWORD dst_unused:UNUSED_PAD src0_sel:DWORD src1_sel:BYTE_3
	v_cndmask_b32_e64 v79, v89, v79, s16
	v_and_b32_e32 v9, 0x80000000, v9
	v_and_b32_e32 v88, 3, v88
	v_lshl_add_u32 v79, v79, 23, 0x37800000
	v_cndmask_b32_e64 v13, v13, v88, s16
	v_lshlrev_b32_e32 v13, 21, v13
	v_or3_b32 v13, v9, v79, v13
.LBB2_506:                              ;   in Loop: Header=BB2_354 Depth=4
	s_or_b32 exec_lo, exec_lo, s17
	v_mul_f32_e32 v13, v78, v13
	v_and_b32_e32 v9, 0x7f800000, v13
	v_cmp_ne_u32_e64 s16, 0x7f800000, v9
	v_mov_b32_e32 v9, 0x8000
	s_and_saveexec_b32 s63, s16
	s_cbranch_execz .LBB2_514
; %bb.507:                              ;   in Loop: Header=BB2_354 Depth=4
	v_mov_b32_e32 v9, 0
	s_mov_b32 s72, exec_lo
	v_cmpx_ne_u32_e32 0, v13
	s_cbranch_execz .LBB2_513
; %bb.508:                              ;   in Loop: Header=BB2_354 Depth=4
	v_bfe_u32 v9, v13, 23, 8
	v_and_b32_e32 v78, 0x7fffff, v13
	v_sub_nc_u32_e32 v79, 0x70, v9
	v_cmp_gt_u32_e64 s16, 0x71, v9
	v_or_b32_e32 v88, 0x800000, v78
	v_cndmask_b32_e64 v79, 0, v79, s16
	v_cmp_eq_u32_e64 s16, 0, v9
	v_add_nc_u32_e32 v9, 0xffffff91, v9
	v_cndmask_b32_e64 v79, v79, 0x6f, s16
	v_cndmask_b32_e64 v78, v88, v78, s16
	v_cndmask_b32_e64 v9, v9, 0xffffff92, s16
	v_lshl_add_u32 v88, 0x200000, v79, -1
	v_lshrrev_b32_e32 v89, v79, v78
	v_lshlrev_b32_e64 v91, v79, 0x100000
	v_add_nc_u32_e32 v79, v79, v9
	v_and_b32_e32 v78, v88, v78
	v_bfe_u32 v90, v89, 21, 1
	v_cmp_eq_u32_e64 s17, v78, v91
	v_add_nc_u32_e32 v88, -1, v90
	v_cndmask_b32_e64 v78, 0, v88, s17
	v_lshrrev_b32_e32 v88, 23, v89
	s_mov_b32 s17, exec_lo
	v_add_nc_u32_e32 v78, v78, v89
	v_xor_b32_e32 v88, 1, v88
	v_and_b32_e32 v9, 0x1fffff, v78
	v_add_nc_u32_e32 v78, v9, v89
                                        ; implicit-def: $vgpr9
	v_cmpx_ne_u32_e64 v79, v88
	s_xor_b32 s17, exec_lo, s17
; %bb.509:                              ;   in Loop: Header=BB2_354 Depth=4
	v_cmp_lt_u32_e64 s16, 0xffffff, v78
	v_sub_nc_u32_e32 v9, v79, v88
	v_cndmask_b32_e64 v79, 0, 1, s16
	v_add_co_ci_u32_e64 v9, null, 0, v9, s16
	v_lshrrev_b32_e32 v78, v79, v78
; %bb.510:                              ;   in Loop: Header=BB2_354 Depth=4
	s_andn2_saveexec_b32 s16, s17
; %bb.511:                              ;   in Loop: Header=BB2_354 Depth=4
	v_bfe_u32 v9, v78, 23, 1
; %bb.512:                              ;   in Loop: Header=BB2_354 Depth=4
	s_or_b32 exec_lo, exec_lo, s16
	v_lshrrev_b32_e32 v78, 21, v78
	v_min_i32_e32 v79, 31, v9
	v_cmp_gt_i32_e64 s16, 32, v9
	v_and_b32_sdwa v13, v13, v101 dst_sel:DWORD dst_unused:UNUSED_PAD src0_sel:BYTE_3 src1_sel:DWORD
	v_lshlrev_b32_e32 v79, 2, v79
	v_cndmask_b32_e64 v78, 3, v78, s16
	v_and_b32_e32 v79, 0xfc, v79
	v_and_b32_e32 v88, 3, v78
	v_or_b32_e32 v9, v9, v78
	v_or3_b32 v13, v13, v79, v88
	v_cmp_ne_u32_e64 s16, 0, v9
	v_lshlrev_b32_e32 v13, 8, v13
	v_cndmask_b32_e64 v9, 0, v13, s16
.LBB2_513:                              ;   in Loop: Header=BB2_354 Depth=4
	s_or_b32 exec_lo, exec_lo, s72
.LBB2_514:                              ;   in Loop: Header=BB2_354 Depth=4
	s_or_b32 exec_lo, exec_lo, s63
	v_cmp_gt_i16_sdwa s17, v14, v100 src0_sel:BYTE_0 src1_sel:DWORD
	s_mov_b32 s16, 0
	s_and_saveexec_b32 s63, s17
	s_xor_b32 s17, exec_lo, s63
	s_cbranch_execz .LBB2_704
; %bb.515:                              ;   in Loop: Header=BB2_354 Depth=4
	v_cmp_eq_u16_sdwa s72, v14, v101 src0_sel:BYTE_0 src1_sel:DWORD
	s_mov_b32 s16, -1
	s_and_saveexec_b32 s63, s72
; %bb.516:                              ;   in Loop: Header=BB2_354 Depth=4
	s_xor_b32 s16, exec_lo, -1
; %bb.517:                              ;   in Loop: Header=BB2_354 Depth=4
	s_or_b32 exec_lo, exec_lo, s63
	s_and_b32 s16, s16, exec_lo
	s_or_saveexec_b32 s17, s17
	v_mov_b32_e32 v13, 0x7f800001
	s_xor_b32 exec_lo, exec_lo, s17
	s_cbranch_execnz .LBB2_705
.LBB2_518:                              ;   in Loop: Header=BB2_354 Depth=4
	s_or_b32 exec_lo, exec_lo, s17
	s_and_saveexec_b32 s17, s16
	s_cbranch_execz .LBB2_520
.LBB2_519:                              ;   in Loop: Header=BB2_354 Depth=4
	v_and_b32_e32 v13, 3, v14
	v_bfe_u32 v88, v14, 2, 5
	v_lshlrev_b32_e32 v89, 24, v14
	v_ffbh_u32_e32 v78, v13
	v_cmp_eq_u32_e64 s16, 0, v88
	v_min_u32_e32 v78, 32, v78
	v_subrev_nc_u32_e32 v79, 29, v78
	v_sub_nc_u32_e32 v78, 30, v78
	v_lshlrev_b32_e32 v79, v79, v14
	v_cndmask_b32_e64 v78, v88, v78, s16
	v_and_b32_e32 v79, 3, v79
	v_lshl_add_u32 v78, v78, 23, 0x37800000
	v_cndmask_b32_e64 v13, v13, v79, s16
	v_and_b32_e32 v79, 0x80000000, v89
	v_lshlrev_b32_e32 v13, 21, v13
	v_or3_b32 v13, v79, v78, v13
.LBB2_520:                              ;   in Loop: Header=BB2_354 Depth=4
	s_or_b32 exec_lo, exec_lo, s17
	v_cmp_gt_i16_sdwa s17, v10, v100 src0_sel:BYTE_0 src1_sel:DWORD
	s_mov_b32 s16, 0
	s_and_saveexec_b32 s63, s17
	s_xor_b32 s17, exec_lo, s63
	s_cbranch_execz .LBB2_706
; %bb.521:                              ;   in Loop: Header=BB2_354 Depth=4
	v_cmp_eq_u16_sdwa s72, v10, v101 src0_sel:BYTE_0 src1_sel:DWORD
	s_mov_b32 s16, -1
	s_and_saveexec_b32 s63, s72
; %bb.522:                              ;   in Loop: Header=BB2_354 Depth=4
	s_xor_b32 s16, exec_lo, -1
; %bb.523:                              ;   in Loop: Header=BB2_354 Depth=4
	s_or_b32 exec_lo, exec_lo, s63
	s_and_b32 s16, s16, exec_lo
	s_or_saveexec_b32 s17, s17
	v_mov_b32_e32 v78, 0x7f800001
	s_xor_b32 exec_lo, exec_lo, s17
	s_cbranch_execnz .LBB2_707
.LBB2_524:                              ;   in Loop: Header=BB2_354 Depth=4
	s_or_b32 exec_lo, exec_lo, s17
	s_and_saveexec_b32 s17, s16
	s_cbranch_execz .LBB2_526
.LBB2_525:                              ;   in Loop: Header=BB2_354 Depth=4
	v_and_b32_e32 v78, 3, v10
	v_bfe_u32 v89, v10, 2, 5
	v_lshlrev_b32_e32 v90, 24, v10
	v_ffbh_u32_e32 v79, v78
	v_cmp_eq_u32_e64 s16, 0, v89
	v_min_u32_e32 v79, 32, v79
	v_subrev_nc_u32_e32 v88, 29, v79
	v_sub_nc_u32_e32 v79, 30, v79
	v_lshlrev_b32_e32 v88, v88, v10
	v_cndmask_b32_e64 v79, v89, v79, s16
	v_and_b32_e32 v88, 3, v88
	v_lshl_add_u32 v79, v79, 23, 0x37800000
	v_cndmask_b32_e64 v78, v78, v88, s16
	v_and_b32_e32 v88, 0x80000000, v90
	v_lshlrev_b32_e32 v78, 21, v78
	v_or3_b32 v78, v88, v79, v78
.LBB2_526:                              ;   in Loop: Header=BB2_354 Depth=4
	s_or_b32 exec_lo, exec_lo, s17
	v_mul_f32_e32 v78, v13, v78
	v_and_b32_e32 v13, 0x7f800000, v78
	v_cmp_ne_u32_e64 s16, 0x7f800000, v13
	v_mov_b32_e32 v13, 0x80
	s_and_saveexec_b32 s63, s16
	s_cbranch_execz .LBB2_534
; %bb.527:                              ;   in Loop: Header=BB2_354 Depth=4
	v_mov_b32_e32 v13, 0
	s_mov_b32 s72, exec_lo
	v_cmpx_ne_u32_e32 0, v78
	s_cbranch_execz .LBB2_533
; %bb.528:                              ;   in Loop: Header=BB2_354 Depth=4
	v_bfe_u32 v13, v78, 23, 8
	v_and_b32_e32 v79, 0x7fffff, v78
	v_sub_nc_u32_e32 v88, 0x70, v13
	v_cmp_gt_u32_e64 s16, 0x71, v13
	v_or_b32_e32 v89, 0x800000, v79
	v_cndmask_b32_e64 v88, 0, v88, s16
	v_cmp_eq_u32_e64 s16, 0, v13
	v_add_nc_u32_e32 v13, 0xffffff91, v13
	v_cndmask_b32_e64 v88, v88, 0x6f, s16
	v_cndmask_b32_e64 v79, v89, v79, s16
	;; [unrolled: 1-line block ×3, first 2 shown]
	v_lshl_add_u32 v89, 0x200000, v88, -1
	v_lshrrev_b32_e32 v90, v88, v79
	v_lshlrev_b32_e64 v92, v88, 0x100000
	v_add_nc_u32_e32 v88, v88, v13
	v_and_b32_e32 v79, v89, v79
	v_bfe_u32 v91, v90, 21, 1
	v_cmp_eq_u32_e64 s17, v79, v92
	v_add_nc_u32_e32 v89, -1, v91
	v_cndmask_b32_e64 v79, 0, v89, s17
	v_lshrrev_b32_e32 v89, 23, v90
	s_mov_b32 s17, exec_lo
	v_add_nc_u32_e32 v79, v79, v90
	v_xor_b32_e32 v89, 1, v89
	v_and_b32_e32 v13, 0x1fffff, v79
	v_add_nc_u32_e32 v79, v13, v90
                                        ; implicit-def: $vgpr13
	v_cmpx_ne_u32_e64 v88, v89
	s_xor_b32 s17, exec_lo, s17
; %bb.529:                              ;   in Loop: Header=BB2_354 Depth=4
	v_cmp_lt_u32_e64 s16, 0xffffff, v79
	v_sub_nc_u32_e32 v13, v88, v89
	v_cndmask_b32_e64 v88, 0, 1, s16
	v_add_co_ci_u32_e64 v13, null, 0, v13, s16
	v_lshrrev_b32_e32 v79, v88, v79
; %bb.530:                              ;   in Loop: Header=BB2_354 Depth=4
	s_andn2_saveexec_b32 s16, s17
; %bb.531:                              ;   in Loop: Header=BB2_354 Depth=4
	v_bfe_u32 v13, v79, 23, 1
; %bb.532:                              ;   in Loop: Header=BB2_354 Depth=4
	s_or_b32 exec_lo, exec_lo, s16
	v_lshrrev_b32_e32 v79, 21, v79
	v_min_i32_e32 v88, 31, v13
	v_cmp_gt_i32_e64 s16, 32, v13
	v_and_b32_sdwa v78, v78, v101 dst_sel:DWORD dst_unused:UNUSED_PAD src0_sel:BYTE_3 src1_sel:DWORD
	v_lshlrev_b32_e32 v88, 2, v88
	v_cndmask_b32_e64 v79, 3, v79, s16
	v_and_b32_e32 v88, 0xfc, v88
	v_and_b32_e32 v89, 3, v79
	v_or_b32_e32 v13, v13, v79
	v_or3_b32 v78, v88, v78, v89
	v_cmp_ne_u32_e64 s16, 0, v13
	v_cndmask_b32_e64 v13, 0, v78, s16
.LBB2_533:                              ;   in Loop: Header=BB2_354 Depth=4
	s_or_b32 exec_lo, exec_lo, s72
.LBB2_534:                              ;   in Loop: Header=BB2_354 Depth=4
	s_or_b32 exec_lo, exec_lo, s63
	v_cmp_gt_i16_sdwa s17, v14, v100 src0_sel:BYTE_1 src1_sel:DWORD
	s_mov_b32 s16, 0
	s_and_saveexec_b32 s63, s17
	s_xor_b32 s17, exec_lo, s63
	s_cbranch_execz .LBB2_708
; %bb.535:                              ;   in Loop: Header=BB2_354 Depth=4
	v_cmp_eq_u16_sdwa s72, v14, v101 src0_sel:BYTE_1 src1_sel:DWORD
	s_mov_b32 s16, -1
	s_and_saveexec_b32 s63, s72
; %bb.536:                              ;   in Loop: Header=BB2_354 Depth=4
	s_xor_b32 s16, exec_lo, -1
; %bb.537:                              ;   in Loop: Header=BB2_354 Depth=4
	s_or_b32 exec_lo, exec_lo, s63
	s_and_b32 s16, s16, exec_lo
	s_or_saveexec_b32 s17, s17
	v_mov_b32_e32 v78, 0x7f800001
	s_xor_b32 exec_lo, exec_lo, s17
	s_cbranch_execnz .LBB2_709
.LBB2_538:                              ;   in Loop: Header=BB2_354 Depth=4
	s_or_b32 exec_lo, exec_lo, s17
	s_and_saveexec_b32 s17, s16
	s_cbranch_execz .LBB2_540
.LBB2_539:                              ;   in Loop: Header=BB2_354 Depth=4
	v_and_b32_sdwa v78, v102, v14 dst_sel:DWORD dst_unused:UNUSED_PAD src0_sel:DWORD src1_sel:BYTE_1
	v_and_b32_e32 v79, 3, v78
	v_bfe_u32 v90, v78, 2, 5
	v_ffbh_u32_e32 v88, v79
	v_cmp_eq_u32_e64 s16, 0, v90
	v_min_u32_e32 v88, 32, v88
	v_subrev_nc_u32_e32 v89, 29, v88
	v_sub_nc_u32_e32 v88, 30, v88
	v_lshlrev_b32_e32 v78, v89, v78
	v_lshlrev_b32_sdwa v89, v103, v14 dst_sel:DWORD dst_unused:UNUSED_PAD src0_sel:DWORD src1_sel:BYTE_1
	v_cndmask_b32_e64 v88, v90, v88, s16
	v_and_b32_e32 v78, 3, v78
	v_lshl_add_u32 v88, v88, 23, 0x37800000
	v_cndmask_b32_e64 v78, v79, v78, s16
	v_and_b32_e32 v79, 0x80000000, v89
	v_lshlrev_b32_e32 v78, 21, v78
	v_or3_b32 v78, v79, v88, v78
.LBB2_540:                              ;   in Loop: Header=BB2_354 Depth=4
	s_or_b32 exec_lo, exec_lo, s17
	v_cmp_gt_i16_sdwa s17, v10, v100 src0_sel:BYTE_1 src1_sel:DWORD
	s_mov_b32 s16, 0
	s_and_saveexec_b32 s63, s17
	s_xor_b32 s17, exec_lo, s63
	s_cbranch_execz .LBB2_710
; %bb.541:                              ;   in Loop: Header=BB2_354 Depth=4
	v_cmp_eq_u16_sdwa s72, v10, v101 src0_sel:BYTE_1 src1_sel:DWORD
	s_mov_b32 s16, -1
	s_and_saveexec_b32 s63, s72
; %bb.542:                              ;   in Loop: Header=BB2_354 Depth=4
	s_xor_b32 s16, exec_lo, -1
; %bb.543:                              ;   in Loop: Header=BB2_354 Depth=4
	s_or_b32 exec_lo, exec_lo, s63
	s_and_b32 s16, s16, exec_lo
	s_or_saveexec_b32 s17, s17
	v_mov_b32_e32 v79, 0x7f800001
	s_xor_b32 exec_lo, exec_lo, s17
	s_cbranch_execnz .LBB2_711
.LBB2_544:                              ;   in Loop: Header=BB2_354 Depth=4
	s_or_b32 exec_lo, exec_lo, s17
	s_and_saveexec_b32 s17, s16
	s_cbranch_execz .LBB2_546
.LBB2_545:                              ;   in Loop: Header=BB2_354 Depth=4
	v_and_b32_sdwa v79, v102, v10 dst_sel:DWORD dst_unused:UNUSED_PAD src0_sel:DWORD src1_sel:BYTE_1
	v_and_b32_e32 v88, 3, v79
	v_bfe_u32 v91, v79, 2, 5
	v_ffbh_u32_e32 v89, v88
	v_cmp_eq_u32_e64 s16, 0, v91
	v_min_u32_e32 v89, 32, v89
	v_subrev_nc_u32_e32 v90, 29, v89
	v_sub_nc_u32_e32 v89, 30, v89
	v_lshlrev_b32_e32 v79, v90, v79
	v_lshlrev_b32_sdwa v90, v103, v10 dst_sel:DWORD dst_unused:UNUSED_PAD src0_sel:DWORD src1_sel:BYTE_1
	v_cndmask_b32_e64 v89, v91, v89, s16
	v_and_b32_e32 v79, 3, v79
	v_lshl_add_u32 v89, v89, 23, 0x37800000
	v_cndmask_b32_e64 v79, v88, v79, s16
	v_and_b32_e32 v88, 0x80000000, v90
	v_lshlrev_b32_e32 v79, 21, v79
	v_or3_b32 v79, v88, v89, v79
.LBB2_546:                              ;   in Loop: Header=BB2_354 Depth=4
	s_or_b32 exec_lo, exec_lo, s17
	v_mul_f32_e32 v79, v78, v79
	v_and_b32_e32 v78, 0x7f800000, v79
	v_cmp_ne_u32_e64 s16, 0x7f800000, v78
	v_mov_b32_e32 v78, 0x8000
	s_and_saveexec_b32 s63, s16
	s_cbranch_execz .LBB2_554
; %bb.547:                              ;   in Loop: Header=BB2_354 Depth=4
	v_mov_b32_e32 v78, 0
	s_mov_b32 s72, exec_lo
	v_cmpx_ne_u32_e32 0, v79
	s_cbranch_execz .LBB2_553
; %bb.548:                              ;   in Loop: Header=BB2_354 Depth=4
	v_bfe_u32 v78, v79, 23, 8
	v_and_b32_e32 v88, 0x7fffff, v79
	v_sub_nc_u32_e32 v89, 0x70, v78
	v_cmp_gt_u32_e64 s16, 0x71, v78
	v_or_b32_e32 v90, 0x800000, v88
	v_cndmask_b32_e64 v89, 0, v89, s16
	v_cmp_eq_u32_e64 s16, 0, v78
	v_add_nc_u32_e32 v78, 0xffffff91, v78
	v_cndmask_b32_e64 v89, v89, 0x6f, s16
	v_cndmask_b32_e64 v88, v90, v88, s16
	v_cndmask_b32_e64 v78, v78, 0xffffff92, s16
	v_lshl_add_u32 v90, 0x200000, v89, -1
	v_lshrrev_b32_e32 v91, v89, v88
	v_lshlrev_b32_e64 v93, v89, 0x100000
	v_add_nc_u32_e32 v89, v89, v78
	v_and_b32_e32 v88, v90, v88
	v_bfe_u32 v92, v91, 21, 1
	v_cmp_eq_u32_e64 s17, v88, v93
	v_add_nc_u32_e32 v90, -1, v92
	v_cndmask_b32_e64 v88, 0, v90, s17
	v_lshrrev_b32_e32 v90, 23, v91
	s_mov_b32 s17, exec_lo
	v_add_nc_u32_e32 v88, v88, v91
	v_xor_b32_e32 v90, 1, v90
	v_and_b32_e32 v78, 0x1fffff, v88
	v_add_nc_u32_e32 v88, v78, v91
                                        ; implicit-def: $vgpr78
	v_cmpx_ne_u32_e64 v89, v90
	s_xor_b32 s17, exec_lo, s17
; %bb.549:                              ;   in Loop: Header=BB2_354 Depth=4
	v_cmp_lt_u32_e64 s16, 0xffffff, v88
	v_sub_nc_u32_e32 v78, v89, v90
	v_cndmask_b32_e64 v89, 0, 1, s16
	v_add_co_ci_u32_e64 v78, null, 0, v78, s16
	v_lshrrev_b32_e32 v88, v89, v88
; %bb.550:                              ;   in Loop: Header=BB2_354 Depth=4
	s_andn2_saveexec_b32 s16, s17
; %bb.551:                              ;   in Loop: Header=BB2_354 Depth=4
	v_bfe_u32 v78, v88, 23, 1
; %bb.552:                              ;   in Loop: Header=BB2_354 Depth=4
	s_or_b32 exec_lo, exec_lo, s16
	v_lshrrev_b32_e32 v88, 21, v88
	v_min_i32_e32 v89, 31, v78
	v_cmp_gt_i32_e64 s16, 32, v78
	v_and_b32_sdwa v79, v79, v101 dst_sel:DWORD dst_unused:UNUSED_PAD src0_sel:BYTE_3 src1_sel:DWORD
	v_lshlrev_b32_e32 v89, 2, v89
	v_cndmask_b32_e64 v88, 3, v88, s16
	v_and_b32_e32 v89, 0xfc, v89
	v_and_b32_e32 v90, 3, v88
	v_or_b32_e32 v78, v78, v88
	v_or3_b32 v79, v79, v89, v90
	v_cmp_ne_u32_e64 s16, 0, v78
	v_lshlrev_b32_e32 v79, 8, v79
	v_cndmask_b32_e64 v78, 0, v79, s16
.LBB2_553:                              ;   in Loop: Header=BB2_354 Depth=4
	s_or_b32 exec_lo, exec_lo, s72
.LBB2_554:                              ;   in Loop: Header=BB2_354 Depth=4
	s_or_b32 exec_lo, exec_lo, s63
	v_and_b32_sdwa v88, v14, v112 dst_sel:DWORD dst_unused:UNUSED_PAD src0_sel:WORD_1 src1_sel:DWORD
	s_mov_b32 s17, 0
	s_mov_b32 s63, exec_lo
	v_cmpx_lt_i16_e32 0x7f, v88
	s_xor_b32 s63, exec_lo, s63
	s_cbranch_execz .LBB2_712
; %bb.555:                              ;   in Loop: Header=BB2_354 Depth=4
	s_mov_b32 s17, -1
	s_mov_b32 s72, exec_lo
	v_cmpx_eq_u16_e32 0x80, v88
; %bb.556:                              ;   in Loop: Header=BB2_354 Depth=4
	s_xor_b32 s17, exec_lo, -1
; %bb.557:                              ;   in Loop: Header=BB2_354 Depth=4
	s_or_b32 exec_lo, exec_lo, s72
	s_and_b32 s17, s17, exec_lo
                                        ; implicit-def: $vgpr88
	s_or_saveexec_b32 s63, s63
	v_mov_b32_e32 v79, 0x7f800001
	s_xor_b32 exec_lo, exec_lo, s63
	s_cbranch_execnz .LBB2_713
.LBB2_558:                              ;   in Loop: Header=BB2_354 Depth=4
	s_or_b32 exec_lo, exec_lo, s63
	s_and_saveexec_b32 s63, s17
	s_cbranch_execz .LBB2_560
.LBB2_559:                              ;   in Loop: Header=BB2_354 Depth=4
	v_bfe_u32 v79, v14, 16, 2
	v_bfe_u32 v90, v14, 18, 5
	v_lshlrev_b32_e32 v91, 8, v14
	v_ffbh_u32_e32 v88, v79
	v_cmp_eq_u32_e64 s16, 0, v90
	v_min_u32_e32 v88, 32, v88
	v_subrev_nc_u32_e32 v89, 29, v88
	v_sub_nc_u32_e32 v88, 30, v88
	v_lshlrev_b32_sdwa v89, v89, v14 dst_sel:DWORD dst_unused:UNUSED_PAD src0_sel:DWORD src1_sel:WORD_1
	v_cndmask_b32_e64 v88, v90, v88, s16
	v_and_b32_e32 v89, 3, v89
	v_lshl_add_u32 v88, v88, 23, 0x37800000
	v_cndmask_b32_e64 v79, v79, v89, s16
	v_and_b32_e32 v89, 0x80000000, v91
	v_lshlrev_b32_e32 v79, 21, v79
	v_or3_b32 v79, v89, v88, v79
.LBB2_560:                              ;   in Loop: Header=BB2_354 Depth=4
	s_or_b32 exec_lo, exec_lo, s63
	v_and_b32_sdwa v89, v10, v112 dst_sel:DWORD dst_unused:UNUSED_PAD src0_sel:WORD_1 src1_sel:DWORD
	s_mov_b32 s17, 0
	s_mov_b32 s63, exec_lo
	v_cmpx_lt_i16_e32 0x7f, v89
	s_xor_b32 s63, exec_lo, s63
	s_cbranch_execz .LBB2_714
; %bb.561:                              ;   in Loop: Header=BB2_354 Depth=4
	s_mov_b32 s17, -1
	s_mov_b32 s72, exec_lo
	v_cmpx_eq_u16_e32 0x80, v89
; %bb.562:                              ;   in Loop: Header=BB2_354 Depth=4
	s_xor_b32 s17, exec_lo, -1
; %bb.563:                              ;   in Loop: Header=BB2_354 Depth=4
	s_or_b32 exec_lo, exec_lo, s72
	s_and_b32 s17, s17, exec_lo
                                        ; implicit-def: $vgpr89
	s_or_saveexec_b32 s63, s63
	v_mov_b32_e32 v88, 0x7f800001
	s_xor_b32 exec_lo, exec_lo, s63
	s_cbranch_execnz .LBB2_715
.LBB2_564:                              ;   in Loop: Header=BB2_354 Depth=4
	s_or_b32 exec_lo, exec_lo, s63
	s_and_saveexec_b32 s63, s17
	s_cbranch_execz .LBB2_566
.LBB2_565:                              ;   in Loop: Header=BB2_354 Depth=4
	v_and_b32_sdwa v88, v10, v113 dst_sel:DWORD dst_unused:UNUSED_PAD src0_sel:WORD_1 src1_sel:DWORD
	v_bfe_u32 v91, v10, 18, 5
	v_lshlrev_b32_sdwa v92, v103, v10 dst_sel:DWORD dst_unused:UNUSED_PAD src0_sel:DWORD src1_sel:WORD_1
	v_ffbh_u32_e32 v89, v88
	v_cmp_eq_u32_e64 s16, 0, v91
	v_min_u32_e32 v89, 32, v89
	v_subrev_nc_u32_e32 v90, 29, v89
	v_sub_nc_u32_e32 v89, 30, v89
	v_lshlrev_b32_sdwa v90, v90, v10 dst_sel:DWORD dst_unused:UNUSED_PAD src0_sel:DWORD src1_sel:WORD_1
	v_cndmask_b32_e64 v89, v91, v89, s16
	v_and_b32_e32 v90, 3, v90
	v_lshl_add_u32 v89, v89, 23, 0x37800000
	v_cndmask_b32_e64 v88, v88, v90, s16
	v_and_b32_e32 v90, 0x80000000, v92
	v_lshlrev_b32_e32 v88, 21, v88
	v_or3_b32 v88, v90, v89, v88
.LBB2_566:                              ;   in Loop: Header=BB2_354 Depth=4
	s_or_b32 exec_lo, exec_lo, s63
	v_mul_f32_e32 v88, v79, v88
	v_and_b32_e32 v79, 0x7f800000, v88
	v_cmp_ne_u32_e64 s16, 0x7f800000, v79
	v_mov_b32_e32 v79, 0x80
	s_and_saveexec_b32 s63, s16
	s_cbranch_execz .LBB2_574
; %bb.567:                              ;   in Loop: Header=BB2_354 Depth=4
	v_mov_b32_e32 v79, 0
	s_mov_b32 s72, exec_lo
	v_cmpx_ne_u32_e32 0, v88
	s_cbranch_execz .LBB2_573
; %bb.568:                              ;   in Loop: Header=BB2_354 Depth=4
	v_bfe_u32 v79, v88, 23, 8
	v_and_b32_e32 v89, 0x7fffff, v88
	v_sub_nc_u32_e32 v90, 0x70, v79
	v_cmp_gt_u32_e64 s16, 0x71, v79
	v_or_b32_e32 v91, 0x800000, v89
	v_cndmask_b32_e64 v90, 0, v90, s16
	v_cmp_eq_u32_e64 s16, 0, v79
	v_add_nc_u32_e32 v79, 0xffffff91, v79
	v_cndmask_b32_e64 v90, v90, 0x6f, s16
	v_cndmask_b32_e64 v89, v91, v89, s16
	;; [unrolled: 1-line block ×3, first 2 shown]
	v_lshl_add_u32 v91, 0x200000, v90, -1
	v_lshrrev_b32_e32 v92, v90, v89
	v_lshlrev_b32_e64 v94, v90, 0x100000
	v_add_nc_u32_e32 v90, v90, v79
	v_and_b32_e32 v89, v91, v89
	v_bfe_u32 v93, v92, 21, 1
	v_cmp_eq_u32_e64 s17, v89, v94
	v_add_nc_u32_e32 v91, -1, v93
	v_cndmask_b32_e64 v89, 0, v91, s17
	v_lshrrev_b32_e32 v91, 23, v92
	s_mov_b32 s17, exec_lo
	v_add_nc_u32_e32 v89, v89, v92
	v_xor_b32_e32 v91, 1, v91
	v_and_b32_e32 v79, 0x1fffff, v89
	v_add_nc_u32_e32 v89, v79, v92
                                        ; implicit-def: $vgpr79
	v_cmpx_ne_u32_e64 v90, v91
	s_xor_b32 s17, exec_lo, s17
; %bb.569:                              ;   in Loop: Header=BB2_354 Depth=4
	v_cmp_lt_u32_e64 s16, 0xffffff, v89
	v_sub_nc_u32_e32 v79, v90, v91
	v_cndmask_b32_e64 v90, 0, 1, s16
	v_add_co_ci_u32_e64 v79, null, 0, v79, s16
	v_lshrrev_b32_e32 v89, v90, v89
; %bb.570:                              ;   in Loop: Header=BB2_354 Depth=4
	s_andn2_saveexec_b32 s16, s17
; %bb.571:                              ;   in Loop: Header=BB2_354 Depth=4
	v_bfe_u32 v79, v89, 23, 1
; %bb.572:                              ;   in Loop: Header=BB2_354 Depth=4
	s_or_b32 exec_lo, exec_lo, s16
	v_lshrrev_b32_e32 v89, 21, v89
	v_min_i32_e32 v90, 31, v79
	v_cmp_gt_i32_e64 s16, 32, v79
	v_and_b32_sdwa v88, v88, v101 dst_sel:DWORD dst_unused:UNUSED_PAD src0_sel:BYTE_3 src1_sel:DWORD
	v_lshlrev_b32_e32 v90, 2, v90
	v_cndmask_b32_e64 v89, 3, v89, s16
	v_and_b32_e32 v90, 0xfc, v90
	v_and_b32_e32 v91, 3, v89
	v_or_b32_e32 v79, v79, v89
	v_or3_b32 v88, v90, v88, v91
	v_cmp_ne_u32_e64 s16, 0, v79
	v_cndmask_b32_e64 v79, 0, v88, s16
.LBB2_573:                              ;   in Loop: Header=BB2_354 Depth=4
	s_or_b32 exec_lo, exec_lo, s72
.LBB2_574:                              ;   in Loop: Header=BB2_354 Depth=4
	s_or_b32 exec_lo, exec_lo, s63
	v_cmp_gt_i16_sdwa s17, v14, v100 src0_sel:BYTE_3 src1_sel:DWORD
	s_mov_b32 s16, 0
	s_and_saveexec_b32 s63, s17
	s_xor_b32 s17, exec_lo, s63
	s_cbranch_execz .LBB2_716
; %bb.575:                              ;   in Loop: Header=BB2_354 Depth=4
	v_cmp_eq_u16_sdwa s72, v14, v101 src0_sel:BYTE_3 src1_sel:DWORD
	s_mov_b32 s16, -1
	s_and_saveexec_b32 s63, s72
; %bb.576:                              ;   in Loop: Header=BB2_354 Depth=4
	s_xor_b32 s16, exec_lo, -1
; %bb.577:                              ;   in Loop: Header=BB2_354 Depth=4
	s_or_b32 exec_lo, exec_lo, s63
	s_and_b32 s16, s16, exec_lo
	s_or_saveexec_b32 s17, s17
	v_mov_b32_e32 v88, 0x7f800001
	s_xor_b32 exec_lo, exec_lo, s17
	s_cbranch_execnz .LBB2_717
.LBB2_578:                              ;   in Loop: Header=BB2_354 Depth=4
	s_or_b32 exec_lo, exec_lo, s17
	s_and_saveexec_b32 s17, s16
	s_cbranch_execz .LBB2_580
.LBB2_579:                              ;   in Loop: Header=BB2_354 Depth=4
	v_bfe_u32 v88, v14, 24, 2
	v_bfe_u32 v91, v14, 26, 5
	v_ffbh_u32_e32 v89, v88
	v_cmp_eq_u32_e64 s16, 0, v91
	v_min_u32_e32 v89, 32, v89
	v_subrev_nc_u32_e32 v90, 29, v89
	v_sub_nc_u32_e32 v89, 30, v89
	v_lshlrev_b32_sdwa v90, v90, v14 dst_sel:DWORD dst_unused:UNUSED_PAD src0_sel:DWORD src1_sel:BYTE_3
	v_cndmask_b32_e64 v89, v91, v89, s16
	v_and_b32_e32 v14, 0x80000000, v14
	v_and_b32_e32 v90, 3, v90
	v_lshl_add_u32 v89, v89, 23, 0x37800000
	v_cndmask_b32_e64 v88, v88, v90, s16
	v_lshlrev_b32_e32 v88, 21, v88
	v_or3_b32 v88, v14, v89, v88
.LBB2_580:                              ;   in Loop: Header=BB2_354 Depth=4
	s_or_b32 exec_lo, exec_lo, s17
	v_cmp_gt_i16_sdwa s17, v10, v100 src0_sel:BYTE_3 src1_sel:DWORD
	s_mov_b32 s16, 0
	s_and_saveexec_b32 s63, s17
	s_xor_b32 s17, exec_lo, s63
	s_cbranch_execz .LBB2_718
; %bb.581:                              ;   in Loop: Header=BB2_354 Depth=4
	v_cmp_eq_u16_sdwa s72, v10, v101 src0_sel:BYTE_3 src1_sel:DWORD
	s_mov_b32 s16, -1
	s_and_saveexec_b32 s63, s72
; %bb.582:                              ;   in Loop: Header=BB2_354 Depth=4
	s_xor_b32 s16, exec_lo, -1
; %bb.583:                              ;   in Loop: Header=BB2_354 Depth=4
	s_or_b32 exec_lo, exec_lo, s63
	s_and_b32 s16, s16, exec_lo
	s_or_saveexec_b32 s17, s17
	v_mov_b32_e32 v14, 0x7f800001
	s_xor_b32 exec_lo, exec_lo, s17
	s_cbranch_execnz .LBB2_719
.LBB2_584:                              ;   in Loop: Header=BB2_354 Depth=4
	s_or_b32 exec_lo, exec_lo, s17
	s_and_saveexec_b32 s17, s16
	s_cbranch_execz .LBB2_586
.LBB2_585:                              ;   in Loop: Header=BB2_354 Depth=4
	v_and_b32_sdwa v14, v10, v113 dst_sel:DWORD dst_unused:UNUSED_PAD src0_sel:BYTE_3 src1_sel:DWORD
	v_bfe_u32 v91, v10, 26, 5
	v_ffbh_u32_e32 v89, v14
	v_cmp_eq_u32_e64 s16, 0, v91
	v_min_u32_e32 v89, 32, v89
	v_subrev_nc_u32_e32 v90, 29, v89
	v_sub_nc_u32_e32 v89, 30, v89
	v_lshlrev_b32_sdwa v90, v90, v10 dst_sel:DWORD dst_unused:UNUSED_PAD src0_sel:DWORD src1_sel:BYTE_3
	v_cndmask_b32_e64 v89, v91, v89, s16
	v_and_b32_e32 v10, 0x80000000, v10
	v_and_b32_e32 v90, 3, v90
	v_lshl_add_u32 v89, v89, 23, 0x37800000
	v_cndmask_b32_e64 v14, v14, v90, s16
	v_lshlrev_b32_e32 v14, 21, v14
	v_or3_b32 v14, v10, v89, v14
.LBB2_586:                              ;   in Loop: Header=BB2_354 Depth=4
	s_or_b32 exec_lo, exec_lo, s17
	v_mul_f32_e32 v14, v88, v14
	v_and_b32_e32 v10, 0x7f800000, v14
	v_cmp_ne_u32_e64 s16, 0x7f800000, v10
	v_mov_b32_e32 v10, 0x8000
	s_and_saveexec_b32 s63, s16
	s_cbranch_execz .LBB2_594
; %bb.587:                              ;   in Loop: Header=BB2_354 Depth=4
	v_mov_b32_e32 v10, 0
	s_mov_b32 s72, exec_lo
	v_cmpx_ne_u32_e32 0, v14
	s_cbranch_execz .LBB2_593
; %bb.588:                              ;   in Loop: Header=BB2_354 Depth=4
	v_bfe_u32 v10, v14, 23, 8
	v_and_b32_e32 v88, 0x7fffff, v14
	v_sub_nc_u32_e32 v89, 0x70, v10
	v_cmp_gt_u32_e64 s16, 0x71, v10
	v_or_b32_e32 v90, 0x800000, v88
	v_cndmask_b32_e64 v89, 0, v89, s16
	v_cmp_eq_u32_e64 s16, 0, v10
	v_add_nc_u32_e32 v10, 0xffffff91, v10
	v_cndmask_b32_e64 v89, v89, 0x6f, s16
	v_cndmask_b32_e64 v88, v90, v88, s16
	;; [unrolled: 1-line block ×3, first 2 shown]
	v_lshl_add_u32 v90, 0x200000, v89, -1
	v_lshrrev_b32_e32 v91, v89, v88
	v_lshlrev_b32_e64 v93, v89, 0x100000
	v_add_nc_u32_e32 v89, v89, v10
	v_and_b32_e32 v88, v90, v88
	v_bfe_u32 v92, v91, 21, 1
	v_cmp_eq_u32_e64 s17, v88, v93
	v_add_nc_u32_e32 v90, -1, v92
	v_cndmask_b32_e64 v88, 0, v90, s17
	v_lshrrev_b32_e32 v90, 23, v91
	s_mov_b32 s17, exec_lo
	v_add_nc_u32_e32 v88, v88, v91
	v_xor_b32_e32 v90, 1, v90
	v_and_b32_e32 v10, 0x1fffff, v88
	v_add_nc_u32_e32 v88, v10, v91
                                        ; implicit-def: $vgpr10
	v_cmpx_ne_u32_e64 v89, v90
	s_xor_b32 s17, exec_lo, s17
; %bb.589:                              ;   in Loop: Header=BB2_354 Depth=4
	v_cmp_lt_u32_e64 s16, 0xffffff, v88
	v_sub_nc_u32_e32 v10, v89, v90
	v_cndmask_b32_e64 v89, 0, 1, s16
	v_add_co_ci_u32_e64 v10, null, 0, v10, s16
	v_lshrrev_b32_e32 v88, v89, v88
; %bb.590:                              ;   in Loop: Header=BB2_354 Depth=4
	s_andn2_saveexec_b32 s16, s17
; %bb.591:                              ;   in Loop: Header=BB2_354 Depth=4
	v_bfe_u32 v10, v88, 23, 1
; %bb.592:                              ;   in Loop: Header=BB2_354 Depth=4
	s_or_b32 exec_lo, exec_lo, s16
	v_lshrrev_b32_e32 v88, 21, v88
	v_min_i32_e32 v89, 31, v10
	v_cmp_gt_i32_e64 s16, 32, v10
	v_and_b32_sdwa v14, v14, v101 dst_sel:DWORD dst_unused:UNUSED_PAD src0_sel:BYTE_3 src1_sel:DWORD
	v_lshlrev_b32_e32 v89, 2, v89
	v_cndmask_b32_e64 v88, 3, v88, s16
	v_and_b32_e32 v89, 0xfc, v89
	v_and_b32_e32 v90, 3, v88
	v_or_b32_e32 v10, v10, v88
	v_or3_b32 v14, v14, v89, v90
	v_cmp_ne_u32_e64 s16, 0, v10
	v_lshlrev_b32_e32 v14, 8, v14
	v_cndmask_b32_e64 v10, 0, v14, s16
.LBB2_593:                              ;   in Loop: Header=BB2_354 Depth=4
	s_or_b32 exec_lo, exec_lo, s72
.LBB2_594:                              ;   in Loop: Header=BB2_354 Depth=4
	s_or_b32 exec_lo, exec_lo, s63
	v_cmp_gt_i16_sdwa s17, v15, v100 src0_sel:BYTE_0 src1_sel:DWORD
	s_mov_b32 s16, 0
	s_and_saveexec_b32 s63, s17
	s_xor_b32 s17, exec_lo, s63
	s_cbranch_execz .LBB2_720
; %bb.595:                              ;   in Loop: Header=BB2_354 Depth=4
	v_cmp_eq_u16_sdwa s72, v15, v101 src0_sel:BYTE_0 src1_sel:DWORD
	s_mov_b32 s16, -1
	s_and_saveexec_b32 s63, s72
; %bb.596:                              ;   in Loop: Header=BB2_354 Depth=4
	s_xor_b32 s16, exec_lo, -1
; %bb.597:                              ;   in Loop: Header=BB2_354 Depth=4
	s_or_b32 exec_lo, exec_lo, s63
	s_and_b32 s16, s16, exec_lo
	s_or_saveexec_b32 s17, s17
	v_mov_b32_e32 v14, 0x7f800001
	s_xor_b32 exec_lo, exec_lo, s17
	s_cbranch_execnz .LBB2_721
.LBB2_598:                              ;   in Loop: Header=BB2_354 Depth=4
	s_or_b32 exec_lo, exec_lo, s17
	s_and_saveexec_b32 s17, s16
	s_cbranch_execz .LBB2_600
.LBB2_599:                              ;   in Loop: Header=BB2_354 Depth=4
	v_and_b32_e32 v14, 3, v15
	v_bfe_u32 v90, v15, 2, 5
	v_lshlrev_b32_e32 v91, 24, v15
	v_ffbh_u32_e32 v88, v14
	v_cmp_eq_u32_e64 s16, 0, v90
	v_min_u32_e32 v88, 32, v88
	v_subrev_nc_u32_e32 v89, 29, v88
	v_sub_nc_u32_e32 v88, 30, v88
	v_lshlrev_b32_e32 v89, v89, v15
	v_cndmask_b32_e64 v88, v90, v88, s16
	v_and_b32_e32 v89, 3, v89
	v_lshl_add_u32 v88, v88, 23, 0x37800000
	v_cndmask_b32_e64 v14, v14, v89, s16
	v_and_b32_e32 v89, 0x80000000, v91
	v_lshlrev_b32_e32 v14, 21, v14
	v_or3_b32 v14, v89, v88, v14
.LBB2_600:                              ;   in Loop: Header=BB2_354 Depth=4
	s_or_b32 exec_lo, exec_lo, s17
	v_cmp_gt_i16_sdwa s17, v11, v100 src0_sel:BYTE_0 src1_sel:DWORD
	s_mov_b32 s16, 0
	s_and_saveexec_b32 s63, s17
	s_xor_b32 s17, exec_lo, s63
	s_cbranch_execz .LBB2_722
; %bb.601:                              ;   in Loop: Header=BB2_354 Depth=4
	v_cmp_eq_u16_sdwa s72, v11, v101 src0_sel:BYTE_0 src1_sel:DWORD
	s_mov_b32 s16, -1
	s_and_saveexec_b32 s63, s72
; %bb.602:                              ;   in Loop: Header=BB2_354 Depth=4
	s_xor_b32 s16, exec_lo, -1
; %bb.603:                              ;   in Loop: Header=BB2_354 Depth=4
	s_or_b32 exec_lo, exec_lo, s63
	s_and_b32 s16, s16, exec_lo
	s_or_saveexec_b32 s17, s17
	v_mov_b32_e32 v88, 0x7f800001
	s_xor_b32 exec_lo, exec_lo, s17
	s_cbranch_execnz .LBB2_723
.LBB2_604:                              ;   in Loop: Header=BB2_354 Depth=4
	s_or_b32 exec_lo, exec_lo, s17
	s_and_saveexec_b32 s17, s16
	s_cbranch_execz .LBB2_606
.LBB2_605:                              ;   in Loop: Header=BB2_354 Depth=4
	v_and_b32_e32 v88, 3, v11
	v_bfe_u32 v91, v11, 2, 5
	v_lshlrev_b32_e32 v92, 24, v11
	v_ffbh_u32_e32 v89, v88
	v_cmp_eq_u32_e64 s16, 0, v91
	v_min_u32_e32 v89, 32, v89
	v_subrev_nc_u32_e32 v90, 29, v89
	v_sub_nc_u32_e32 v89, 30, v89
	v_lshlrev_b32_e32 v90, v90, v11
	v_cndmask_b32_e64 v89, v91, v89, s16
	v_and_b32_e32 v90, 3, v90
	v_lshl_add_u32 v89, v89, 23, 0x37800000
	v_cndmask_b32_e64 v88, v88, v90, s16
	v_and_b32_e32 v90, 0x80000000, v92
	v_lshlrev_b32_e32 v88, 21, v88
	v_or3_b32 v88, v90, v89, v88
.LBB2_606:                              ;   in Loop: Header=BB2_354 Depth=4
	s_or_b32 exec_lo, exec_lo, s17
	v_mul_f32_e32 v88, v14, v88
	v_and_b32_e32 v14, 0x7f800000, v88
	v_cmp_ne_u32_e64 s16, 0x7f800000, v14
	v_mov_b32_e32 v14, 0x80
	s_and_saveexec_b32 s63, s16
	s_cbranch_execz .LBB2_614
; %bb.607:                              ;   in Loop: Header=BB2_354 Depth=4
	v_mov_b32_e32 v14, 0
	s_mov_b32 s72, exec_lo
	v_cmpx_ne_u32_e32 0, v88
	s_cbranch_execz .LBB2_613
; %bb.608:                              ;   in Loop: Header=BB2_354 Depth=4
	v_bfe_u32 v14, v88, 23, 8
	v_and_b32_e32 v89, 0x7fffff, v88
	v_sub_nc_u32_e32 v90, 0x70, v14
	v_cmp_gt_u32_e64 s16, 0x71, v14
	v_or_b32_e32 v91, 0x800000, v89
	v_cndmask_b32_e64 v90, 0, v90, s16
	v_cmp_eq_u32_e64 s16, 0, v14
	v_add_nc_u32_e32 v14, 0xffffff91, v14
	v_cndmask_b32_e64 v90, v90, 0x6f, s16
	v_cndmask_b32_e64 v89, v91, v89, s16
	;; [unrolled: 1-line block ×3, first 2 shown]
	v_lshl_add_u32 v91, 0x200000, v90, -1
	v_lshrrev_b32_e32 v92, v90, v89
	v_lshlrev_b32_e64 v94, v90, 0x100000
	v_add_nc_u32_e32 v90, v90, v14
	v_and_b32_e32 v89, v91, v89
	v_bfe_u32 v93, v92, 21, 1
	v_cmp_eq_u32_e64 s17, v89, v94
	v_add_nc_u32_e32 v91, -1, v93
	v_cndmask_b32_e64 v89, 0, v91, s17
	v_lshrrev_b32_e32 v91, 23, v92
	s_mov_b32 s17, exec_lo
	v_add_nc_u32_e32 v89, v89, v92
	v_xor_b32_e32 v91, 1, v91
	v_and_b32_e32 v14, 0x1fffff, v89
	v_add_nc_u32_e32 v89, v14, v92
                                        ; implicit-def: $vgpr14
	v_cmpx_ne_u32_e64 v90, v91
	s_xor_b32 s17, exec_lo, s17
; %bb.609:                              ;   in Loop: Header=BB2_354 Depth=4
	v_cmp_lt_u32_e64 s16, 0xffffff, v89
	v_sub_nc_u32_e32 v14, v90, v91
	v_cndmask_b32_e64 v90, 0, 1, s16
	v_add_co_ci_u32_e64 v14, null, 0, v14, s16
	v_lshrrev_b32_e32 v89, v90, v89
; %bb.610:                              ;   in Loop: Header=BB2_354 Depth=4
	s_andn2_saveexec_b32 s16, s17
; %bb.611:                              ;   in Loop: Header=BB2_354 Depth=4
	v_bfe_u32 v14, v89, 23, 1
; %bb.612:                              ;   in Loop: Header=BB2_354 Depth=4
	s_or_b32 exec_lo, exec_lo, s16
	v_lshrrev_b32_e32 v89, 21, v89
	v_min_i32_e32 v90, 31, v14
	v_cmp_gt_i32_e64 s16, 32, v14
	v_and_b32_sdwa v88, v88, v101 dst_sel:DWORD dst_unused:UNUSED_PAD src0_sel:BYTE_3 src1_sel:DWORD
	v_lshlrev_b32_e32 v90, 2, v90
	v_cndmask_b32_e64 v89, 3, v89, s16
	v_and_b32_e32 v90, 0xfc, v90
	v_and_b32_e32 v91, 3, v89
	v_or_b32_e32 v14, v14, v89
	v_or3_b32 v88, v90, v88, v91
	v_cmp_ne_u32_e64 s16, 0, v14
	v_cndmask_b32_e64 v14, 0, v88, s16
.LBB2_613:                              ;   in Loop: Header=BB2_354 Depth=4
	s_or_b32 exec_lo, exec_lo, s72
.LBB2_614:                              ;   in Loop: Header=BB2_354 Depth=4
	s_or_b32 exec_lo, exec_lo, s63
	v_cmp_gt_i16_sdwa s17, v15, v100 src0_sel:BYTE_1 src1_sel:DWORD
	s_mov_b32 s16, 0
	s_and_saveexec_b32 s63, s17
	s_xor_b32 s17, exec_lo, s63
	s_cbranch_execz .LBB2_724
; %bb.615:                              ;   in Loop: Header=BB2_354 Depth=4
	v_cmp_eq_u16_sdwa s72, v15, v101 src0_sel:BYTE_1 src1_sel:DWORD
	s_mov_b32 s16, -1
	s_and_saveexec_b32 s63, s72
; %bb.616:                              ;   in Loop: Header=BB2_354 Depth=4
	s_xor_b32 s16, exec_lo, -1
; %bb.617:                              ;   in Loop: Header=BB2_354 Depth=4
	s_or_b32 exec_lo, exec_lo, s63
	s_and_b32 s16, s16, exec_lo
	s_or_saveexec_b32 s17, s17
	v_mov_b32_e32 v88, 0x7f800001
	s_xor_b32 exec_lo, exec_lo, s17
	s_cbranch_execnz .LBB2_725
.LBB2_618:                              ;   in Loop: Header=BB2_354 Depth=4
	s_or_b32 exec_lo, exec_lo, s17
	s_and_saveexec_b32 s17, s16
	s_cbranch_execz .LBB2_620
.LBB2_619:                              ;   in Loop: Header=BB2_354 Depth=4
	v_and_b32_sdwa v88, v102, v15 dst_sel:DWORD dst_unused:UNUSED_PAD src0_sel:DWORD src1_sel:BYTE_1
	v_and_b32_e32 v89, 3, v88
	v_bfe_u32 v92, v88, 2, 5
	v_ffbh_u32_e32 v90, v89
	v_cmp_eq_u32_e64 s16, 0, v92
	v_min_u32_e32 v90, 32, v90
	v_subrev_nc_u32_e32 v91, 29, v90
	v_sub_nc_u32_e32 v90, 30, v90
	v_lshlrev_b32_e32 v88, v91, v88
	v_lshlrev_b32_sdwa v91, v103, v15 dst_sel:DWORD dst_unused:UNUSED_PAD src0_sel:DWORD src1_sel:BYTE_1
	v_cndmask_b32_e64 v90, v92, v90, s16
	v_and_b32_e32 v88, 3, v88
	v_lshl_add_u32 v90, v90, 23, 0x37800000
	v_cndmask_b32_e64 v88, v89, v88, s16
	v_and_b32_e32 v89, 0x80000000, v91
	v_lshlrev_b32_e32 v88, 21, v88
	v_or3_b32 v88, v89, v90, v88
.LBB2_620:                              ;   in Loop: Header=BB2_354 Depth=4
	s_or_b32 exec_lo, exec_lo, s17
	v_cmp_gt_i16_sdwa s17, v11, v100 src0_sel:BYTE_1 src1_sel:DWORD
	s_mov_b32 s16, 0
	s_and_saveexec_b32 s63, s17
	s_xor_b32 s17, exec_lo, s63
	s_cbranch_execz .LBB2_726
; %bb.621:                              ;   in Loop: Header=BB2_354 Depth=4
	v_cmp_eq_u16_sdwa s72, v11, v101 src0_sel:BYTE_1 src1_sel:DWORD
	s_mov_b32 s16, -1
	s_and_saveexec_b32 s63, s72
; %bb.622:                              ;   in Loop: Header=BB2_354 Depth=4
	s_xor_b32 s16, exec_lo, -1
; %bb.623:                              ;   in Loop: Header=BB2_354 Depth=4
	s_or_b32 exec_lo, exec_lo, s63
	s_and_b32 s16, s16, exec_lo
	s_or_saveexec_b32 s17, s17
	v_mov_b32_e32 v89, 0x7f800001
	s_xor_b32 exec_lo, exec_lo, s17
	s_cbranch_execnz .LBB2_727
.LBB2_624:                              ;   in Loop: Header=BB2_354 Depth=4
	s_or_b32 exec_lo, exec_lo, s17
	s_and_saveexec_b32 s17, s16
	s_cbranch_execz .LBB2_626
.LBB2_625:                              ;   in Loop: Header=BB2_354 Depth=4
	v_and_b32_sdwa v89, v102, v11 dst_sel:DWORD dst_unused:UNUSED_PAD src0_sel:DWORD src1_sel:BYTE_1
	v_and_b32_e32 v90, 3, v89
	v_bfe_u32 v93, v89, 2, 5
	v_ffbh_u32_e32 v91, v90
	v_cmp_eq_u32_e64 s16, 0, v93
	v_min_u32_e32 v91, 32, v91
	v_subrev_nc_u32_e32 v92, 29, v91
	v_sub_nc_u32_e32 v91, 30, v91
	v_lshlrev_b32_e32 v89, v92, v89
	v_lshlrev_b32_sdwa v92, v103, v11 dst_sel:DWORD dst_unused:UNUSED_PAD src0_sel:DWORD src1_sel:BYTE_1
	v_cndmask_b32_e64 v91, v93, v91, s16
	v_and_b32_e32 v89, 3, v89
	v_lshl_add_u32 v91, v91, 23, 0x37800000
	v_cndmask_b32_e64 v89, v90, v89, s16
	v_and_b32_e32 v90, 0x80000000, v92
	v_lshlrev_b32_e32 v89, 21, v89
	v_or3_b32 v89, v90, v91, v89
.LBB2_626:                              ;   in Loop: Header=BB2_354 Depth=4
	s_or_b32 exec_lo, exec_lo, s17
	v_mul_f32_e32 v89, v88, v89
	v_and_b32_e32 v88, 0x7f800000, v89
	v_cmp_ne_u32_e64 s16, 0x7f800000, v88
	v_mov_b32_e32 v88, 0x8000
	s_and_saveexec_b32 s63, s16
	s_cbranch_execz .LBB2_634
; %bb.627:                              ;   in Loop: Header=BB2_354 Depth=4
	v_mov_b32_e32 v88, 0
	s_mov_b32 s72, exec_lo
	v_cmpx_ne_u32_e32 0, v89
	s_cbranch_execz .LBB2_633
; %bb.628:                              ;   in Loop: Header=BB2_354 Depth=4
	v_bfe_u32 v88, v89, 23, 8
	v_and_b32_e32 v90, 0x7fffff, v89
	v_sub_nc_u32_e32 v91, 0x70, v88
	v_cmp_gt_u32_e64 s16, 0x71, v88
	v_or_b32_e32 v92, 0x800000, v90
	v_cndmask_b32_e64 v91, 0, v91, s16
	v_cmp_eq_u32_e64 s16, 0, v88
	v_add_nc_u32_e32 v88, 0xffffff91, v88
	v_cndmask_b32_e64 v91, v91, 0x6f, s16
	v_cndmask_b32_e64 v90, v92, v90, s16
	;; [unrolled: 1-line block ×3, first 2 shown]
	v_lshl_add_u32 v92, 0x200000, v91, -1
	v_lshrrev_b32_e32 v93, v91, v90
	v_lshlrev_b32_e64 v95, v91, 0x100000
	v_add_nc_u32_e32 v91, v91, v88
	v_and_b32_e32 v90, v92, v90
	v_bfe_u32 v94, v93, 21, 1
	v_cmp_eq_u32_e64 s17, v90, v95
	v_add_nc_u32_e32 v92, -1, v94
	v_cndmask_b32_e64 v90, 0, v92, s17
	v_lshrrev_b32_e32 v92, 23, v93
	s_mov_b32 s17, exec_lo
	v_add_nc_u32_e32 v90, v90, v93
	v_xor_b32_e32 v92, 1, v92
	v_and_b32_e32 v88, 0x1fffff, v90
	v_add_nc_u32_e32 v90, v88, v93
                                        ; implicit-def: $vgpr88
	v_cmpx_ne_u32_e64 v91, v92
	s_xor_b32 s17, exec_lo, s17
; %bb.629:                              ;   in Loop: Header=BB2_354 Depth=4
	v_cmp_lt_u32_e64 s16, 0xffffff, v90
	v_sub_nc_u32_e32 v88, v91, v92
	v_cndmask_b32_e64 v91, 0, 1, s16
	v_add_co_ci_u32_e64 v88, null, 0, v88, s16
	v_lshrrev_b32_e32 v90, v91, v90
; %bb.630:                              ;   in Loop: Header=BB2_354 Depth=4
	s_andn2_saveexec_b32 s16, s17
; %bb.631:                              ;   in Loop: Header=BB2_354 Depth=4
	v_bfe_u32 v88, v90, 23, 1
; %bb.632:                              ;   in Loop: Header=BB2_354 Depth=4
	s_or_b32 exec_lo, exec_lo, s16
	v_lshrrev_b32_e32 v90, 21, v90
	v_min_i32_e32 v91, 31, v88
	v_cmp_gt_i32_e64 s16, 32, v88
	v_and_b32_sdwa v89, v89, v101 dst_sel:DWORD dst_unused:UNUSED_PAD src0_sel:BYTE_3 src1_sel:DWORD
	v_lshlrev_b32_e32 v91, 2, v91
	v_cndmask_b32_e64 v90, 3, v90, s16
	v_and_b32_e32 v91, 0xfc, v91
	v_and_b32_e32 v92, 3, v90
	v_or_b32_e32 v88, v88, v90
	v_or3_b32 v89, v89, v91, v92
	v_cmp_ne_u32_e64 s16, 0, v88
	v_lshlrev_b32_e32 v89, 8, v89
	v_cndmask_b32_e64 v88, 0, v89, s16
.LBB2_633:                              ;   in Loop: Header=BB2_354 Depth=4
	s_or_b32 exec_lo, exec_lo, s72
.LBB2_634:                              ;   in Loop: Header=BB2_354 Depth=4
	s_or_b32 exec_lo, exec_lo, s63
	v_and_b32_sdwa v90, v15, v112 dst_sel:DWORD dst_unused:UNUSED_PAD src0_sel:WORD_1 src1_sel:DWORD
	s_mov_b32 s17, 0
	s_mov_b32 s63, exec_lo
	v_cmpx_lt_i16_e32 0x7f, v90
	s_xor_b32 s63, exec_lo, s63
	s_cbranch_execz .LBB2_728
; %bb.635:                              ;   in Loop: Header=BB2_354 Depth=4
	s_mov_b32 s17, -1
	s_mov_b32 s72, exec_lo
	v_cmpx_eq_u16_e32 0x80, v90
; %bb.636:                              ;   in Loop: Header=BB2_354 Depth=4
	s_xor_b32 s17, exec_lo, -1
; %bb.637:                              ;   in Loop: Header=BB2_354 Depth=4
	s_or_b32 exec_lo, exec_lo, s72
	s_and_b32 s17, s17, exec_lo
                                        ; implicit-def: $vgpr90
	s_or_saveexec_b32 s63, s63
	v_mov_b32_e32 v89, 0x7f800001
	s_xor_b32 exec_lo, exec_lo, s63
	s_cbranch_execnz .LBB2_729
.LBB2_638:                              ;   in Loop: Header=BB2_354 Depth=4
	s_or_b32 exec_lo, exec_lo, s63
	s_and_saveexec_b32 s63, s17
	s_cbranch_execz .LBB2_640
.LBB2_639:                              ;   in Loop: Header=BB2_354 Depth=4
	v_bfe_u32 v89, v15, 16, 2
	v_bfe_u32 v92, v15, 18, 5
	v_lshlrev_b32_e32 v93, 8, v15
	v_ffbh_u32_e32 v90, v89
	v_cmp_eq_u32_e64 s16, 0, v92
	v_min_u32_e32 v90, 32, v90
	v_subrev_nc_u32_e32 v91, 29, v90
	v_sub_nc_u32_e32 v90, 30, v90
	v_lshlrev_b32_sdwa v91, v91, v15 dst_sel:DWORD dst_unused:UNUSED_PAD src0_sel:DWORD src1_sel:WORD_1
	v_cndmask_b32_e64 v90, v92, v90, s16
	v_and_b32_e32 v91, 3, v91
	v_lshl_add_u32 v90, v90, 23, 0x37800000
	v_cndmask_b32_e64 v89, v89, v91, s16
	v_and_b32_e32 v91, 0x80000000, v93
	v_lshlrev_b32_e32 v89, 21, v89
	v_or3_b32 v89, v91, v90, v89
.LBB2_640:                              ;   in Loop: Header=BB2_354 Depth=4
	s_or_b32 exec_lo, exec_lo, s63
	v_and_b32_sdwa v91, v11, v112 dst_sel:DWORD dst_unused:UNUSED_PAD src0_sel:WORD_1 src1_sel:DWORD
	s_mov_b32 s17, 0
	s_mov_b32 s63, exec_lo
	v_cmpx_lt_i16_e32 0x7f, v91
	s_xor_b32 s63, exec_lo, s63
	s_cbranch_execz .LBB2_730
; %bb.641:                              ;   in Loop: Header=BB2_354 Depth=4
	s_mov_b32 s17, -1
	s_mov_b32 s72, exec_lo
	v_cmpx_eq_u16_e32 0x80, v91
; %bb.642:                              ;   in Loop: Header=BB2_354 Depth=4
	s_xor_b32 s17, exec_lo, -1
; %bb.643:                              ;   in Loop: Header=BB2_354 Depth=4
	s_or_b32 exec_lo, exec_lo, s72
	s_and_b32 s17, s17, exec_lo
                                        ; implicit-def: $vgpr91
	s_or_saveexec_b32 s63, s63
	v_mov_b32_e32 v90, 0x7f800001
	s_xor_b32 exec_lo, exec_lo, s63
	s_cbranch_execnz .LBB2_731
.LBB2_644:                              ;   in Loop: Header=BB2_354 Depth=4
	s_or_b32 exec_lo, exec_lo, s63
	s_and_saveexec_b32 s63, s17
	s_cbranch_execz .LBB2_646
.LBB2_645:                              ;   in Loop: Header=BB2_354 Depth=4
	v_and_b32_sdwa v90, v11, v113 dst_sel:DWORD dst_unused:UNUSED_PAD src0_sel:WORD_1 src1_sel:DWORD
	v_bfe_u32 v93, v11, 18, 5
	v_lshlrev_b32_sdwa v94, v103, v11 dst_sel:DWORD dst_unused:UNUSED_PAD src0_sel:DWORD src1_sel:WORD_1
	v_ffbh_u32_e32 v91, v90
	v_cmp_eq_u32_e64 s16, 0, v93
	v_min_u32_e32 v91, 32, v91
	v_subrev_nc_u32_e32 v92, 29, v91
	v_sub_nc_u32_e32 v91, 30, v91
	v_lshlrev_b32_sdwa v92, v92, v11 dst_sel:DWORD dst_unused:UNUSED_PAD src0_sel:DWORD src1_sel:WORD_1
	v_cndmask_b32_e64 v91, v93, v91, s16
	v_and_b32_e32 v92, 3, v92
	v_lshl_add_u32 v91, v91, 23, 0x37800000
	v_cndmask_b32_e64 v90, v90, v92, s16
	v_and_b32_e32 v92, 0x80000000, v94
	v_lshlrev_b32_e32 v90, 21, v90
	v_or3_b32 v90, v92, v91, v90
.LBB2_646:                              ;   in Loop: Header=BB2_354 Depth=4
	s_or_b32 exec_lo, exec_lo, s63
	v_mul_f32_e32 v90, v89, v90
	v_and_b32_e32 v89, 0x7f800000, v90
	v_cmp_ne_u32_e64 s16, 0x7f800000, v89
	v_mov_b32_e32 v89, 0x80
	s_and_saveexec_b32 s63, s16
	s_cbranch_execz .LBB2_654
; %bb.647:                              ;   in Loop: Header=BB2_354 Depth=4
	v_mov_b32_e32 v89, 0
	s_mov_b32 s72, exec_lo
	v_cmpx_ne_u32_e32 0, v90
	s_cbranch_execz .LBB2_653
; %bb.648:                              ;   in Loop: Header=BB2_354 Depth=4
	v_bfe_u32 v89, v90, 23, 8
	v_and_b32_e32 v91, 0x7fffff, v90
	v_sub_nc_u32_e32 v92, 0x70, v89
	v_cmp_gt_u32_e64 s16, 0x71, v89
	v_or_b32_e32 v93, 0x800000, v91
	v_cndmask_b32_e64 v92, 0, v92, s16
	v_cmp_eq_u32_e64 s16, 0, v89
	v_add_nc_u32_e32 v89, 0xffffff91, v89
	v_cndmask_b32_e64 v92, v92, 0x6f, s16
	v_cndmask_b32_e64 v91, v93, v91, s16
	;; [unrolled: 1-line block ×3, first 2 shown]
	v_lshl_add_u32 v93, 0x200000, v92, -1
	v_lshrrev_b32_e32 v94, v92, v91
	v_lshlrev_b32_e64 v104, v92, 0x100000
	v_add_nc_u32_e32 v92, v92, v89
	v_and_b32_e32 v91, v93, v91
	v_bfe_u32 v95, v94, 21, 1
	v_cmp_eq_u32_e64 s17, v91, v104
	v_add_nc_u32_e32 v93, -1, v95
	v_cndmask_b32_e64 v91, 0, v93, s17
	v_lshrrev_b32_e32 v93, 23, v94
	s_mov_b32 s17, exec_lo
	v_add_nc_u32_e32 v91, v91, v94
	v_xor_b32_e32 v93, 1, v93
	v_and_b32_e32 v89, 0x1fffff, v91
	v_add_nc_u32_e32 v91, v89, v94
                                        ; implicit-def: $vgpr89
	v_cmpx_ne_u32_e64 v92, v93
	s_xor_b32 s17, exec_lo, s17
; %bb.649:                              ;   in Loop: Header=BB2_354 Depth=4
	v_cmp_lt_u32_e64 s16, 0xffffff, v91
	v_sub_nc_u32_e32 v89, v92, v93
	v_cndmask_b32_e64 v92, 0, 1, s16
	v_add_co_ci_u32_e64 v89, null, 0, v89, s16
	v_lshrrev_b32_e32 v91, v92, v91
; %bb.650:                              ;   in Loop: Header=BB2_354 Depth=4
	s_andn2_saveexec_b32 s16, s17
; %bb.651:                              ;   in Loop: Header=BB2_354 Depth=4
	v_bfe_u32 v89, v91, 23, 1
; %bb.652:                              ;   in Loop: Header=BB2_354 Depth=4
	s_or_b32 exec_lo, exec_lo, s16
	v_lshrrev_b32_e32 v91, 21, v91
	v_min_i32_e32 v92, 31, v89
	v_cmp_gt_i32_e64 s16, 32, v89
	v_and_b32_sdwa v90, v90, v101 dst_sel:DWORD dst_unused:UNUSED_PAD src0_sel:BYTE_3 src1_sel:DWORD
	v_lshlrev_b32_e32 v92, 2, v92
	v_cndmask_b32_e64 v91, 3, v91, s16
	v_and_b32_e32 v92, 0xfc, v92
	v_and_b32_e32 v93, 3, v91
	v_or_b32_e32 v89, v89, v91
	v_or3_b32 v90, v92, v90, v93
	v_cmp_ne_u32_e64 s16, 0, v89
	v_cndmask_b32_e64 v89, 0, v90, s16
.LBB2_653:                              ;   in Loop: Header=BB2_354 Depth=4
	s_or_b32 exec_lo, exec_lo, s72
.LBB2_654:                              ;   in Loop: Header=BB2_354 Depth=4
	s_or_b32 exec_lo, exec_lo, s63
	v_cmp_gt_i16_sdwa s17, v15, v100 src0_sel:BYTE_3 src1_sel:DWORD
	s_mov_b32 s16, 0
	s_and_saveexec_b32 s63, s17
	s_xor_b32 s17, exec_lo, s63
	s_cbranch_execz .LBB2_732
; %bb.655:                              ;   in Loop: Header=BB2_354 Depth=4
	v_cmp_eq_u16_sdwa s72, v15, v101 src0_sel:BYTE_3 src1_sel:DWORD
	s_mov_b32 s16, -1
	s_and_saveexec_b32 s63, s72
; %bb.656:                              ;   in Loop: Header=BB2_354 Depth=4
	s_xor_b32 s16, exec_lo, -1
; %bb.657:                              ;   in Loop: Header=BB2_354 Depth=4
	s_or_b32 exec_lo, exec_lo, s63
	s_and_b32 s16, s16, exec_lo
	s_or_saveexec_b32 s17, s17
	v_mov_b32_e32 v90, 0x7f800001
	s_xor_b32 exec_lo, exec_lo, s17
	s_cbranch_execnz .LBB2_733
.LBB2_658:                              ;   in Loop: Header=BB2_354 Depth=4
	s_or_b32 exec_lo, exec_lo, s17
	s_and_saveexec_b32 s17, s16
	s_cbranch_execz .LBB2_660
.LBB2_659:                              ;   in Loop: Header=BB2_354 Depth=4
	v_bfe_u32 v90, v15, 24, 2
	v_bfe_u32 v93, v15, 26, 5
	v_ffbh_u32_e32 v91, v90
	v_cmp_eq_u32_e64 s16, 0, v93
	v_min_u32_e32 v91, 32, v91
	v_subrev_nc_u32_e32 v92, 29, v91
	v_sub_nc_u32_e32 v91, 30, v91
	v_lshlrev_b32_sdwa v92, v92, v15 dst_sel:DWORD dst_unused:UNUSED_PAD src0_sel:DWORD src1_sel:BYTE_3
	v_cndmask_b32_e64 v91, v93, v91, s16
	v_and_b32_e32 v15, 0x80000000, v15
	v_and_b32_e32 v92, 3, v92
	v_lshl_add_u32 v91, v91, 23, 0x37800000
	v_cndmask_b32_e64 v90, v90, v92, s16
	v_lshlrev_b32_e32 v90, 21, v90
	v_or3_b32 v90, v15, v91, v90
.LBB2_660:                              ;   in Loop: Header=BB2_354 Depth=4
	s_or_b32 exec_lo, exec_lo, s17
	v_cmp_gt_i16_sdwa s17, v11, v100 src0_sel:BYTE_3 src1_sel:DWORD
	s_mov_b32 s16, 0
	s_and_saveexec_b32 s63, s17
	s_xor_b32 s17, exec_lo, s63
	s_cbranch_execz .LBB2_734
; %bb.661:                              ;   in Loop: Header=BB2_354 Depth=4
	v_cmp_eq_u16_sdwa s72, v11, v101 src0_sel:BYTE_3 src1_sel:DWORD
	s_mov_b32 s16, -1
	s_and_saveexec_b32 s63, s72
; %bb.662:                              ;   in Loop: Header=BB2_354 Depth=4
	s_xor_b32 s16, exec_lo, -1
; %bb.663:                              ;   in Loop: Header=BB2_354 Depth=4
	s_or_b32 exec_lo, exec_lo, s63
	s_and_b32 s16, s16, exec_lo
	s_or_saveexec_b32 s17, s17
	v_mov_b32_e32 v15, 0x7f800001
	s_xor_b32 exec_lo, exec_lo, s17
	s_cbranch_execnz .LBB2_735
.LBB2_664:                              ;   in Loop: Header=BB2_354 Depth=4
	s_or_b32 exec_lo, exec_lo, s17
	s_and_saveexec_b32 s17, s16
	s_cbranch_execz .LBB2_666
.LBB2_665:                              ;   in Loop: Header=BB2_354 Depth=4
	v_and_b32_sdwa v15, v11, v113 dst_sel:DWORD dst_unused:UNUSED_PAD src0_sel:BYTE_3 src1_sel:DWORD
	v_bfe_u32 v93, v11, 26, 5
	v_ffbh_u32_e32 v91, v15
	v_cmp_eq_u32_e64 s16, 0, v93
	v_min_u32_e32 v91, 32, v91
	v_subrev_nc_u32_e32 v92, 29, v91
	v_sub_nc_u32_e32 v91, 30, v91
	v_lshlrev_b32_sdwa v92, v92, v11 dst_sel:DWORD dst_unused:UNUSED_PAD src0_sel:DWORD src1_sel:BYTE_3
	v_cndmask_b32_e64 v91, v93, v91, s16
	v_and_b32_e32 v11, 0x80000000, v11
	v_and_b32_e32 v92, 3, v92
	v_lshl_add_u32 v91, v91, 23, 0x37800000
	v_cndmask_b32_e64 v15, v15, v92, s16
	v_lshlrev_b32_e32 v15, 21, v15
	v_or3_b32 v15, v11, v91, v15
.LBB2_666:                              ;   in Loop: Header=BB2_354 Depth=4
	s_or_b32 exec_lo, exec_lo, s17
	v_mul_f32_e32 v11, v90, v15
	v_and_b32_e32 v15, 0x7f800000, v11
	v_cmp_ne_u32_e64 s16, 0x7f800000, v15
	v_mov_b32_e32 v15, 0x8000
	s_and_saveexec_b32 s63, s16
	s_cbranch_execz .LBB2_353
; %bb.667:                              ;   in Loop: Header=BB2_354 Depth=4
	v_mov_b32_e32 v15, 0
	s_mov_b32 s72, exec_lo
	v_cmpx_ne_u32_e32 0, v11
	s_cbranch_execz .LBB2_352
; %bb.668:                              ;   in Loop: Header=BB2_354 Depth=4
	v_bfe_u32 v15, v11, 23, 8
	v_and_b32_e32 v90, 0x7fffff, v11
	v_sub_nc_u32_e32 v91, 0x70, v15
	v_cmp_gt_u32_e64 s16, 0x71, v15
	v_or_b32_e32 v92, 0x800000, v90
	v_cndmask_b32_e64 v91, 0, v91, s16
	v_cmp_eq_u32_e64 s16, 0, v15
	v_add_nc_u32_e32 v15, 0xffffff91, v15
	v_cndmask_b32_e64 v91, v91, 0x6f, s16
	v_cndmask_b32_e64 v90, v92, v90, s16
	;; [unrolled: 1-line block ×3, first 2 shown]
	v_lshl_add_u32 v92, 0x200000, v91, -1
	v_lshrrev_b32_e32 v93, v91, v90
	v_lshlrev_b32_e64 v95, v91, 0x100000
	v_add_nc_u32_e32 v91, v91, v15
	v_and_b32_e32 v90, v92, v90
	v_bfe_u32 v94, v93, 21, 1
	v_cmp_eq_u32_e64 s17, v90, v95
	v_add_nc_u32_e32 v92, -1, v94
	v_cndmask_b32_e64 v90, 0, v92, s17
	v_lshrrev_b32_e32 v92, 23, v93
	s_mov_b32 s17, exec_lo
	v_add_nc_u32_e32 v90, v90, v93
	v_xor_b32_e32 v92, 1, v92
	v_and_b32_e32 v15, 0x1fffff, v90
	v_add_nc_u32_e32 v90, v15, v93
                                        ; implicit-def: $vgpr15
	v_cmpx_ne_u32_e64 v91, v92
	s_xor_b32 s17, exec_lo, s17
; %bb.669:                              ;   in Loop: Header=BB2_354 Depth=4
	v_cmp_lt_u32_e64 s16, 0xffffff, v90
	v_sub_nc_u32_e32 v15, v91, v92
	v_cndmask_b32_e64 v91, 0, 1, s16
	v_add_co_ci_u32_e64 v15, null, 0, v15, s16
	v_lshrrev_b32_e32 v90, v91, v90
; %bb.670:                              ;   in Loop: Header=BB2_354 Depth=4
	s_andn2_saveexec_b32 s16, s17
	s_cbranch_execz .LBB2_351
; %bb.671:                              ;   in Loop: Header=BB2_354 Depth=4
	v_bfe_u32 v15, v90, 23, 1
	s_branch .LBB2_351
.LBB2_672:                              ;   in Loop: Header=BB2_354 Depth=4
	s_or_saveexec_b32 s17, s17
	v_mov_b32_e32 v73, 0x7f800001
	s_xor_b32 exec_lo, exec_lo, s17
	s_cbranch_execz .LBB2_358
.LBB2_673:                              ;   in Loop: Header=BB2_354 Depth=4
	v_cmp_ne_u16_sdwa s63, v12, v2 src0_sel:BYTE_0 src1_sel:DWORD
	v_mov_b32_e32 v73, 0
	s_andn2_b32 s16, s16, exec_lo
	s_and_b32 s63, s63, exec_lo
	s_or_b32 s16, s16, s63
	s_or_b32 exec_lo, exec_lo, s17
	s_and_saveexec_b32 s17, s16
	s_cbranch_execnz .LBB2_359
	s_branch .LBB2_360
.LBB2_674:                              ;   in Loop: Header=BB2_354 Depth=4
	s_or_saveexec_b32 s17, s17
	v_mov_b32_e32 v74, 0x7f800001
	s_xor_b32 exec_lo, exec_lo, s17
	s_cbranch_execz .LBB2_364
.LBB2_675:                              ;   in Loop: Header=BB2_354 Depth=4
	v_cmp_ne_u16_sdwa s63, v8, v2 src0_sel:BYTE_0 src1_sel:DWORD
	v_mov_b32_e32 v74, 0
	s_andn2_b32 s16, s16, exec_lo
	s_and_b32 s63, s63, exec_lo
	s_or_b32 s16, s16, s63
	s_or_b32 exec_lo, exec_lo, s17
	s_and_saveexec_b32 s17, s16
	s_cbranch_execnz .LBB2_365
	s_branch .LBB2_366
.LBB2_676:                              ;   in Loop: Header=BB2_354 Depth=4
	s_or_saveexec_b32 s17, s17
	v_mov_b32_e32 v74, 0x7f800001
	s_xor_b32 exec_lo, exec_lo, s17
	s_cbranch_execz .LBB2_378
.LBB2_677:                              ;   in Loop: Header=BB2_354 Depth=4
	v_cmp_ne_u16_sdwa s63, v12, v2 src0_sel:BYTE_1 src1_sel:DWORD
	v_mov_b32_e32 v74, 0
	s_andn2_b32 s16, s16, exec_lo
	s_and_b32 s63, s63, exec_lo
	s_or_b32 s16, s16, s63
	s_or_b32 exec_lo, exec_lo, s17
	s_and_saveexec_b32 s17, s16
	s_cbranch_execnz .LBB2_379
	s_branch .LBB2_380
.LBB2_678:                              ;   in Loop: Header=BB2_354 Depth=4
	s_or_saveexec_b32 s17, s17
	v_mov_b32_e32 v75, 0x7f800001
	s_xor_b32 exec_lo, exec_lo, s17
	s_cbranch_execz .LBB2_384
.LBB2_679:                              ;   in Loop: Header=BB2_354 Depth=4
	v_cmp_ne_u16_sdwa s63, v8, v2 src0_sel:BYTE_1 src1_sel:DWORD
	v_mov_b32_e32 v75, 0
	s_andn2_b32 s16, s16, exec_lo
	s_and_b32 s63, s63, exec_lo
	s_or_b32 s16, s16, s63
	s_or_b32 exec_lo, exec_lo, s17
	s_and_saveexec_b32 s17, s16
	s_cbranch_execnz .LBB2_385
	s_branch .LBB2_386
.LBB2_680:                              ;   in Loop: Header=BB2_354 Depth=4
	s_or_saveexec_b32 s63, s63
	v_mov_b32_e32 v75, 0x7f800001
	s_xor_b32 exec_lo, exec_lo, s63
	s_cbranch_execz .LBB2_398
.LBB2_681:                              ;   in Loop: Header=BB2_354 Depth=4
	v_cmp_ne_u16_e64 s16, 0, v76
	v_mov_b32_e32 v75, 0
	s_andn2_b32 s17, s17, exec_lo
	s_and_b32 s16, s16, exec_lo
	s_or_b32 s17, s17, s16
	s_or_b32 exec_lo, exec_lo, s63
	s_and_saveexec_b32 s63, s17
	s_cbranch_execnz .LBB2_399
	s_branch .LBB2_400
.LBB2_682:                              ;   in Loop: Header=BB2_354 Depth=4
	s_or_saveexec_b32 s63, s63
	v_mov_b32_e32 v76, 0x7f800001
	s_xor_b32 exec_lo, exec_lo, s63
	s_cbranch_execz .LBB2_404
.LBB2_683:                              ;   in Loop: Header=BB2_354 Depth=4
	v_cmp_ne_u16_e64 s16, 0, v77
	v_mov_b32_e32 v76, 0
	s_andn2_b32 s17, s17, exec_lo
	s_and_b32 s16, s16, exec_lo
	s_or_b32 s17, s17, s16
	s_or_b32 exec_lo, exec_lo, s63
	s_and_saveexec_b32 s63, s17
	s_cbranch_execnz .LBB2_405
	s_branch .LBB2_406
.LBB2_684:                              ;   in Loop: Header=BB2_354 Depth=4
	s_or_saveexec_b32 s17, s17
	v_mov_b32_e32 v76, 0x7f800001
	s_xor_b32 exec_lo, exec_lo, s17
	s_cbranch_execz .LBB2_418
.LBB2_685:                              ;   in Loop: Header=BB2_354 Depth=4
	v_cmp_ne_u16_sdwa s63, v12, v2 src0_sel:BYTE_3 src1_sel:DWORD
	v_mov_b32_e32 v76, 0
	s_andn2_b32 s16, s16, exec_lo
	s_and_b32 s63, s63, exec_lo
	s_or_b32 s16, s16, s63
	s_or_b32 exec_lo, exec_lo, s17
	s_and_saveexec_b32 s17, s16
	s_cbranch_execnz .LBB2_419
	s_branch .LBB2_420
.LBB2_686:                              ;   in Loop: Header=BB2_354 Depth=4
	s_or_saveexec_b32 s17, s17
	v_mov_b32_e32 v12, 0x7f800001
	s_xor_b32 exec_lo, exec_lo, s17
	s_cbranch_execz .LBB2_424
.LBB2_687:                              ;   in Loop: Header=BB2_354 Depth=4
	v_cmp_ne_u16_sdwa s63, v8, v2 src0_sel:BYTE_3 src1_sel:DWORD
	v_mov_b32_e32 v12, 0
	s_andn2_b32 s16, s16, exec_lo
	s_and_b32 s63, s63, exec_lo
	s_or_b32 s16, s16, s63
	s_or_b32 exec_lo, exec_lo, s17
	s_and_saveexec_b32 s17, s16
	s_cbranch_execnz .LBB2_425
	s_branch .LBB2_426
.LBB2_688:                              ;   in Loop: Header=BB2_354 Depth=4
	s_or_saveexec_b32 s17, s17
	v_mov_b32_e32 v12, 0x7f800001
	s_xor_b32 exec_lo, exec_lo, s17
	s_cbranch_execz .LBB2_438
.LBB2_689:                              ;   in Loop: Header=BB2_354 Depth=4
	v_cmp_ne_u16_sdwa s63, v13, v2 src0_sel:BYTE_0 src1_sel:DWORD
	v_mov_b32_e32 v12, 0
	s_andn2_b32 s16, s16, exec_lo
	s_and_b32 s63, s63, exec_lo
	s_or_b32 s16, s16, s63
	s_or_b32 exec_lo, exec_lo, s17
	s_and_saveexec_b32 s17, s16
	s_cbranch_execnz .LBB2_439
	s_branch .LBB2_440
.LBB2_690:                              ;   in Loop: Header=BB2_354 Depth=4
	s_or_saveexec_b32 s17, s17
	v_mov_b32_e32 v76, 0x7f800001
	s_xor_b32 exec_lo, exec_lo, s17
	s_cbranch_execz .LBB2_444
.LBB2_691:                              ;   in Loop: Header=BB2_354 Depth=4
	v_cmp_ne_u16_sdwa s63, v9, v2 src0_sel:BYTE_0 src1_sel:DWORD
	v_mov_b32_e32 v76, 0
	s_andn2_b32 s16, s16, exec_lo
	s_and_b32 s63, s63, exec_lo
	s_or_b32 s16, s16, s63
	s_or_b32 exec_lo, exec_lo, s17
	s_and_saveexec_b32 s17, s16
	s_cbranch_execnz .LBB2_445
	s_branch .LBB2_446
.LBB2_692:                              ;   in Loop: Header=BB2_354 Depth=4
	s_or_saveexec_b32 s17, s17
	v_mov_b32_e32 v76, 0x7f800001
	s_xor_b32 exec_lo, exec_lo, s17
	s_cbranch_execz .LBB2_458
.LBB2_693:                              ;   in Loop: Header=BB2_354 Depth=4
	v_cmp_ne_u16_sdwa s63, v13, v2 src0_sel:BYTE_1 src1_sel:DWORD
	v_mov_b32_e32 v76, 0
	s_andn2_b32 s16, s16, exec_lo
	s_and_b32 s63, s63, exec_lo
	s_or_b32 s16, s16, s63
	s_or_b32 exec_lo, exec_lo, s17
	s_and_saveexec_b32 s17, s16
	s_cbranch_execnz .LBB2_459
	s_branch .LBB2_460
.LBB2_694:                              ;   in Loop: Header=BB2_354 Depth=4
	s_or_saveexec_b32 s17, s17
	v_mov_b32_e32 v77, 0x7f800001
	s_xor_b32 exec_lo, exec_lo, s17
	s_cbranch_execz .LBB2_464
.LBB2_695:                              ;   in Loop: Header=BB2_354 Depth=4
	v_cmp_ne_u16_sdwa s63, v9, v2 src0_sel:BYTE_1 src1_sel:DWORD
	v_mov_b32_e32 v77, 0
	s_andn2_b32 s16, s16, exec_lo
	s_and_b32 s63, s63, exec_lo
	s_or_b32 s16, s16, s63
	s_or_b32 exec_lo, exec_lo, s17
	s_and_saveexec_b32 s17, s16
	s_cbranch_execnz .LBB2_465
	s_branch .LBB2_466
.LBB2_696:                              ;   in Loop: Header=BB2_354 Depth=4
	s_or_saveexec_b32 s63, s63
	v_mov_b32_e32 v77, 0x7f800001
	s_xor_b32 exec_lo, exec_lo, s63
	s_cbranch_execz .LBB2_478
.LBB2_697:                              ;   in Loop: Header=BB2_354 Depth=4
	v_cmp_ne_u16_e64 s16, 0, v78
	v_mov_b32_e32 v77, 0
	s_andn2_b32 s17, s17, exec_lo
	s_and_b32 s16, s16, exec_lo
	s_or_b32 s17, s17, s16
	s_or_b32 exec_lo, exec_lo, s63
	s_and_saveexec_b32 s63, s17
	s_cbranch_execnz .LBB2_479
	s_branch .LBB2_480
.LBB2_698:                              ;   in Loop: Header=BB2_354 Depth=4
	s_or_saveexec_b32 s63, s63
	v_mov_b32_e32 v78, 0x7f800001
	s_xor_b32 exec_lo, exec_lo, s63
	s_cbranch_execz .LBB2_484
.LBB2_699:                              ;   in Loop: Header=BB2_354 Depth=4
	v_cmp_ne_u16_e64 s16, 0, v79
	v_mov_b32_e32 v78, 0
	s_andn2_b32 s17, s17, exec_lo
	s_and_b32 s16, s16, exec_lo
	s_or_b32 s17, s17, s16
	s_or_b32 exec_lo, exec_lo, s63
	s_and_saveexec_b32 s63, s17
	s_cbranch_execnz .LBB2_485
	s_branch .LBB2_486
.LBB2_700:                              ;   in Loop: Header=BB2_354 Depth=4
	s_or_saveexec_b32 s17, s17
	v_mov_b32_e32 v78, 0x7f800001
	s_xor_b32 exec_lo, exec_lo, s17
	s_cbranch_execz .LBB2_498
.LBB2_701:                              ;   in Loop: Header=BB2_354 Depth=4
	v_cmp_ne_u16_sdwa s63, v13, v2 src0_sel:BYTE_3 src1_sel:DWORD
	v_mov_b32_e32 v78, 0
	s_andn2_b32 s16, s16, exec_lo
	s_and_b32 s63, s63, exec_lo
	s_or_b32 s16, s16, s63
	s_or_b32 exec_lo, exec_lo, s17
	s_and_saveexec_b32 s17, s16
	s_cbranch_execnz .LBB2_499
	s_branch .LBB2_500
.LBB2_702:                              ;   in Loop: Header=BB2_354 Depth=4
	s_or_saveexec_b32 s17, s17
	v_mov_b32_e32 v13, 0x7f800001
	s_xor_b32 exec_lo, exec_lo, s17
	s_cbranch_execz .LBB2_504
.LBB2_703:                              ;   in Loop: Header=BB2_354 Depth=4
	v_cmp_ne_u16_sdwa s63, v9, v2 src0_sel:BYTE_3 src1_sel:DWORD
	v_mov_b32_e32 v13, 0
	s_andn2_b32 s16, s16, exec_lo
	s_and_b32 s63, s63, exec_lo
	s_or_b32 s16, s16, s63
	s_or_b32 exec_lo, exec_lo, s17
	s_and_saveexec_b32 s17, s16
	s_cbranch_execnz .LBB2_505
	s_branch .LBB2_506
.LBB2_704:                              ;   in Loop: Header=BB2_354 Depth=4
	s_or_saveexec_b32 s17, s17
	v_mov_b32_e32 v13, 0x7f800001
	s_xor_b32 exec_lo, exec_lo, s17
	s_cbranch_execz .LBB2_518
.LBB2_705:                              ;   in Loop: Header=BB2_354 Depth=4
	v_cmp_ne_u16_sdwa s63, v14, v2 src0_sel:BYTE_0 src1_sel:DWORD
	v_mov_b32_e32 v13, 0
	s_andn2_b32 s16, s16, exec_lo
	s_and_b32 s63, s63, exec_lo
	s_or_b32 s16, s16, s63
	s_or_b32 exec_lo, exec_lo, s17
	s_and_saveexec_b32 s17, s16
	s_cbranch_execnz .LBB2_519
	s_branch .LBB2_520
.LBB2_706:                              ;   in Loop: Header=BB2_354 Depth=4
	s_or_saveexec_b32 s17, s17
	v_mov_b32_e32 v78, 0x7f800001
	s_xor_b32 exec_lo, exec_lo, s17
	s_cbranch_execz .LBB2_524
.LBB2_707:                              ;   in Loop: Header=BB2_354 Depth=4
	v_cmp_ne_u16_sdwa s63, v10, v2 src0_sel:BYTE_0 src1_sel:DWORD
	v_mov_b32_e32 v78, 0
	s_andn2_b32 s16, s16, exec_lo
	s_and_b32 s63, s63, exec_lo
	s_or_b32 s16, s16, s63
	s_or_b32 exec_lo, exec_lo, s17
	s_and_saveexec_b32 s17, s16
	s_cbranch_execnz .LBB2_525
	s_branch .LBB2_526
.LBB2_708:                              ;   in Loop: Header=BB2_354 Depth=4
	s_or_saveexec_b32 s17, s17
	v_mov_b32_e32 v78, 0x7f800001
	s_xor_b32 exec_lo, exec_lo, s17
	s_cbranch_execz .LBB2_538
.LBB2_709:                              ;   in Loop: Header=BB2_354 Depth=4
	v_cmp_ne_u16_sdwa s63, v14, v2 src0_sel:BYTE_1 src1_sel:DWORD
	v_mov_b32_e32 v78, 0
	s_andn2_b32 s16, s16, exec_lo
	s_and_b32 s63, s63, exec_lo
	s_or_b32 s16, s16, s63
	s_or_b32 exec_lo, exec_lo, s17
	s_and_saveexec_b32 s17, s16
	s_cbranch_execnz .LBB2_539
	s_branch .LBB2_540
.LBB2_710:                              ;   in Loop: Header=BB2_354 Depth=4
	s_or_saveexec_b32 s17, s17
	v_mov_b32_e32 v79, 0x7f800001
	s_xor_b32 exec_lo, exec_lo, s17
	s_cbranch_execz .LBB2_544
.LBB2_711:                              ;   in Loop: Header=BB2_354 Depth=4
	v_cmp_ne_u16_sdwa s63, v10, v2 src0_sel:BYTE_1 src1_sel:DWORD
	v_mov_b32_e32 v79, 0
	s_andn2_b32 s16, s16, exec_lo
	s_and_b32 s63, s63, exec_lo
	s_or_b32 s16, s16, s63
	s_or_b32 exec_lo, exec_lo, s17
	s_and_saveexec_b32 s17, s16
	s_cbranch_execnz .LBB2_545
	s_branch .LBB2_546
.LBB2_712:                              ;   in Loop: Header=BB2_354 Depth=4
	s_or_saveexec_b32 s63, s63
	v_mov_b32_e32 v79, 0x7f800001
	s_xor_b32 exec_lo, exec_lo, s63
	s_cbranch_execz .LBB2_558
.LBB2_713:                              ;   in Loop: Header=BB2_354 Depth=4
	v_cmp_ne_u16_e64 s16, 0, v88
	v_mov_b32_e32 v79, 0
	s_andn2_b32 s17, s17, exec_lo
	s_and_b32 s16, s16, exec_lo
	s_or_b32 s17, s17, s16
	s_or_b32 exec_lo, exec_lo, s63
	s_and_saveexec_b32 s63, s17
	s_cbranch_execnz .LBB2_559
	s_branch .LBB2_560
.LBB2_714:                              ;   in Loop: Header=BB2_354 Depth=4
	s_or_saveexec_b32 s63, s63
	v_mov_b32_e32 v88, 0x7f800001
	s_xor_b32 exec_lo, exec_lo, s63
	s_cbranch_execz .LBB2_564
.LBB2_715:                              ;   in Loop: Header=BB2_354 Depth=4
	v_cmp_ne_u16_e64 s16, 0, v89
	v_mov_b32_e32 v88, 0
	s_andn2_b32 s17, s17, exec_lo
	s_and_b32 s16, s16, exec_lo
	s_or_b32 s17, s17, s16
	s_or_b32 exec_lo, exec_lo, s63
	s_and_saveexec_b32 s63, s17
	s_cbranch_execnz .LBB2_565
	s_branch .LBB2_566
.LBB2_716:                              ;   in Loop: Header=BB2_354 Depth=4
	s_or_saveexec_b32 s17, s17
	v_mov_b32_e32 v88, 0x7f800001
	s_xor_b32 exec_lo, exec_lo, s17
	s_cbranch_execz .LBB2_578
.LBB2_717:                              ;   in Loop: Header=BB2_354 Depth=4
	v_cmp_ne_u16_sdwa s63, v14, v2 src0_sel:BYTE_3 src1_sel:DWORD
	v_mov_b32_e32 v88, 0
	s_andn2_b32 s16, s16, exec_lo
	s_and_b32 s63, s63, exec_lo
	s_or_b32 s16, s16, s63
	s_or_b32 exec_lo, exec_lo, s17
	s_and_saveexec_b32 s17, s16
	s_cbranch_execnz .LBB2_579
	s_branch .LBB2_580
.LBB2_718:                              ;   in Loop: Header=BB2_354 Depth=4
	s_or_saveexec_b32 s17, s17
	v_mov_b32_e32 v14, 0x7f800001
	s_xor_b32 exec_lo, exec_lo, s17
	s_cbranch_execz .LBB2_584
.LBB2_719:                              ;   in Loop: Header=BB2_354 Depth=4
	v_cmp_ne_u16_sdwa s63, v10, v2 src0_sel:BYTE_3 src1_sel:DWORD
	v_mov_b32_e32 v14, 0
	s_andn2_b32 s16, s16, exec_lo
	s_and_b32 s63, s63, exec_lo
	s_or_b32 s16, s16, s63
	s_or_b32 exec_lo, exec_lo, s17
	s_and_saveexec_b32 s17, s16
	s_cbranch_execnz .LBB2_585
	s_branch .LBB2_586
.LBB2_720:                              ;   in Loop: Header=BB2_354 Depth=4
	s_or_saveexec_b32 s17, s17
	v_mov_b32_e32 v14, 0x7f800001
	s_xor_b32 exec_lo, exec_lo, s17
	s_cbranch_execz .LBB2_598
.LBB2_721:                              ;   in Loop: Header=BB2_354 Depth=4
	v_cmp_ne_u16_sdwa s63, v15, v2 src0_sel:BYTE_0 src1_sel:DWORD
	v_mov_b32_e32 v14, 0
	s_andn2_b32 s16, s16, exec_lo
	s_and_b32 s63, s63, exec_lo
	s_or_b32 s16, s16, s63
	s_or_b32 exec_lo, exec_lo, s17
	s_and_saveexec_b32 s17, s16
	s_cbranch_execnz .LBB2_599
	s_branch .LBB2_600
.LBB2_722:                              ;   in Loop: Header=BB2_354 Depth=4
	s_or_saveexec_b32 s17, s17
	v_mov_b32_e32 v88, 0x7f800001
	s_xor_b32 exec_lo, exec_lo, s17
	s_cbranch_execz .LBB2_604
.LBB2_723:                              ;   in Loop: Header=BB2_354 Depth=4
	v_cmp_ne_u16_sdwa s63, v11, v2 src0_sel:BYTE_0 src1_sel:DWORD
	v_mov_b32_e32 v88, 0
	s_andn2_b32 s16, s16, exec_lo
	s_and_b32 s63, s63, exec_lo
	s_or_b32 s16, s16, s63
	s_or_b32 exec_lo, exec_lo, s17
	s_and_saveexec_b32 s17, s16
	s_cbranch_execnz .LBB2_605
	s_branch .LBB2_606
.LBB2_724:                              ;   in Loop: Header=BB2_354 Depth=4
	s_or_saveexec_b32 s17, s17
	v_mov_b32_e32 v88, 0x7f800001
	s_xor_b32 exec_lo, exec_lo, s17
	s_cbranch_execz .LBB2_618
.LBB2_725:                              ;   in Loop: Header=BB2_354 Depth=4
	v_cmp_ne_u16_sdwa s63, v15, v2 src0_sel:BYTE_1 src1_sel:DWORD
	v_mov_b32_e32 v88, 0
	s_andn2_b32 s16, s16, exec_lo
	s_and_b32 s63, s63, exec_lo
	s_or_b32 s16, s16, s63
	s_or_b32 exec_lo, exec_lo, s17
	s_and_saveexec_b32 s17, s16
	s_cbranch_execnz .LBB2_619
	s_branch .LBB2_620
.LBB2_726:                              ;   in Loop: Header=BB2_354 Depth=4
	s_or_saveexec_b32 s17, s17
	v_mov_b32_e32 v89, 0x7f800001
	s_xor_b32 exec_lo, exec_lo, s17
	s_cbranch_execz .LBB2_624
.LBB2_727:                              ;   in Loop: Header=BB2_354 Depth=4
	v_cmp_ne_u16_sdwa s63, v11, v2 src0_sel:BYTE_1 src1_sel:DWORD
	v_mov_b32_e32 v89, 0
	s_andn2_b32 s16, s16, exec_lo
	s_and_b32 s63, s63, exec_lo
	s_or_b32 s16, s16, s63
	s_or_b32 exec_lo, exec_lo, s17
	s_and_saveexec_b32 s17, s16
	s_cbranch_execnz .LBB2_625
	s_branch .LBB2_626
.LBB2_728:                              ;   in Loop: Header=BB2_354 Depth=4
	s_or_saveexec_b32 s63, s63
	v_mov_b32_e32 v89, 0x7f800001
	s_xor_b32 exec_lo, exec_lo, s63
	s_cbranch_execz .LBB2_638
.LBB2_729:                              ;   in Loop: Header=BB2_354 Depth=4
	v_cmp_ne_u16_e64 s16, 0, v90
	v_mov_b32_e32 v89, 0
	s_andn2_b32 s17, s17, exec_lo
	s_and_b32 s16, s16, exec_lo
	s_or_b32 s17, s17, s16
	s_or_b32 exec_lo, exec_lo, s63
	s_and_saveexec_b32 s63, s17
	s_cbranch_execnz .LBB2_639
	s_branch .LBB2_640
.LBB2_730:                              ;   in Loop: Header=BB2_354 Depth=4
	s_or_saveexec_b32 s63, s63
	v_mov_b32_e32 v90, 0x7f800001
	s_xor_b32 exec_lo, exec_lo, s63
	s_cbranch_execz .LBB2_644
.LBB2_731:                              ;   in Loop: Header=BB2_354 Depth=4
	v_cmp_ne_u16_e64 s16, 0, v91
	v_mov_b32_e32 v90, 0
	s_andn2_b32 s17, s17, exec_lo
	s_and_b32 s16, s16, exec_lo
	s_or_b32 s17, s17, s16
	s_or_b32 exec_lo, exec_lo, s63
	s_and_saveexec_b32 s63, s17
	s_cbranch_execnz .LBB2_645
	s_branch .LBB2_646
.LBB2_732:                              ;   in Loop: Header=BB2_354 Depth=4
	s_or_saveexec_b32 s17, s17
	v_mov_b32_e32 v90, 0x7f800001
	s_xor_b32 exec_lo, exec_lo, s17
	s_cbranch_execz .LBB2_658
.LBB2_733:                              ;   in Loop: Header=BB2_354 Depth=4
	v_cmp_ne_u16_sdwa s63, v15, v2 src0_sel:BYTE_3 src1_sel:DWORD
	v_mov_b32_e32 v90, 0
	s_andn2_b32 s16, s16, exec_lo
	s_and_b32 s63, s63, exec_lo
	s_or_b32 s16, s16, s63
	s_or_b32 exec_lo, exec_lo, s17
	s_and_saveexec_b32 s17, s16
	s_cbranch_execnz .LBB2_659
	s_branch .LBB2_660
.LBB2_734:                              ;   in Loop: Header=BB2_354 Depth=4
	s_or_saveexec_b32 s17, s17
	v_mov_b32_e32 v15, 0x7f800001
	s_xor_b32 exec_lo, exec_lo, s17
	s_cbranch_execz .LBB2_664
.LBB2_735:                              ;   in Loop: Header=BB2_354 Depth=4
	v_cmp_ne_u16_sdwa s63, v11, v2 src0_sel:BYTE_3 src1_sel:DWORD
	v_mov_b32_e32 v15, 0
	s_andn2_b32 s16, s16, exec_lo
	s_and_b32 s63, s63, exec_lo
	s_or_b32 s16, s16, s63
	s_or_b32 exec_lo, exec_lo, s17
	s_and_saveexec_b32 s17, s16
	s_cbranch_execnz .LBB2_665
	s_branch .LBB2_666
.LBB2_736:                              ;   in Loop: Header=BB2_274 Depth=3
	s_or_b32 exec_lo, exec_lo, s62
.LBB2_737:                              ;   in Loop: Header=BB2_274 Depth=3
	s_or_b32 exec_lo, exec_lo, s61
	v_and_b32_e32 v9, 15, v3
	v_mov_b32_e32 v14, 0
	s_mov_b32 s62, 0
	s_mov_b32 s61, exec_lo
                                        ; implicit-def: $vgpr15
                                        ; implicit-def: $vgpr70
                                        ; implicit-def: $vgpr8
	v_cndmask_b32_e32 v62, v63, v9, vcc_lo
	v_cmpx_ne_u32_e32 0, v62
	s_cbranch_execz .LBB2_1129
; %bb.738:                              ;   in Loop: Header=BB2_274 Depth=3
	v_cmp_lt_i32_e64 s16, 0, v72
	v_ashrrev_i32_e32 v11, 31, v62
	v_sub_nc_u32_e32 v9, v63, v9
	s_mov_b32 s62, exec_lo
	v_cndmask_b32_e64 v8, 0, v87, s16
	v_lshrrev_b32_e32 v11, 23, v11
	v_cndmask_b32_e32 v9, 0, v9, vcc_lo
	v_sub_nc_u32_e32 v8, v8, v72
	v_add_nc_u32_e32 v11, v62, v11
	v_add_nc_u32_e32 v55, v9, v55
	v_lshl_add_u32 v8, v8, 5, v46
	v_and_b32_e32 v72, 0xfffffe00, v11
	v_ashrrev_i32_e32 v11, 9, v11
	v_ashrrev_i32_e32 v10, 31, v8
	v_sub_nc_u32_e32 v63, v62, v72
	v_lshrrev_b32_e32 v10, 27, v10
	v_cmp_lt_i32_e32 vcc_lo, 15, v63
	v_add_nc_u32_e32 v10, v8, v10
	v_add_co_ci_u32_e64 v11, null, 0, v11, vcc_lo
	v_and_b32_e32 v12, 0xffffffe0, v10
	v_ashrrev_i32_e32 v10, 5, v10
	v_sub_nc_u32_e32 v73, v8, v12
	v_sub_nc_u32_e32 v74, v11, v10
	v_lshlrev_b32_e32 v8, 4, v73
	v_lshl_add_u32 v8, v10, 9, v8
	v_sub_nc_u32_e32 v75, v62, v8
	v_cmpx_lt_i32_e32 15, v75
	s_cbranch_execz .LBB2_1126
; %bb.739:                              ;   in Loop: Header=BB2_274 Depth=3
	s_trap 2
	ds_read_b64 v[9:10], v0
	v_add_nc_u32_e32 v8, v8, v55
	s_mov_b32 s63, 0
	v_ashrrev_i32_e32 v11, 31, v8
	v_add_co_u32 v70, s16, v8, v66
	v_add_co_ci_u32_e64 v71, null, v11, v67, s16
	s_waitcnt lgkmcnt(0)
	v_add_co_u32 v80, s16, v9, v8
	v_add_co_ci_u32_e64 v81, null, v10, v11, s16
	v_add_co_u32 v82, s16, v8, v68
	v_add_co_ci_u32_e64 v83, null, v11, v69, s16
	s_branch .LBB2_743
.LBB2_740:                              ;   in Loop: Header=BB2_743 Depth=4
	s_or_b32 exec_lo, exec_lo, s16
	v_lshrrev_b32_e32 v93, 21, v93
	v_min_i32_e32 v94, 31, v15
	v_cmp_gt_i32_e64 s16, 32, v15
	v_and_b32_sdwa v11, v11, v101 dst_sel:DWORD dst_unused:UNUSED_PAD src0_sel:BYTE_3 src1_sel:DWORD
	v_lshlrev_b32_e32 v94, 2, v94
	v_cndmask_b32_e64 v93, 3, v93, s16
	v_and_b32_e32 v94, 0xfc, v94
	v_and_b32_e32 v95, 3, v93
	v_or_b32_e32 v15, v15, v93
	v_or3_b32 v11, v11, v94, v95
	v_cmp_ne_u32_e64 s16, 0, v15
	v_lshlrev_b32_e32 v11, 8, v11
	v_cndmask_b32_e64 v15, 0, v11, s16
.LBB2_741:                              ;   in Loop: Header=BB2_743 Depth=4
	s_or_b32 exec_lo, exec_lo, s73
.LBB2_742:                              ;   in Loop: Header=BB2_743 Depth=4
	s_or_b32 exec_lo, exec_lo, s72
	v_or_b32_sdwa v9, v9, v88 dst_sel:WORD_1 dst_unused:UNUSED_PAD src0_sel:DWORD src1_sel:DWORD
	v_or_b32_sdwa v8, v8, v78 dst_sel:WORD_1 dst_unused:UNUSED_PAD src0_sel:DWORD src1_sel:DWORD
	;; [unrolled: 1-line block ×4, first 2 shown]
	v_sub_nc_u32_e32 v75, v75, v116
	v_or3_b32 v9, v79, v12, v9
	v_or3_b32 v8, v77, v76, v8
	;; [unrolled: 1-line block ×4, first 2 shown]
	v_add_co_u32 v70, s16, v70, v116
	v_add_co_ci_u32_e64 v71, null, 0, v71, s16
	v_add_co_u32 v80, s16, v80, v116
	global_store_dwordx4 v[82:83], v[8:11], off glc slc
	v_add_co_ci_u32_e64 v81, null, 0, v81, s16
	v_cmp_gt_i32_e64 s16, 16, v75
	v_add_co_u32 v82, s17, v82, v116
	v_add_co_ci_u32_e64 v83, null, 0, v83, s17
	v_sub_nc_u32_e32 v74, v74, v87
	s_or_b32 s63, s16, s63
	s_andn2_b32 exec_lo, exec_lo, s63
	s_cbranch_execz .LBB2_1125
.LBB2_743:                              ;   Parent Loop BB2_47 Depth=1
                                        ;     Parent Loop BB2_271 Depth=2
                                        ;       Parent Loop BB2_274 Depth=3
                                        ; =>      This Inner Loop Header: Depth=4
	global_load_dwordx4 v[12:15], v[70:71], off slc
	global_load_dwordx4 v[8:11], v[80:81], off slc
	s_mov_b32 s16, 0
	s_waitcnt vmcnt(1)
	v_cmp_gt_i16_sdwa s17, v12, v100 src0_sel:BYTE_0 src1_sel:DWORD
	s_and_saveexec_b32 s72, s17
	s_xor_b32 s17, exec_lo, s72
	s_cbranch_execz .LBB2_1061
; %bb.744:                              ;   in Loop: Header=BB2_743 Depth=4
	v_cmp_eq_u16_sdwa s73, v12, v101 src0_sel:BYTE_0 src1_sel:DWORD
	s_mov_b32 s16, -1
	s_and_saveexec_b32 s72, s73
; %bb.745:                              ;   in Loop: Header=BB2_743 Depth=4
	s_xor_b32 s16, exec_lo, -1
; %bb.746:                              ;   in Loop: Header=BB2_743 Depth=4
	s_or_b32 exec_lo, exec_lo, s72
	s_and_b32 s16, s16, exec_lo
	s_or_saveexec_b32 s17, s17
	v_mov_b32_e32 v76, 0x7f800001
	s_xor_b32 exec_lo, exec_lo, s17
	s_cbranch_execnz .LBB2_1062
.LBB2_747:                              ;   in Loop: Header=BB2_743 Depth=4
	s_or_b32 exec_lo, exec_lo, s17
	s_and_saveexec_b32 s17, s16
	s_cbranch_execz .LBB2_749
.LBB2_748:                              ;   in Loop: Header=BB2_743 Depth=4
	v_and_b32_e32 v76, 3, v12
	v_bfe_u32 v79, v12, 2, 5
	v_lshlrev_b32_e32 v88, 24, v12
	v_ffbh_u32_e32 v77, v76
	v_cmp_eq_u32_e64 s16, 0, v79
	v_min_u32_e32 v77, 32, v77
	v_subrev_nc_u32_e32 v78, 29, v77
	v_sub_nc_u32_e32 v77, 30, v77
	v_lshlrev_b32_e32 v78, v78, v12
	v_cndmask_b32_e64 v77, v79, v77, s16
	v_and_b32_e32 v78, 3, v78
	v_lshl_add_u32 v77, v77, 23, 0x37800000
	v_cndmask_b32_e64 v76, v76, v78, s16
	v_and_b32_e32 v78, 0x80000000, v88
	v_lshlrev_b32_e32 v76, 21, v76
	v_or3_b32 v76, v78, v77, v76
.LBB2_749:                              ;   in Loop: Header=BB2_743 Depth=4
	s_or_b32 exec_lo, exec_lo, s17
	s_waitcnt vmcnt(0)
	v_cmp_gt_i16_sdwa s17, v8, v100 src0_sel:BYTE_0 src1_sel:DWORD
	s_mov_b32 s16, 0
	s_and_saveexec_b32 s72, s17
	s_xor_b32 s17, exec_lo, s72
	s_cbranch_execz .LBB2_1063
; %bb.750:                              ;   in Loop: Header=BB2_743 Depth=4
	v_cmp_eq_u16_sdwa s73, v8, v101 src0_sel:BYTE_0 src1_sel:DWORD
	s_mov_b32 s16, -1
	s_and_saveexec_b32 s72, s73
; %bb.751:                              ;   in Loop: Header=BB2_743 Depth=4
	s_xor_b32 s16, exec_lo, -1
; %bb.752:                              ;   in Loop: Header=BB2_743 Depth=4
	s_or_b32 exec_lo, exec_lo, s72
	s_and_b32 s16, s16, exec_lo
	s_or_saveexec_b32 s17, s17
	v_mov_b32_e32 v77, 0x7f800001
	s_xor_b32 exec_lo, exec_lo, s17
	s_cbranch_execnz .LBB2_1064
.LBB2_753:                              ;   in Loop: Header=BB2_743 Depth=4
	s_or_b32 exec_lo, exec_lo, s17
	s_and_saveexec_b32 s17, s16
	s_cbranch_execz .LBB2_755
.LBB2_754:                              ;   in Loop: Header=BB2_743 Depth=4
	v_and_b32_e32 v77, 3, v8
	v_bfe_u32 v88, v8, 2, 5
	v_lshlrev_b32_e32 v89, 24, v8
	v_ffbh_u32_e32 v78, v77
	v_cmp_eq_u32_e64 s16, 0, v88
	v_min_u32_e32 v78, 32, v78
	v_subrev_nc_u32_e32 v79, 29, v78
	v_sub_nc_u32_e32 v78, 30, v78
	v_lshlrev_b32_e32 v79, v79, v8
	v_cndmask_b32_e64 v78, v88, v78, s16
	v_and_b32_e32 v79, 3, v79
	v_lshl_add_u32 v78, v78, 23, 0x37800000
	v_cndmask_b32_e64 v77, v77, v79, s16
	v_and_b32_e32 v79, 0x80000000, v89
	v_lshlrev_b32_e32 v77, 21, v77
	v_or3_b32 v77, v79, v78, v77
.LBB2_755:                              ;   in Loop: Header=BB2_743 Depth=4
	s_or_b32 exec_lo, exec_lo, s17
	v_mul_f32_e32 v77, v76, v77
	v_and_b32_e32 v76, 0x7f800000, v77
	v_cmp_ne_u32_e64 s16, 0x7f800000, v76
	v_mov_b32_e32 v76, 0x80
	s_and_saveexec_b32 s72, s16
	s_cbranch_execz .LBB2_763
; %bb.756:                              ;   in Loop: Header=BB2_743 Depth=4
	v_mov_b32_e32 v76, 0
	s_mov_b32 s73, exec_lo
	v_cmpx_ne_u32_e32 0, v77
	s_cbranch_execz .LBB2_762
; %bb.757:                              ;   in Loop: Header=BB2_743 Depth=4
	v_bfe_u32 v76, v77, 23, 8
	v_and_b32_e32 v78, 0x7fffff, v77
	v_sub_nc_u32_e32 v79, 0x70, v76
	v_cmp_gt_u32_e64 s16, 0x71, v76
	v_or_b32_e32 v88, 0x800000, v78
	v_cndmask_b32_e64 v79, 0, v79, s16
	v_cmp_eq_u32_e64 s16, 0, v76
	v_add_nc_u32_e32 v76, 0xffffff91, v76
	v_cndmask_b32_e64 v79, v79, 0x6f, s16
	v_cndmask_b32_e64 v78, v88, v78, s16
	;; [unrolled: 1-line block ×3, first 2 shown]
	v_lshl_add_u32 v88, 0x200000, v79, -1
	v_lshrrev_b32_e32 v89, v79, v78
	v_lshlrev_b32_e64 v91, v79, 0x100000
	v_add_nc_u32_e32 v79, v79, v76
	v_and_b32_e32 v78, v88, v78
	v_bfe_u32 v90, v89, 21, 1
	v_cmp_eq_u32_e64 s17, v78, v91
	v_add_nc_u32_e32 v88, -1, v90
	v_cndmask_b32_e64 v78, 0, v88, s17
	v_lshrrev_b32_e32 v88, 23, v89
	s_mov_b32 s17, exec_lo
	v_add_nc_u32_e32 v78, v78, v89
	v_xor_b32_e32 v88, 1, v88
	v_and_b32_e32 v76, 0x1fffff, v78
	v_add_nc_u32_e32 v78, v76, v89
                                        ; implicit-def: $vgpr76
	v_cmpx_ne_u32_e64 v79, v88
	s_xor_b32 s17, exec_lo, s17
; %bb.758:                              ;   in Loop: Header=BB2_743 Depth=4
	v_cmp_lt_u32_e64 s16, 0xffffff, v78
	v_sub_nc_u32_e32 v76, v79, v88
	v_cndmask_b32_e64 v79, 0, 1, s16
	v_add_co_ci_u32_e64 v76, null, 0, v76, s16
	v_lshrrev_b32_e32 v78, v79, v78
; %bb.759:                              ;   in Loop: Header=BB2_743 Depth=4
	s_andn2_saveexec_b32 s16, s17
; %bb.760:                              ;   in Loop: Header=BB2_743 Depth=4
	v_bfe_u32 v76, v78, 23, 1
; %bb.761:                              ;   in Loop: Header=BB2_743 Depth=4
	s_or_b32 exec_lo, exec_lo, s16
	v_lshrrev_b32_e32 v78, 21, v78
	v_min_i32_e32 v79, 31, v76
	v_cmp_gt_i32_e64 s16, 32, v76
	v_and_b32_sdwa v77, v77, v101 dst_sel:DWORD dst_unused:UNUSED_PAD src0_sel:BYTE_3 src1_sel:DWORD
	v_lshlrev_b32_e32 v79, 2, v79
	v_cndmask_b32_e64 v78, 3, v78, s16
	v_and_b32_e32 v79, 0xfc, v79
	v_and_b32_e32 v88, 3, v78
	v_or_b32_e32 v76, v76, v78
	v_or3_b32 v77, v79, v77, v88
	v_cmp_ne_u32_e64 s16, 0, v76
	v_cndmask_b32_e64 v76, 0, v77, s16
.LBB2_762:                              ;   in Loop: Header=BB2_743 Depth=4
	s_or_b32 exec_lo, exec_lo, s73
.LBB2_763:                              ;   in Loop: Header=BB2_743 Depth=4
	s_or_b32 exec_lo, exec_lo, s72
	v_cmp_gt_i16_sdwa s17, v12, v100 src0_sel:BYTE_1 src1_sel:DWORD
	s_mov_b32 s16, 0
	s_and_saveexec_b32 s72, s17
	s_xor_b32 s17, exec_lo, s72
	s_cbranch_execz .LBB2_1065
; %bb.764:                              ;   in Loop: Header=BB2_743 Depth=4
	v_cmp_eq_u16_sdwa s73, v12, v101 src0_sel:BYTE_1 src1_sel:DWORD
	s_mov_b32 s16, -1
	s_and_saveexec_b32 s72, s73
; %bb.765:                              ;   in Loop: Header=BB2_743 Depth=4
	s_xor_b32 s16, exec_lo, -1
; %bb.766:                              ;   in Loop: Header=BB2_743 Depth=4
	s_or_b32 exec_lo, exec_lo, s72
	s_and_b32 s16, s16, exec_lo
	s_or_saveexec_b32 s17, s17
	v_mov_b32_e32 v77, 0x7f800001
	s_xor_b32 exec_lo, exec_lo, s17
	s_cbranch_execnz .LBB2_1066
.LBB2_767:                              ;   in Loop: Header=BB2_743 Depth=4
	s_or_b32 exec_lo, exec_lo, s17
	s_and_saveexec_b32 s17, s16
	s_cbranch_execz .LBB2_769
.LBB2_768:                              ;   in Loop: Header=BB2_743 Depth=4
	v_and_b32_sdwa v77, v102, v12 dst_sel:DWORD dst_unused:UNUSED_PAD src0_sel:DWORD src1_sel:BYTE_1
	v_and_b32_e32 v78, 3, v77
	v_bfe_u32 v89, v77, 2, 5
	v_ffbh_u32_e32 v79, v78
	v_cmp_eq_u32_e64 s16, 0, v89
	v_min_u32_e32 v79, 32, v79
	v_subrev_nc_u32_e32 v88, 29, v79
	v_sub_nc_u32_e32 v79, 30, v79
	v_lshlrev_b32_e32 v77, v88, v77
	v_lshlrev_b32_sdwa v88, v103, v12 dst_sel:DWORD dst_unused:UNUSED_PAD src0_sel:DWORD src1_sel:BYTE_1
	v_cndmask_b32_e64 v79, v89, v79, s16
	v_and_b32_e32 v77, 3, v77
	v_lshl_add_u32 v79, v79, 23, 0x37800000
	v_cndmask_b32_e64 v77, v78, v77, s16
	v_and_b32_e32 v78, 0x80000000, v88
	v_lshlrev_b32_e32 v77, 21, v77
	v_or3_b32 v77, v78, v79, v77
.LBB2_769:                              ;   in Loop: Header=BB2_743 Depth=4
	s_or_b32 exec_lo, exec_lo, s17
	v_cmp_gt_i16_sdwa s17, v8, v100 src0_sel:BYTE_1 src1_sel:DWORD
	s_mov_b32 s16, 0
	s_and_saveexec_b32 s72, s17
	s_xor_b32 s17, exec_lo, s72
	s_cbranch_execz .LBB2_1067
; %bb.770:                              ;   in Loop: Header=BB2_743 Depth=4
	v_cmp_eq_u16_sdwa s73, v8, v101 src0_sel:BYTE_1 src1_sel:DWORD
	s_mov_b32 s16, -1
	s_and_saveexec_b32 s72, s73
; %bb.771:                              ;   in Loop: Header=BB2_743 Depth=4
	s_xor_b32 s16, exec_lo, -1
; %bb.772:                              ;   in Loop: Header=BB2_743 Depth=4
	s_or_b32 exec_lo, exec_lo, s72
	s_and_b32 s16, s16, exec_lo
	s_or_saveexec_b32 s17, s17
	v_mov_b32_e32 v78, 0x7f800001
	s_xor_b32 exec_lo, exec_lo, s17
	s_cbranch_execnz .LBB2_1068
.LBB2_773:                              ;   in Loop: Header=BB2_743 Depth=4
	s_or_b32 exec_lo, exec_lo, s17
	s_and_saveexec_b32 s17, s16
	s_cbranch_execz .LBB2_775
.LBB2_774:                              ;   in Loop: Header=BB2_743 Depth=4
	v_and_b32_sdwa v78, v102, v8 dst_sel:DWORD dst_unused:UNUSED_PAD src0_sel:DWORD src1_sel:BYTE_1
	v_and_b32_e32 v79, 3, v78
	v_bfe_u32 v90, v78, 2, 5
	v_ffbh_u32_e32 v88, v79
	v_cmp_eq_u32_e64 s16, 0, v90
	v_min_u32_e32 v88, 32, v88
	v_subrev_nc_u32_e32 v89, 29, v88
	v_sub_nc_u32_e32 v88, 30, v88
	v_lshlrev_b32_e32 v78, v89, v78
	v_lshlrev_b32_sdwa v89, v103, v8 dst_sel:DWORD dst_unused:UNUSED_PAD src0_sel:DWORD src1_sel:BYTE_1
	v_cndmask_b32_e64 v88, v90, v88, s16
	v_and_b32_e32 v78, 3, v78
	v_lshl_add_u32 v88, v88, 23, 0x37800000
	v_cndmask_b32_e64 v78, v79, v78, s16
	v_and_b32_e32 v79, 0x80000000, v89
	v_lshlrev_b32_e32 v78, 21, v78
	v_or3_b32 v78, v79, v88, v78
.LBB2_775:                              ;   in Loop: Header=BB2_743 Depth=4
	s_or_b32 exec_lo, exec_lo, s17
	v_mul_f32_e32 v78, v77, v78
	v_and_b32_e32 v77, 0x7f800000, v78
	v_cmp_ne_u32_e64 s16, 0x7f800000, v77
	v_mov_b32_e32 v77, 0x8000
	s_and_saveexec_b32 s72, s16
	s_cbranch_execz .LBB2_783
; %bb.776:                              ;   in Loop: Header=BB2_743 Depth=4
	v_mov_b32_e32 v77, 0
	s_mov_b32 s73, exec_lo
	v_cmpx_ne_u32_e32 0, v78
	s_cbranch_execz .LBB2_782
; %bb.777:                              ;   in Loop: Header=BB2_743 Depth=4
	v_bfe_u32 v77, v78, 23, 8
	v_and_b32_e32 v79, 0x7fffff, v78
	v_sub_nc_u32_e32 v88, 0x70, v77
	v_cmp_gt_u32_e64 s16, 0x71, v77
	v_or_b32_e32 v89, 0x800000, v79
	v_cndmask_b32_e64 v88, 0, v88, s16
	v_cmp_eq_u32_e64 s16, 0, v77
	v_add_nc_u32_e32 v77, 0xffffff91, v77
	v_cndmask_b32_e64 v88, v88, 0x6f, s16
	v_cndmask_b32_e64 v79, v89, v79, s16
	;; [unrolled: 1-line block ×3, first 2 shown]
	v_lshl_add_u32 v89, 0x200000, v88, -1
	v_lshrrev_b32_e32 v90, v88, v79
	v_lshlrev_b32_e64 v92, v88, 0x100000
	v_add_nc_u32_e32 v88, v88, v77
	v_and_b32_e32 v79, v89, v79
	v_bfe_u32 v91, v90, 21, 1
	v_cmp_eq_u32_e64 s17, v79, v92
	v_add_nc_u32_e32 v89, -1, v91
	v_cndmask_b32_e64 v79, 0, v89, s17
	v_lshrrev_b32_e32 v89, 23, v90
	s_mov_b32 s17, exec_lo
	v_add_nc_u32_e32 v79, v79, v90
	v_xor_b32_e32 v89, 1, v89
	v_and_b32_e32 v77, 0x1fffff, v79
	v_add_nc_u32_e32 v79, v77, v90
                                        ; implicit-def: $vgpr77
	v_cmpx_ne_u32_e64 v88, v89
	s_xor_b32 s17, exec_lo, s17
; %bb.778:                              ;   in Loop: Header=BB2_743 Depth=4
	v_cmp_lt_u32_e64 s16, 0xffffff, v79
	v_sub_nc_u32_e32 v77, v88, v89
	v_cndmask_b32_e64 v88, 0, 1, s16
	v_add_co_ci_u32_e64 v77, null, 0, v77, s16
	v_lshrrev_b32_e32 v79, v88, v79
; %bb.779:                              ;   in Loop: Header=BB2_743 Depth=4
	s_andn2_saveexec_b32 s16, s17
; %bb.780:                              ;   in Loop: Header=BB2_743 Depth=4
	v_bfe_u32 v77, v79, 23, 1
; %bb.781:                              ;   in Loop: Header=BB2_743 Depth=4
	s_or_b32 exec_lo, exec_lo, s16
	v_lshrrev_b32_e32 v79, 21, v79
	v_min_i32_e32 v88, 31, v77
	v_cmp_gt_i32_e64 s16, 32, v77
	v_and_b32_sdwa v78, v78, v101 dst_sel:DWORD dst_unused:UNUSED_PAD src0_sel:BYTE_3 src1_sel:DWORD
	v_lshlrev_b32_e32 v88, 2, v88
	v_cndmask_b32_e64 v79, 3, v79, s16
	v_and_b32_e32 v88, 0xfc, v88
	v_and_b32_e32 v89, 3, v79
	v_or_b32_e32 v77, v77, v79
	v_or3_b32 v78, v78, v88, v89
	v_cmp_ne_u32_e64 s16, 0, v77
	v_lshlrev_b32_e32 v78, 8, v78
	v_cndmask_b32_e64 v77, 0, v78, s16
.LBB2_782:                              ;   in Loop: Header=BB2_743 Depth=4
	s_or_b32 exec_lo, exec_lo, s73
.LBB2_783:                              ;   in Loop: Header=BB2_743 Depth=4
	s_or_b32 exec_lo, exec_lo, s72
	v_and_b32_sdwa v79, v12, v112 dst_sel:DWORD dst_unused:UNUSED_PAD src0_sel:WORD_1 src1_sel:DWORD
	s_mov_b32 s17, 0
	s_mov_b32 s72, exec_lo
	v_cmpx_lt_i16_e32 0x7f, v79
	s_xor_b32 s72, exec_lo, s72
	s_cbranch_execz .LBB2_1069
; %bb.784:                              ;   in Loop: Header=BB2_743 Depth=4
	s_mov_b32 s17, -1
	s_mov_b32 s73, exec_lo
	v_cmpx_eq_u16_e32 0x80, v79
; %bb.785:                              ;   in Loop: Header=BB2_743 Depth=4
	s_xor_b32 s17, exec_lo, -1
; %bb.786:                              ;   in Loop: Header=BB2_743 Depth=4
	s_or_b32 exec_lo, exec_lo, s73
	s_and_b32 s17, s17, exec_lo
                                        ; implicit-def: $vgpr79
	s_or_saveexec_b32 s72, s72
	v_mov_b32_e32 v78, 0x7f800001
	s_xor_b32 exec_lo, exec_lo, s72
	s_cbranch_execnz .LBB2_1070
.LBB2_787:                              ;   in Loop: Header=BB2_743 Depth=4
	s_or_b32 exec_lo, exec_lo, s72
	s_and_saveexec_b32 s72, s17
	s_cbranch_execz .LBB2_789
.LBB2_788:                              ;   in Loop: Header=BB2_743 Depth=4
	v_bfe_u32 v78, v12, 16, 2
	v_bfe_u32 v89, v12, 18, 5
	v_lshlrev_b32_e32 v90, 8, v12
	v_ffbh_u32_e32 v79, v78
	v_cmp_eq_u32_e64 s16, 0, v89
	v_min_u32_e32 v79, 32, v79
	v_subrev_nc_u32_e32 v88, 29, v79
	v_sub_nc_u32_e32 v79, 30, v79
	v_lshlrev_b32_sdwa v88, v88, v12 dst_sel:DWORD dst_unused:UNUSED_PAD src0_sel:DWORD src1_sel:WORD_1
	v_cndmask_b32_e64 v79, v89, v79, s16
	v_and_b32_e32 v88, 3, v88
	v_lshl_add_u32 v79, v79, 23, 0x37800000
	v_cndmask_b32_e64 v78, v78, v88, s16
	v_and_b32_e32 v88, 0x80000000, v90
	v_lshlrev_b32_e32 v78, 21, v78
	v_or3_b32 v78, v88, v79, v78
.LBB2_789:                              ;   in Loop: Header=BB2_743 Depth=4
	s_or_b32 exec_lo, exec_lo, s72
	v_and_b32_sdwa v88, v8, v112 dst_sel:DWORD dst_unused:UNUSED_PAD src0_sel:WORD_1 src1_sel:DWORD
	s_mov_b32 s17, 0
	s_mov_b32 s72, exec_lo
	v_cmpx_lt_i16_e32 0x7f, v88
	s_xor_b32 s72, exec_lo, s72
	s_cbranch_execz .LBB2_1071
; %bb.790:                              ;   in Loop: Header=BB2_743 Depth=4
	s_mov_b32 s17, -1
	s_mov_b32 s73, exec_lo
	v_cmpx_eq_u16_e32 0x80, v88
; %bb.791:                              ;   in Loop: Header=BB2_743 Depth=4
	s_xor_b32 s17, exec_lo, -1
; %bb.792:                              ;   in Loop: Header=BB2_743 Depth=4
	s_or_b32 exec_lo, exec_lo, s73
	s_and_b32 s17, s17, exec_lo
                                        ; implicit-def: $vgpr88
	s_or_saveexec_b32 s72, s72
	v_mov_b32_e32 v79, 0x7f800001
	s_xor_b32 exec_lo, exec_lo, s72
	s_cbranch_execnz .LBB2_1072
.LBB2_793:                              ;   in Loop: Header=BB2_743 Depth=4
	s_or_b32 exec_lo, exec_lo, s72
	s_and_saveexec_b32 s72, s17
	s_cbranch_execz .LBB2_795
.LBB2_794:                              ;   in Loop: Header=BB2_743 Depth=4
	v_and_b32_sdwa v79, v8, v113 dst_sel:DWORD dst_unused:UNUSED_PAD src0_sel:WORD_1 src1_sel:DWORD
	v_bfe_u32 v90, v8, 18, 5
	v_lshlrev_b32_sdwa v91, v103, v8 dst_sel:DWORD dst_unused:UNUSED_PAD src0_sel:DWORD src1_sel:WORD_1
	v_ffbh_u32_e32 v88, v79
	v_cmp_eq_u32_e64 s16, 0, v90
	v_min_u32_e32 v88, 32, v88
	v_subrev_nc_u32_e32 v89, 29, v88
	v_sub_nc_u32_e32 v88, 30, v88
	v_lshlrev_b32_sdwa v89, v89, v8 dst_sel:DWORD dst_unused:UNUSED_PAD src0_sel:DWORD src1_sel:WORD_1
	v_cndmask_b32_e64 v88, v90, v88, s16
	v_and_b32_e32 v89, 3, v89
	v_lshl_add_u32 v88, v88, 23, 0x37800000
	v_cndmask_b32_e64 v79, v79, v89, s16
	v_and_b32_e32 v89, 0x80000000, v91
	v_lshlrev_b32_e32 v79, 21, v79
	v_or3_b32 v79, v89, v88, v79
.LBB2_795:                              ;   in Loop: Header=BB2_743 Depth=4
	s_or_b32 exec_lo, exec_lo, s72
	v_mul_f32_e32 v79, v78, v79
	v_and_b32_e32 v78, 0x7f800000, v79
	v_cmp_ne_u32_e64 s16, 0x7f800000, v78
	v_mov_b32_e32 v78, 0x80
	s_and_saveexec_b32 s72, s16
	s_cbranch_execz .LBB2_803
; %bb.796:                              ;   in Loop: Header=BB2_743 Depth=4
	v_mov_b32_e32 v78, 0
	s_mov_b32 s73, exec_lo
	v_cmpx_ne_u32_e32 0, v79
	s_cbranch_execz .LBB2_802
; %bb.797:                              ;   in Loop: Header=BB2_743 Depth=4
	v_bfe_u32 v78, v79, 23, 8
	v_and_b32_e32 v88, 0x7fffff, v79
	v_sub_nc_u32_e32 v89, 0x70, v78
	v_cmp_gt_u32_e64 s16, 0x71, v78
	v_or_b32_e32 v90, 0x800000, v88
	v_cndmask_b32_e64 v89, 0, v89, s16
	v_cmp_eq_u32_e64 s16, 0, v78
	v_add_nc_u32_e32 v78, 0xffffff91, v78
	v_cndmask_b32_e64 v89, v89, 0x6f, s16
	v_cndmask_b32_e64 v88, v90, v88, s16
	v_cndmask_b32_e64 v78, v78, 0xffffff92, s16
	v_lshl_add_u32 v90, 0x200000, v89, -1
	v_lshrrev_b32_e32 v91, v89, v88
	v_lshlrev_b32_e64 v93, v89, 0x100000
	v_add_nc_u32_e32 v89, v89, v78
	v_and_b32_e32 v88, v90, v88
	v_bfe_u32 v92, v91, 21, 1
	v_cmp_eq_u32_e64 s17, v88, v93
	v_add_nc_u32_e32 v90, -1, v92
	v_cndmask_b32_e64 v88, 0, v90, s17
	v_lshrrev_b32_e32 v90, 23, v91
	s_mov_b32 s17, exec_lo
	v_add_nc_u32_e32 v88, v88, v91
	v_xor_b32_e32 v90, 1, v90
	v_and_b32_e32 v78, 0x1fffff, v88
	v_add_nc_u32_e32 v88, v78, v91
                                        ; implicit-def: $vgpr78
	v_cmpx_ne_u32_e64 v89, v90
	s_xor_b32 s17, exec_lo, s17
; %bb.798:                              ;   in Loop: Header=BB2_743 Depth=4
	v_cmp_lt_u32_e64 s16, 0xffffff, v88
	v_sub_nc_u32_e32 v78, v89, v90
	v_cndmask_b32_e64 v89, 0, 1, s16
	v_add_co_ci_u32_e64 v78, null, 0, v78, s16
	v_lshrrev_b32_e32 v88, v89, v88
; %bb.799:                              ;   in Loop: Header=BB2_743 Depth=4
	s_andn2_saveexec_b32 s16, s17
; %bb.800:                              ;   in Loop: Header=BB2_743 Depth=4
	v_bfe_u32 v78, v88, 23, 1
; %bb.801:                              ;   in Loop: Header=BB2_743 Depth=4
	s_or_b32 exec_lo, exec_lo, s16
	v_lshrrev_b32_e32 v88, 21, v88
	v_min_i32_e32 v89, 31, v78
	v_cmp_gt_i32_e64 s16, 32, v78
	v_and_b32_sdwa v79, v79, v101 dst_sel:DWORD dst_unused:UNUSED_PAD src0_sel:BYTE_3 src1_sel:DWORD
	v_lshlrev_b32_e32 v89, 2, v89
	v_cndmask_b32_e64 v88, 3, v88, s16
	v_and_b32_e32 v89, 0xfc, v89
	v_and_b32_e32 v90, 3, v88
	v_or_b32_e32 v78, v78, v88
	v_or3_b32 v79, v89, v79, v90
	v_cmp_ne_u32_e64 s16, 0, v78
	v_cndmask_b32_e64 v78, 0, v79, s16
.LBB2_802:                              ;   in Loop: Header=BB2_743 Depth=4
	s_or_b32 exec_lo, exec_lo, s73
.LBB2_803:                              ;   in Loop: Header=BB2_743 Depth=4
	s_or_b32 exec_lo, exec_lo, s72
	v_cmp_gt_i16_sdwa s17, v12, v100 src0_sel:BYTE_3 src1_sel:DWORD
	s_mov_b32 s16, 0
	s_and_saveexec_b32 s72, s17
	s_xor_b32 s17, exec_lo, s72
	s_cbranch_execz .LBB2_1073
; %bb.804:                              ;   in Loop: Header=BB2_743 Depth=4
	v_cmp_eq_u16_sdwa s73, v12, v101 src0_sel:BYTE_3 src1_sel:DWORD
	s_mov_b32 s16, -1
	s_and_saveexec_b32 s72, s73
; %bb.805:                              ;   in Loop: Header=BB2_743 Depth=4
	s_xor_b32 s16, exec_lo, -1
; %bb.806:                              ;   in Loop: Header=BB2_743 Depth=4
	s_or_b32 exec_lo, exec_lo, s72
	s_and_b32 s16, s16, exec_lo
	s_or_saveexec_b32 s17, s17
	v_mov_b32_e32 v79, 0x7f800001
	s_xor_b32 exec_lo, exec_lo, s17
	s_cbranch_execnz .LBB2_1074
.LBB2_807:                              ;   in Loop: Header=BB2_743 Depth=4
	s_or_b32 exec_lo, exec_lo, s17
	s_and_saveexec_b32 s17, s16
	s_cbranch_execz .LBB2_809
.LBB2_808:                              ;   in Loop: Header=BB2_743 Depth=4
	v_bfe_u32 v79, v12, 24, 2
	v_bfe_u32 v90, v12, 26, 5
	v_ffbh_u32_e32 v88, v79
	v_cmp_eq_u32_e64 s16, 0, v90
	v_min_u32_e32 v88, 32, v88
	v_subrev_nc_u32_e32 v89, 29, v88
	v_sub_nc_u32_e32 v88, 30, v88
	v_lshlrev_b32_sdwa v89, v89, v12 dst_sel:DWORD dst_unused:UNUSED_PAD src0_sel:DWORD src1_sel:BYTE_3
	v_cndmask_b32_e64 v88, v90, v88, s16
	v_and_b32_e32 v12, 0x80000000, v12
	v_and_b32_e32 v89, 3, v89
	v_lshl_add_u32 v88, v88, 23, 0x37800000
	v_cndmask_b32_e64 v79, v79, v89, s16
	v_lshlrev_b32_e32 v79, 21, v79
	v_or3_b32 v79, v12, v88, v79
.LBB2_809:                              ;   in Loop: Header=BB2_743 Depth=4
	s_or_b32 exec_lo, exec_lo, s17
	v_cmp_gt_i16_sdwa s17, v8, v100 src0_sel:BYTE_3 src1_sel:DWORD
	s_mov_b32 s16, 0
	s_and_saveexec_b32 s72, s17
	s_xor_b32 s17, exec_lo, s72
	s_cbranch_execz .LBB2_1075
; %bb.810:                              ;   in Loop: Header=BB2_743 Depth=4
	v_cmp_eq_u16_sdwa s73, v8, v101 src0_sel:BYTE_3 src1_sel:DWORD
	s_mov_b32 s16, -1
	s_and_saveexec_b32 s72, s73
; %bb.811:                              ;   in Loop: Header=BB2_743 Depth=4
	s_xor_b32 s16, exec_lo, -1
; %bb.812:                              ;   in Loop: Header=BB2_743 Depth=4
	s_or_b32 exec_lo, exec_lo, s72
	s_and_b32 s16, s16, exec_lo
	s_or_saveexec_b32 s17, s17
	v_mov_b32_e32 v12, 0x7f800001
	s_xor_b32 exec_lo, exec_lo, s17
	s_cbranch_execnz .LBB2_1076
.LBB2_813:                              ;   in Loop: Header=BB2_743 Depth=4
	s_or_b32 exec_lo, exec_lo, s17
	s_and_saveexec_b32 s17, s16
	s_cbranch_execz .LBB2_815
.LBB2_814:                              ;   in Loop: Header=BB2_743 Depth=4
	v_and_b32_sdwa v12, v8, v113 dst_sel:DWORD dst_unused:UNUSED_PAD src0_sel:BYTE_3 src1_sel:DWORD
	v_bfe_u32 v90, v8, 26, 5
	v_ffbh_u32_e32 v88, v12
	v_cmp_eq_u32_e64 s16, 0, v90
	v_min_u32_e32 v88, 32, v88
	v_subrev_nc_u32_e32 v89, 29, v88
	v_sub_nc_u32_e32 v88, 30, v88
	v_lshlrev_b32_sdwa v89, v89, v8 dst_sel:DWORD dst_unused:UNUSED_PAD src0_sel:DWORD src1_sel:BYTE_3
	v_cndmask_b32_e64 v88, v90, v88, s16
	v_and_b32_e32 v8, 0x80000000, v8
	v_and_b32_e32 v89, 3, v89
	v_lshl_add_u32 v88, v88, 23, 0x37800000
	v_cndmask_b32_e64 v12, v12, v89, s16
	v_lshlrev_b32_e32 v12, 21, v12
	v_or3_b32 v12, v8, v88, v12
.LBB2_815:                              ;   in Loop: Header=BB2_743 Depth=4
	s_or_b32 exec_lo, exec_lo, s17
	v_mul_f32_e32 v12, v79, v12
	v_and_b32_e32 v8, 0x7f800000, v12
	v_cmp_ne_u32_e64 s16, 0x7f800000, v8
	v_mov_b32_e32 v8, 0x8000
	s_and_saveexec_b32 s72, s16
	s_cbranch_execz .LBB2_823
; %bb.816:                              ;   in Loop: Header=BB2_743 Depth=4
	v_mov_b32_e32 v8, 0
	s_mov_b32 s73, exec_lo
	v_cmpx_ne_u32_e32 0, v12
	s_cbranch_execz .LBB2_822
; %bb.817:                              ;   in Loop: Header=BB2_743 Depth=4
	v_bfe_u32 v8, v12, 23, 8
	v_and_b32_e32 v79, 0x7fffff, v12
	v_sub_nc_u32_e32 v88, 0x70, v8
	v_cmp_gt_u32_e64 s16, 0x71, v8
	v_or_b32_e32 v89, 0x800000, v79
	v_cndmask_b32_e64 v88, 0, v88, s16
	v_cmp_eq_u32_e64 s16, 0, v8
	v_add_nc_u32_e32 v8, 0xffffff91, v8
	v_cndmask_b32_e64 v88, v88, 0x6f, s16
	v_cndmask_b32_e64 v79, v89, v79, s16
	;; [unrolled: 1-line block ×3, first 2 shown]
	v_lshl_add_u32 v89, 0x200000, v88, -1
	v_lshrrev_b32_e32 v90, v88, v79
	v_lshlrev_b32_e64 v92, v88, 0x100000
	v_add_nc_u32_e32 v88, v88, v8
	v_and_b32_e32 v79, v89, v79
	v_bfe_u32 v91, v90, 21, 1
	v_cmp_eq_u32_e64 s17, v79, v92
	v_add_nc_u32_e32 v89, -1, v91
	v_cndmask_b32_e64 v79, 0, v89, s17
	v_lshrrev_b32_e32 v89, 23, v90
	s_mov_b32 s17, exec_lo
	v_add_nc_u32_e32 v79, v79, v90
	v_xor_b32_e32 v89, 1, v89
	v_and_b32_e32 v8, 0x1fffff, v79
	v_add_nc_u32_e32 v79, v8, v90
                                        ; implicit-def: $vgpr8
	v_cmpx_ne_u32_e64 v88, v89
	s_xor_b32 s17, exec_lo, s17
; %bb.818:                              ;   in Loop: Header=BB2_743 Depth=4
	v_cmp_lt_u32_e64 s16, 0xffffff, v79
	v_sub_nc_u32_e32 v8, v88, v89
	v_cndmask_b32_e64 v88, 0, 1, s16
	v_add_co_ci_u32_e64 v8, null, 0, v8, s16
	v_lshrrev_b32_e32 v79, v88, v79
; %bb.819:                              ;   in Loop: Header=BB2_743 Depth=4
	s_andn2_saveexec_b32 s16, s17
; %bb.820:                              ;   in Loop: Header=BB2_743 Depth=4
	v_bfe_u32 v8, v79, 23, 1
; %bb.821:                              ;   in Loop: Header=BB2_743 Depth=4
	s_or_b32 exec_lo, exec_lo, s16
	v_lshrrev_b32_e32 v79, 21, v79
	v_min_i32_e32 v88, 31, v8
	v_cmp_gt_i32_e64 s16, 32, v8
	v_and_b32_sdwa v12, v12, v101 dst_sel:DWORD dst_unused:UNUSED_PAD src0_sel:BYTE_3 src1_sel:DWORD
	v_lshlrev_b32_e32 v88, 2, v88
	v_cndmask_b32_e64 v79, 3, v79, s16
	v_and_b32_e32 v88, 0xfc, v88
	v_and_b32_e32 v89, 3, v79
	v_or_b32_e32 v8, v8, v79
	v_or3_b32 v12, v12, v88, v89
	v_cmp_ne_u32_e64 s16, 0, v8
	v_lshlrev_b32_e32 v12, 8, v12
	v_cndmask_b32_e64 v8, 0, v12, s16
.LBB2_822:                              ;   in Loop: Header=BB2_743 Depth=4
	s_or_b32 exec_lo, exec_lo, s73
.LBB2_823:                              ;   in Loop: Header=BB2_743 Depth=4
	s_or_b32 exec_lo, exec_lo, s72
	v_cmp_gt_i16_sdwa s17, v13, v100 src0_sel:BYTE_0 src1_sel:DWORD
	s_mov_b32 s16, 0
	s_and_saveexec_b32 s72, s17
	s_xor_b32 s17, exec_lo, s72
	s_cbranch_execz .LBB2_1077
; %bb.824:                              ;   in Loop: Header=BB2_743 Depth=4
	v_cmp_eq_u16_sdwa s73, v13, v101 src0_sel:BYTE_0 src1_sel:DWORD
	s_mov_b32 s16, -1
	s_and_saveexec_b32 s72, s73
; %bb.825:                              ;   in Loop: Header=BB2_743 Depth=4
	s_xor_b32 s16, exec_lo, -1
; %bb.826:                              ;   in Loop: Header=BB2_743 Depth=4
	s_or_b32 exec_lo, exec_lo, s72
	s_and_b32 s16, s16, exec_lo
	s_or_saveexec_b32 s17, s17
	v_mov_b32_e32 v12, 0x7f800001
	s_xor_b32 exec_lo, exec_lo, s17
	s_cbranch_execnz .LBB2_1078
.LBB2_827:                              ;   in Loop: Header=BB2_743 Depth=4
	s_or_b32 exec_lo, exec_lo, s17
	s_and_saveexec_b32 s17, s16
	s_cbranch_execz .LBB2_829
.LBB2_828:                              ;   in Loop: Header=BB2_743 Depth=4
	v_and_b32_e32 v12, 3, v13
	v_bfe_u32 v89, v13, 2, 5
	v_lshlrev_b32_e32 v90, 24, v13
	v_ffbh_u32_e32 v79, v12
	v_cmp_eq_u32_e64 s16, 0, v89
	v_min_u32_e32 v79, 32, v79
	v_subrev_nc_u32_e32 v88, 29, v79
	v_sub_nc_u32_e32 v79, 30, v79
	v_lshlrev_b32_e32 v88, v88, v13
	v_cndmask_b32_e64 v79, v89, v79, s16
	v_and_b32_e32 v88, 3, v88
	v_lshl_add_u32 v79, v79, 23, 0x37800000
	v_cndmask_b32_e64 v12, v12, v88, s16
	v_and_b32_e32 v88, 0x80000000, v90
	v_lshlrev_b32_e32 v12, 21, v12
	v_or3_b32 v12, v88, v79, v12
.LBB2_829:                              ;   in Loop: Header=BB2_743 Depth=4
	s_or_b32 exec_lo, exec_lo, s17
	v_cmp_gt_i16_sdwa s17, v9, v100 src0_sel:BYTE_0 src1_sel:DWORD
	s_mov_b32 s16, 0
	s_and_saveexec_b32 s72, s17
	s_xor_b32 s17, exec_lo, s72
	s_cbranch_execz .LBB2_1079
; %bb.830:                              ;   in Loop: Header=BB2_743 Depth=4
	v_cmp_eq_u16_sdwa s73, v9, v101 src0_sel:BYTE_0 src1_sel:DWORD
	s_mov_b32 s16, -1
	s_and_saveexec_b32 s72, s73
; %bb.831:                              ;   in Loop: Header=BB2_743 Depth=4
	s_xor_b32 s16, exec_lo, -1
; %bb.832:                              ;   in Loop: Header=BB2_743 Depth=4
	s_or_b32 exec_lo, exec_lo, s72
	s_and_b32 s16, s16, exec_lo
	s_or_saveexec_b32 s17, s17
	v_mov_b32_e32 v79, 0x7f800001
	s_xor_b32 exec_lo, exec_lo, s17
	s_cbranch_execnz .LBB2_1080
.LBB2_833:                              ;   in Loop: Header=BB2_743 Depth=4
	s_or_b32 exec_lo, exec_lo, s17
	s_and_saveexec_b32 s17, s16
	s_cbranch_execz .LBB2_835
.LBB2_834:                              ;   in Loop: Header=BB2_743 Depth=4
	v_and_b32_e32 v79, 3, v9
	v_bfe_u32 v90, v9, 2, 5
	v_lshlrev_b32_e32 v91, 24, v9
	v_ffbh_u32_e32 v88, v79
	v_cmp_eq_u32_e64 s16, 0, v90
	v_min_u32_e32 v88, 32, v88
	v_subrev_nc_u32_e32 v89, 29, v88
	v_sub_nc_u32_e32 v88, 30, v88
	v_lshlrev_b32_e32 v89, v89, v9
	v_cndmask_b32_e64 v88, v90, v88, s16
	v_and_b32_e32 v89, 3, v89
	v_lshl_add_u32 v88, v88, 23, 0x37800000
	v_cndmask_b32_e64 v79, v79, v89, s16
	v_and_b32_e32 v89, 0x80000000, v91
	v_lshlrev_b32_e32 v79, 21, v79
	v_or3_b32 v79, v89, v88, v79
.LBB2_835:                              ;   in Loop: Header=BB2_743 Depth=4
	s_or_b32 exec_lo, exec_lo, s17
	v_mul_f32_e32 v79, v12, v79
	v_and_b32_e32 v12, 0x7f800000, v79
	v_cmp_ne_u32_e64 s16, 0x7f800000, v12
	v_mov_b32_e32 v12, 0x80
	s_and_saveexec_b32 s72, s16
	s_cbranch_execz .LBB2_843
; %bb.836:                              ;   in Loop: Header=BB2_743 Depth=4
	v_mov_b32_e32 v12, 0
	s_mov_b32 s73, exec_lo
	v_cmpx_ne_u32_e32 0, v79
	s_cbranch_execz .LBB2_842
; %bb.837:                              ;   in Loop: Header=BB2_743 Depth=4
	v_bfe_u32 v12, v79, 23, 8
	v_and_b32_e32 v88, 0x7fffff, v79
	v_sub_nc_u32_e32 v89, 0x70, v12
	v_cmp_gt_u32_e64 s16, 0x71, v12
	v_or_b32_e32 v90, 0x800000, v88
	v_cndmask_b32_e64 v89, 0, v89, s16
	v_cmp_eq_u32_e64 s16, 0, v12
	v_add_nc_u32_e32 v12, 0xffffff91, v12
	v_cndmask_b32_e64 v89, v89, 0x6f, s16
	v_cndmask_b32_e64 v88, v90, v88, s16
	;; [unrolled: 1-line block ×3, first 2 shown]
	v_lshl_add_u32 v90, 0x200000, v89, -1
	v_lshrrev_b32_e32 v91, v89, v88
	v_lshlrev_b32_e64 v93, v89, 0x100000
	v_add_nc_u32_e32 v89, v89, v12
	v_and_b32_e32 v88, v90, v88
	v_bfe_u32 v92, v91, 21, 1
	v_cmp_eq_u32_e64 s17, v88, v93
	v_add_nc_u32_e32 v90, -1, v92
	v_cndmask_b32_e64 v88, 0, v90, s17
	v_lshrrev_b32_e32 v90, 23, v91
	s_mov_b32 s17, exec_lo
	v_add_nc_u32_e32 v88, v88, v91
	v_xor_b32_e32 v90, 1, v90
	v_and_b32_e32 v12, 0x1fffff, v88
	v_add_nc_u32_e32 v88, v12, v91
                                        ; implicit-def: $vgpr12
	v_cmpx_ne_u32_e64 v89, v90
	s_xor_b32 s17, exec_lo, s17
; %bb.838:                              ;   in Loop: Header=BB2_743 Depth=4
	v_cmp_lt_u32_e64 s16, 0xffffff, v88
	v_sub_nc_u32_e32 v12, v89, v90
	v_cndmask_b32_e64 v89, 0, 1, s16
	v_add_co_ci_u32_e64 v12, null, 0, v12, s16
	v_lshrrev_b32_e32 v88, v89, v88
; %bb.839:                              ;   in Loop: Header=BB2_743 Depth=4
	s_andn2_saveexec_b32 s16, s17
; %bb.840:                              ;   in Loop: Header=BB2_743 Depth=4
	v_bfe_u32 v12, v88, 23, 1
; %bb.841:                              ;   in Loop: Header=BB2_743 Depth=4
	s_or_b32 exec_lo, exec_lo, s16
	v_lshrrev_b32_e32 v88, 21, v88
	v_min_i32_e32 v89, 31, v12
	v_cmp_gt_i32_e64 s16, 32, v12
	v_and_b32_sdwa v79, v79, v101 dst_sel:DWORD dst_unused:UNUSED_PAD src0_sel:BYTE_3 src1_sel:DWORD
	v_lshlrev_b32_e32 v89, 2, v89
	v_cndmask_b32_e64 v88, 3, v88, s16
	v_and_b32_e32 v89, 0xfc, v89
	v_and_b32_e32 v90, 3, v88
	v_or_b32_e32 v12, v12, v88
	v_or3_b32 v79, v89, v79, v90
	v_cmp_ne_u32_e64 s16, 0, v12
	v_cndmask_b32_e64 v12, 0, v79, s16
.LBB2_842:                              ;   in Loop: Header=BB2_743 Depth=4
	s_or_b32 exec_lo, exec_lo, s73
.LBB2_843:                              ;   in Loop: Header=BB2_743 Depth=4
	s_or_b32 exec_lo, exec_lo, s72
	v_cmp_gt_i16_sdwa s17, v13, v100 src0_sel:BYTE_1 src1_sel:DWORD
	s_mov_b32 s16, 0
	s_and_saveexec_b32 s72, s17
	s_xor_b32 s17, exec_lo, s72
	s_cbranch_execz .LBB2_1081
; %bb.844:                              ;   in Loop: Header=BB2_743 Depth=4
	v_cmp_eq_u16_sdwa s73, v13, v101 src0_sel:BYTE_1 src1_sel:DWORD
	s_mov_b32 s16, -1
	s_and_saveexec_b32 s72, s73
; %bb.845:                              ;   in Loop: Header=BB2_743 Depth=4
	s_xor_b32 s16, exec_lo, -1
; %bb.846:                              ;   in Loop: Header=BB2_743 Depth=4
	s_or_b32 exec_lo, exec_lo, s72
	s_and_b32 s16, s16, exec_lo
	s_or_saveexec_b32 s17, s17
	v_mov_b32_e32 v79, 0x7f800001
	s_xor_b32 exec_lo, exec_lo, s17
	s_cbranch_execnz .LBB2_1082
.LBB2_847:                              ;   in Loop: Header=BB2_743 Depth=4
	s_or_b32 exec_lo, exec_lo, s17
	s_and_saveexec_b32 s17, s16
	s_cbranch_execz .LBB2_849
.LBB2_848:                              ;   in Loop: Header=BB2_743 Depth=4
	v_and_b32_sdwa v79, v102, v13 dst_sel:DWORD dst_unused:UNUSED_PAD src0_sel:DWORD src1_sel:BYTE_1
	v_and_b32_e32 v88, 3, v79
	v_bfe_u32 v91, v79, 2, 5
	v_ffbh_u32_e32 v89, v88
	v_cmp_eq_u32_e64 s16, 0, v91
	v_min_u32_e32 v89, 32, v89
	v_subrev_nc_u32_e32 v90, 29, v89
	v_sub_nc_u32_e32 v89, 30, v89
	v_lshlrev_b32_e32 v79, v90, v79
	v_lshlrev_b32_sdwa v90, v103, v13 dst_sel:DWORD dst_unused:UNUSED_PAD src0_sel:DWORD src1_sel:BYTE_1
	v_cndmask_b32_e64 v89, v91, v89, s16
	v_and_b32_e32 v79, 3, v79
	v_lshl_add_u32 v89, v89, 23, 0x37800000
	v_cndmask_b32_e64 v79, v88, v79, s16
	v_and_b32_e32 v88, 0x80000000, v90
	v_lshlrev_b32_e32 v79, 21, v79
	v_or3_b32 v79, v88, v89, v79
.LBB2_849:                              ;   in Loop: Header=BB2_743 Depth=4
	s_or_b32 exec_lo, exec_lo, s17
	v_cmp_gt_i16_sdwa s17, v9, v100 src0_sel:BYTE_1 src1_sel:DWORD
	s_mov_b32 s16, 0
	s_and_saveexec_b32 s72, s17
	s_xor_b32 s17, exec_lo, s72
	s_cbranch_execz .LBB2_1083
; %bb.850:                              ;   in Loop: Header=BB2_743 Depth=4
	v_cmp_eq_u16_sdwa s73, v9, v101 src0_sel:BYTE_1 src1_sel:DWORD
	s_mov_b32 s16, -1
	s_and_saveexec_b32 s72, s73
; %bb.851:                              ;   in Loop: Header=BB2_743 Depth=4
	s_xor_b32 s16, exec_lo, -1
; %bb.852:                              ;   in Loop: Header=BB2_743 Depth=4
	s_or_b32 exec_lo, exec_lo, s72
	s_and_b32 s16, s16, exec_lo
	s_or_saveexec_b32 s17, s17
	v_mov_b32_e32 v88, 0x7f800001
	s_xor_b32 exec_lo, exec_lo, s17
	s_cbranch_execnz .LBB2_1084
.LBB2_853:                              ;   in Loop: Header=BB2_743 Depth=4
	s_or_b32 exec_lo, exec_lo, s17
	s_and_saveexec_b32 s17, s16
	s_cbranch_execz .LBB2_855
.LBB2_854:                              ;   in Loop: Header=BB2_743 Depth=4
	v_and_b32_sdwa v88, v102, v9 dst_sel:DWORD dst_unused:UNUSED_PAD src0_sel:DWORD src1_sel:BYTE_1
	v_and_b32_e32 v89, 3, v88
	v_bfe_u32 v92, v88, 2, 5
	v_ffbh_u32_e32 v90, v89
	v_cmp_eq_u32_e64 s16, 0, v92
	v_min_u32_e32 v90, 32, v90
	v_subrev_nc_u32_e32 v91, 29, v90
	v_sub_nc_u32_e32 v90, 30, v90
	v_lshlrev_b32_e32 v88, v91, v88
	v_lshlrev_b32_sdwa v91, v103, v9 dst_sel:DWORD dst_unused:UNUSED_PAD src0_sel:DWORD src1_sel:BYTE_1
	v_cndmask_b32_e64 v90, v92, v90, s16
	v_and_b32_e32 v88, 3, v88
	v_lshl_add_u32 v90, v90, 23, 0x37800000
	v_cndmask_b32_e64 v88, v89, v88, s16
	v_and_b32_e32 v89, 0x80000000, v91
	v_lshlrev_b32_e32 v88, 21, v88
	v_or3_b32 v88, v89, v90, v88
.LBB2_855:                              ;   in Loop: Header=BB2_743 Depth=4
	s_or_b32 exec_lo, exec_lo, s17
	v_mul_f32_e32 v88, v79, v88
	v_and_b32_e32 v79, 0x7f800000, v88
	v_cmp_ne_u32_e64 s16, 0x7f800000, v79
	v_mov_b32_e32 v79, 0x8000
	s_and_saveexec_b32 s72, s16
	s_cbranch_execz .LBB2_863
; %bb.856:                              ;   in Loop: Header=BB2_743 Depth=4
	v_mov_b32_e32 v79, 0
	s_mov_b32 s73, exec_lo
	v_cmpx_ne_u32_e32 0, v88
	s_cbranch_execz .LBB2_862
; %bb.857:                              ;   in Loop: Header=BB2_743 Depth=4
	v_bfe_u32 v79, v88, 23, 8
	v_and_b32_e32 v89, 0x7fffff, v88
	v_sub_nc_u32_e32 v90, 0x70, v79
	v_cmp_gt_u32_e64 s16, 0x71, v79
	v_or_b32_e32 v91, 0x800000, v89
	v_cndmask_b32_e64 v90, 0, v90, s16
	v_cmp_eq_u32_e64 s16, 0, v79
	v_add_nc_u32_e32 v79, 0xffffff91, v79
	v_cndmask_b32_e64 v90, v90, 0x6f, s16
	v_cndmask_b32_e64 v89, v91, v89, s16
	;; [unrolled: 1-line block ×3, first 2 shown]
	v_lshl_add_u32 v91, 0x200000, v90, -1
	v_lshrrev_b32_e32 v92, v90, v89
	v_lshlrev_b32_e64 v94, v90, 0x100000
	v_add_nc_u32_e32 v90, v90, v79
	v_and_b32_e32 v89, v91, v89
	v_bfe_u32 v93, v92, 21, 1
	v_cmp_eq_u32_e64 s17, v89, v94
	v_add_nc_u32_e32 v91, -1, v93
	v_cndmask_b32_e64 v89, 0, v91, s17
	v_lshrrev_b32_e32 v91, 23, v92
	s_mov_b32 s17, exec_lo
	v_add_nc_u32_e32 v89, v89, v92
	v_xor_b32_e32 v91, 1, v91
	v_and_b32_e32 v79, 0x1fffff, v89
	v_add_nc_u32_e32 v89, v79, v92
                                        ; implicit-def: $vgpr79
	v_cmpx_ne_u32_e64 v90, v91
	s_xor_b32 s17, exec_lo, s17
; %bb.858:                              ;   in Loop: Header=BB2_743 Depth=4
	v_cmp_lt_u32_e64 s16, 0xffffff, v89
	v_sub_nc_u32_e32 v79, v90, v91
	v_cndmask_b32_e64 v90, 0, 1, s16
	v_add_co_ci_u32_e64 v79, null, 0, v79, s16
	v_lshrrev_b32_e32 v89, v90, v89
; %bb.859:                              ;   in Loop: Header=BB2_743 Depth=4
	s_andn2_saveexec_b32 s16, s17
; %bb.860:                              ;   in Loop: Header=BB2_743 Depth=4
	v_bfe_u32 v79, v89, 23, 1
; %bb.861:                              ;   in Loop: Header=BB2_743 Depth=4
	s_or_b32 exec_lo, exec_lo, s16
	v_lshrrev_b32_e32 v89, 21, v89
	v_min_i32_e32 v90, 31, v79
	v_cmp_gt_i32_e64 s16, 32, v79
	v_and_b32_sdwa v88, v88, v101 dst_sel:DWORD dst_unused:UNUSED_PAD src0_sel:BYTE_3 src1_sel:DWORD
	v_lshlrev_b32_e32 v90, 2, v90
	v_cndmask_b32_e64 v89, 3, v89, s16
	v_and_b32_e32 v90, 0xfc, v90
	v_and_b32_e32 v91, 3, v89
	v_or_b32_e32 v79, v79, v89
	v_or3_b32 v88, v88, v90, v91
	v_cmp_ne_u32_e64 s16, 0, v79
	v_lshlrev_b32_e32 v88, 8, v88
	v_cndmask_b32_e64 v79, 0, v88, s16
.LBB2_862:                              ;   in Loop: Header=BB2_743 Depth=4
	s_or_b32 exec_lo, exec_lo, s73
.LBB2_863:                              ;   in Loop: Header=BB2_743 Depth=4
	s_or_b32 exec_lo, exec_lo, s72
	v_and_b32_sdwa v89, v13, v112 dst_sel:DWORD dst_unused:UNUSED_PAD src0_sel:WORD_1 src1_sel:DWORD
	s_mov_b32 s17, 0
	s_mov_b32 s72, exec_lo
	v_cmpx_lt_i16_e32 0x7f, v89
	s_xor_b32 s72, exec_lo, s72
	s_cbranch_execz .LBB2_1085
; %bb.864:                              ;   in Loop: Header=BB2_743 Depth=4
	s_mov_b32 s17, -1
	s_mov_b32 s73, exec_lo
	v_cmpx_eq_u16_e32 0x80, v89
; %bb.865:                              ;   in Loop: Header=BB2_743 Depth=4
	s_xor_b32 s17, exec_lo, -1
; %bb.866:                              ;   in Loop: Header=BB2_743 Depth=4
	s_or_b32 exec_lo, exec_lo, s73
	s_and_b32 s17, s17, exec_lo
                                        ; implicit-def: $vgpr89
	s_or_saveexec_b32 s72, s72
	v_mov_b32_e32 v88, 0x7f800001
	s_xor_b32 exec_lo, exec_lo, s72
	s_cbranch_execnz .LBB2_1086
.LBB2_867:                              ;   in Loop: Header=BB2_743 Depth=4
	s_or_b32 exec_lo, exec_lo, s72
	s_and_saveexec_b32 s72, s17
	s_cbranch_execz .LBB2_869
.LBB2_868:                              ;   in Loop: Header=BB2_743 Depth=4
	v_bfe_u32 v88, v13, 16, 2
	v_bfe_u32 v91, v13, 18, 5
	v_lshlrev_b32_e32 v92, 8, v13
	v_ffbh_u32_e32 v89, v88
	v_cmp_eq_u32_e64 s16, 0, v91
	v_min_u32_e32 v89, 32, v89
	v_subrev_nc_u32_e32 v90, 29, v89
	v_sub_nc_u32_e32 v89, 30, v89
	v_lshlrev_b32_sdwa v90, v90, v13 dst_sel:DWORD dst_unused:UNUSED_PAD src0_sel:DWORD src1_sel:WORD_1
	v_cndmask_b32_e64 v89, v91, v89, s16
	v_and_b32_e32 v90, 3, v90
	v_lshl_add_u32 v89, v89, 23, 0x37800000
	v_cndmask_b32_e64 v88, v88, v90, s16
	v_and_b32_e32 v90, 0x80000000, v92
	v_lshlrev_b32_e32 v88, 21, v88
	v_or3_b32 v88, v90, v89, v88
.LBB2_869:                              ;   in Loop: Header=BB2_743 Depth=4
	s_or_b32 exec_lo, exec_lo, s72
	v_and_b32_sdwa v90, v9, v112 dst_sel:DWORD dst_unused:UNUSED_PAD src0_sel:WORD_1 src1_sel:DWORD
	s_mov_b32 s17, 0
	s_mov_b32 s72, exec_lo
	v_cmpx_lt_i16_e32 0x7f, v90
	s_xor_b32 s72, exec_lo, s72
	s_cbranch_execz .LBB2_1087
; %bb.870:                              ;   in Loop: Header=BB2_743 Depth=4
	s_mov_b32 s17, -1
	s_mov_b32 s73, exec_lo
	v_cmpx_eq_u16_e32 0x80, v90
; %bb.871:                              ;   in Loop: Header=BB2_743 Depth=4
	s_xor_b32 s17, exec_lo, -1
; %bb.872:                              ;   in Loop: Header=BB2_743 Depth=4
	s_or_b32 exec_lo, exec_lo, s73
	s_and_b32 s17, s17, exec_lo
                                        ; implicit-def: $vgpr90
	s_or_saveexec_b32 s72, s72
	v_mov_b32_e32 v89, 0x7f800001
	s_xor_b32 exec_lo, exec_lo, s72
	s_cbranch_execnz .LBB2_1088
.LBB2_873:                              ;   in Loop: Header=BB2_743 Depth=4
	s_or_b32 exec_lo, exec_lo, s72
	s_and_saveexec_b32 s72, s17
	s_cbranch_execz .LBB2_875
.LBB2_874:                              ;   in Loop: Header=BB2_743 Depth=4
	v_and_b32_sdwa v89, v9, v113 dst_sel:DWORD dst_unused:UNUSED_PAD src0_sel:WORD_1 src1_sel:DWORD
	v_bfe_u32 v92, v9, 18, 5
	v_lshlrev_b32_sdwa v93, v103, v9 dst_sel:DWORD dst_unused:UNUSED_PAD src0_sel:DWORD src1_sel:WORD_1
	v_ffbh_u32_e32 v90, v89
	v_cmp_eq_u32_e64 s16, 0, v92
	v_min_u32_e32 v90, 32, v90
	v_subrev_nc_u32_e32 v91, 29, v90
	v_sub_nc_u32_e32 v90, 30, v90
	v_lshlrev_b32_sdwa v91, v91, v9 dst_sel:DWORD dst_unused:UNUSED_PAD src0_sel:DWORD src1_sel:WORD_1
	v_cndmask_b32_e64 v90, v92, v90, s16
	v_and_b32_e32 v91, 3, v91
	v_lshl_add_u32 v90, v90, 23, 0x37800000
	v_cndmask_b32_e64 v89, v89, v91, s16
	v_and_b32_e32 v91, 0x80000000, v93
	v_lshlrev_b32_e32 v89, 21, v89
	v_or3_b32 v89, v91, v90, v89
.LBB2_875:                              ;   in Loop: Header=BB2_743 Depth=4
	s_or_b32 exec_lo, exec_lo, s72
	v_mul_f32_e32 v89, v88, v89
	v_and_b32_e32 v88, 0x7f800000, v89
	v_cmp_ne_u32_e64 s16, 0x7f800000, v88
	v_mov_b32_e32 v88, 0x80
	s_and_saveexec_b32 s72, s16
	s_cbranch_execz .LBB2_883
; %bb.876:                              ;   in Loop: Header=BB2_743 Depth=4
	v_mov_b32_e32 v88, 0
	s_mov_b32 s73, exec_lo
	v_cmpx_ne_u32_e32 0, v89
	s_cbranch_execz .LBB2_882
; %bb.877:                              ;   in Loop: Header=BB2_743 Depth=4
	v_bfe_u32 v88, v89, 23, 8
	v_and_b32_e32 v90, 0x7fffff, v89
	v_sub_nc_u32_e32 v91, 0x70, v88
	v_cmp_gt_u32_e64 s16, 0x71, v88
	v_or_b32_e32 v92, 0x800000, v90
	v_cndmask_b32_e64 v91, 0, v91, s16
	v_cmp_eq_u32_e64 s16, 0, v88
	v_add_nc_u32_e32 v88, 0xffffff91, v88
	v_cndmask_b32_e64 v91, v91, 0x6f, s16
	v_cndmask_b32_e64 v90, v92, v90, s16
	;; [unrolled: 1-line block ×3, first 2 shown]
	v_lshl_add_u32 v92, 0x200000, v91, -1
	v_lshrrev_b32_e32 v93, v91, v90
	v_lshlrev_b32_e64 v95, v91, 0x100000
	v_add_nc_u32_e32 v91, v91, v88
	v_and_b32_e32 v90, v92, v90
	v_bfe_u32 v94, v93, 21, 1
	v_cmp_eq_u32_e64 s17, v90, v95
	v_add_nc_u32_e32 v92, -1, v94
	v_cndmask_b32_e64 v90, 0, v92, s17
	v_lshrrev_b32_e32 v92, 23, v93
	s_mov_b32 s17, exec_lo
	v_add_nc_u32_e32 v90, v90, v93
	v_xor_b32_e32 v92, 1, v92
	v_and_b32_e32 v88, 0x1fffff, v90
	v_add_nc_u32_e32 v90, v88, v93
                                        ; implicit-def: $vgpr88
	v_cmpx_ne_u32_e64 v91, v92
	s_xor_b32 s17, exec_lo, s17
; %bb.878:                              ;   in Loop: Header=BB2_743 Depth=4
	v_cmp_lt_u32_e64 s16, 0xffffff, v90
	v_sub_nc_u32_e32 v88, v91, v92
	v_cndmask_b32_e64 v91, 0, 1, s16
	v_add_co_ci_u32_e64 v88, null, 0, v88, s16
	v_lshrrev_b32_e32 v90, v91, v90
; %bb.879:                              ;   in Loop: Header=BB2_743 Depth=4
	s_andn2_saveexec_b32 s16, s17
; %bb.880:                              ;   in Loop: Header=BB2_743 Depth=4
	v_bfe_u32 v88, v90, 23, 1
; %bb.881:                              ;   in Loop: Header=BB2_743 Depth=4
	s_or_b32 exec_lo, exec_lo, s16
	v_lshrrev_b32_e32 v90, 21, v90
	v_min_i32_e32 v91, 31, v88
	v_cmp_gt_i32_e64 s16, 32, v88
	v_and_b32_sdwa v89, v89, v101 dst_sel:DWORD dst_unused:UNUSED_PAD src0_sel:BYTE_3 src1_sel:DWORD
	v_lshlrev_b32_e32 v91, 2, v91
	v_cndmask_b32_e64 v90, 3, v90, s16
	v_and_b32_e32 v91, 0xfc, v91
	v_and_b32_e32 v92, 3, v90
	v_or_b32_e32 v88, v88, v90
	v_or3_b32 v89, v91, v89, v92
	v_cmp_ne_u32_e64 s16, 0, v88
	v_cndmask_b32_e64 v88, 0, v89, s16
.LBB2_882:                              ;   in Loop: Header=BB2_743 Depth=4
	s_or_b32 exec_lo, exec_lo, s73
.LBB2_883:                              ;   in Loop: Header=BB2_743 Depth=4
	s_or_b32 exec_lo, exec_lo, s72
	v_cmp_gt_i16_sdwa s17, v13, v100 src0_sel:BYTE_3 src1_sel:DWORD
	s_mov_b32 s16, 0
	s_and_saveexec_b32 s72, s17
	s_xor_b32 s17, exec_lo, s72
	s_cbranch_execz .LBB2_1089
; %bb.884:                              ;   in Loop: Header=BB2_743 Depth=4
	v_cmp_eq_u16_sdwa s73, v13, v101 src0_sel:BYTE_3 src1_sel:DWORD
	s_mov_b32 s16, -1
	s_and_saveexec_b32 s72, s73
; %bb.885:                              ;   in Loop: Header=BB2_743 Depth=4
	s_xor_b32 s16, exec_lo, -1
; %bb.886:                              ;   in Loop: Header=BB2_743 Depth=4
	s_or_b32 exec_lo, exec_lo, s72
	s_and_b32 s16, s16, exec_lo
	s_or_saveexec_b32 s17, s17
	v_mov_b32_e32 v89, 0x7f800001
	s_xor_b32 exec_lo, exec_lo, s17
	s_cbranch_execnz .LBB2_1090
.LBB2_887:                              ;   in Loop: Header=BB2_743 Depth=4
	s_or_b32 exec_lo, exec_lo, s17
	s_and_saveexec_b32 s17, s16
	s_cbranch_execz .LBB2_889
.LBB2_888:                              ;   in Loop: Header=BB2_743 Depth=4
	v_bfe_u32 v89, v13, 24, 2
	v_bfe_u32 v92, v13, 26, 5
	v_ffbh_u32_e32 v90, v89
	v_cmp_eq_u32_e64 s16, 0, v92
	v_min_u32_e32 v90, 32, v90
	v_subrev_nc_u32_e32 v91, 29, v90
	v_sub_nc_u32_e32 v90, 30, v90
	v_lshlrev_b32_sdwa v91, v91, v13 dst_sel:DWORD dst_unused:UNUSED_PAD src0_sel:DWORD src1_sel:BYTE_3
	v_cndmask_b32_e64 v90, v92, v90, s16
	v_and_b32_e32 v13, 0x80000000, v13
	v_and_b32_e32 v91, 3, v91
	v_lshl_add_u32 v90, v90, 23, 0x37800000
	v_cndmask_b32_e64 v89, v89, v91, s16
	v_lshlrev_b32_e32 v89, 21, v89
	v_or3_b32 v89, v13, v90, v89
.LBB2_889:                              ;   in Loop: Header=BB2_743 Depth=4
	s_or_b32 exec_lo, exec_lo, s17
	v_cmp_gt_i16_sdwa s17, v9, v100 src0_sel:BYTE_3 src1_sel:DWORD
	s_mov_b32 s16, 0
	s_and_saveexec_b32 s72, s17
	s_xor_b32 s17, exec_lo, s72
	s_cbranch_execz .LBB2_1091
; %bb.890:                              ;   in Loop: Header=BB2_743 Depth=4
	v_cmp_eq_u16_sdwa s73, v9, v101 src0_sel:BYTE_3 src1_sel:DWORD
	s_mov_b32 s16, -1
	s_and_saveexec_b32 s72, s73
; %bb.891:                              ;   in Loop: Header=BB2_743 Depth=4
	s_xor_b32 s16, exec_lo, -1
; %bb.892:                              ;   in Loop: Header=BB2_743 Depth=4
	s_or_b32 exec_lo, exec_lo, s72
	s_and_b32 s16, s16, exec_lo
	s_or_saveexec_b32 s17, s17
	v_mov_b32_e32 v13, 0x7f800001
	s_xor_b32 exec_lo, exec_lo, s17
	s_cbranch_execnz .LBB2_1092
.LBB2_893:                              ;   in Loop: Header=BB2_743 Depth=4
	s_or_b32 exec_lo, exec_lo, s17
	s_and_saveexec_b32 s17, s16
	s_cbranch_execz .LBB2_895
.LBB2_894:                              ;   in Loop: Header=BB2_743 Depth=4
	v_and_b32_sdwa v13, v9, v113 dst_sel:DWORD dst_unused:UNUSED_PAD src0_sel:BYTE_3 src1_sel:DWORD
	v_bfe_u32 v92, v9, 26, 5
	v_ffbh_u32_e32 v90, v13
	v_cmp_eq_u32_e64 s16, 0, v92
	v_min_u32_e32 v90, 32, v90
	v_subrev_nc_u32_e32 v91, 29, v90
	v_sub_nc_u32_e32 v90, 30, v90
	v_lshlrev_b32_sdwa v91, v91, v9 dst_sel:DWORD dst_unused:UNUSED_PAD src0_sel:DWORD src1_sel:BYTE_3
	v_cndmask_b32_e64 v90, v92, v90, s16
	v_and_b32_e32 v9, 0x80000000, v9
	v_and_b32_e32 v91, 3, v91
	v_lshl_add_u32 v90, v90, 23, 0x37800000
	v_cndmask_b32_e64 v13, v13, v91, s16
	v_lshlrev_b32_e32 v13, 21, v13
	v_or3_b32 v13, v9, v90, v13
.LBB2_895:                              ;   in Loop: Header=BB2_743 Depth=4
	s_or_b32 exec_lo, exec_lo, s17
	v_mul_f32_e32 v13, v89, v13
	v_and_b32_e32 v9, 0x7f800000, v13
	v_cmp_ne_u32_e64 s16, 0x7f800000, v9
	v_mov_b32_e32 v9, 0x8000
	s_and_saveexec_b32 s72, s16
	s_cbranch_execz .LBB2_903
; %bb.896:                              ;   in Loop: Header=BB2_743 Depth=4
	v_mov_b32_e32 v9, 0
	s_mov_b32 s73, exec_lo
	v_cmpx_ne_u32_e32 0, v13
	s_cbranch_execz .LBB2_902
; %bb.897:                              ;   in Loop: Header=BB2_743 Depth=4
	v_bfe_u32 v9, v13, 23, 8
	v_and_b32_e32 v89, 0x7fffff, v13
	v_sub_nc_u32_e32 v90, 0x70, v9
	v_cmp_gt_u32_e64 s16, 0x71, v9
	v_or_b32_e32 v91, 0x800000, v89
	v_cndmask_b32_e64 v90, 0, v90, s16
	v_cmp_eq_u32_e64 s16, 0, v9
	v_add_nc_u32_e32 v9, 0xffffff91, v9
	v_cndmask_b32_e64 v90, v90, 0x6f, s16
	v_cndmask_b32_e64 v89, v91, v89, s16
	;; [unrolled: 1-line block ×3, first 2 shown]
	v_lshl_add_u32 v91, 0x200000, v90, -1
	v_lshrrev_b32_e32 v92, v90, v89
	v_lshlrev_b32_e64 v94, v90, 0x100000
	v_add_nc_u32_e32 v90, v90, v9
	v_and_b32_e32 v89, v91, v89
	v_bfe_u32 v93, v92, 21, 1
	v_cmp_eq_u32_e64 s17, v89, v94
	v_add_nc_u32_e32 v91, -1, v93
	v_cndmask_b32_e64 v89, 0, v91, s17
	v_lshrrev_b32_e32 v91, 23, v92
	s_mov_b32 s17, exec_lo
	v_add_nc_u32_e32 v89, v89, v92
	v_xor_b32_e32 v91, 1, v91
	v_and_b32_e32 v9, 0x1fffff, v89
	v_add_nc_u32_e32 v89, v9, v92
                                        ; implicit-def: $vgpr9
	v_cmpx_ne_u32_e64 v90, v91
	s_xor_b32 s17, exec_lo, s17
; %bb.898:                              ;   in Loop: Header=BB2_743 Depth=4
	v_cmp_lt_u32_e64 s16, 0xffffff, v89
	v_sub_nc_u32_e32 v9, v90, v91
	v_cndmask_b32_e64 v90, 0, 1, s16
	v_add_co_ci_u32_e64 v9, null, 0, v9, s16
	v_lshrrev_b32_e32 v89, v90, v89
; %bb.899:                              ;   in Loop: Header=BB2_743 Depth=4
	s_andn2_saveexec_b32 s16, s17
; %bb.900:                              ;   in Loop: Header=BB2_743 Depth=4
	v_bfe_u32 v9, v89, 23, 1
; %bb.901:                              ;   in Loop: Header=BB2_743 Depth=4
	s_or_b32 exec_lo, exec_lo, s16
	v_lshrrev_b32_e32 v89, 21, v89
	v_min_i32_e32 v90, 31, v9
	v_cmp_gt_i32_e64 s16, 32, v9
	v_and_b32_sdwa v13, v13, v101 dst_sel:DWORD dst_unused:UNUSED_PAD src0_sel:BYTE_3 src1_sel:DWORD
	v_lshlrev_b32_e32 v90, 2, v90
	v_cndmask_b32_e64 v89, 3, v89, s16
	v_and_b32_e32 v90, 0xfc, v90
	v_and_b32_e32 v91, 3, v89
	v_or_b32_e32 v9, v9, v89
	v_or3_b32 v13, v13, v90, v91
	v_cmp_ne_u32_e64 s16, 0, v9
	v_lshlrev_b32_e32 v13, 8, v13
	v_cndmask_b32_e64 v9, 0, v13, s16
.LBB2_902:                              ;   in Loop: Header=BB2_743 Depth=4
	s_or_b32 exec_lo, exec_lo, s73
.LBB2_903:                              ;   in Loop: Header=BB2_743 Depth=4
	s_or_b32 exec_lo, exec_lo, s72
	v_cmp_gt_i16_sdwa s17, v14, v100 src0_sel:BYTE_0 src1_sel:DWORD
	s_mov_b32 s16, 0
	s_and_saveexec_b32 s72, s17
	s_xor_b32 s17, exec_lo, s72
	s_cbranch_execz .LBB2_1093
; %bb.904:                              ;   in Loop: Header=BB2_743 Depth=4
	v_cmp_eq_u16_sdwa s73, v14, v101 src0_sel:BYTE_0 src1_sel:DWORD
	s_mov_b32 s16, -1
	s_and_saveexec_b32 s72, s73
; %bb.905:                              ;   in Loop: Header=BB2_743 Depth=4
	s_xor_b32 s16, exec_lo, -1
; %bb.906:                              ;   in Loop: Header=BB2_743 Depth=4
	s_or_b32 exec_lo, exec_lo, s72
	s_and_b32 s16, s16, exec_lo
	s_or_saveexec_b32 s17, s17
	v_mov_b32_e32 v13, 0x7f800001
	s_xor_b32 exec_lo, exec_lo, s17
	s_cbranch_execnz .LBB2_1094
.LBB2_907:                              ;   in Loop: Header=BB2_743 Depth=4
	s_or_b32 exec_lo, exec_lo, s17
	s_and_saveexec_b32 s17, s16
	s_cbranch_execz .LBB2_909
.LBB2_908:                              ;   in Loop: Header=BB2_743 Depth=4
	v_and_b32_e32 v13, 3, v14
	v_bfe_u32 v91, v14, 2, 5
	v_lshlrev_b32_e32 v92, 24, v14
	v_ffbh_u32_e32 v89, v13
	v_cmp_eq_u32_e64 s16, 0, v91
	v_min_u32_e32 v89, 32, v89
	v_subrev_nc_u32_e32 v90, 29, v89
	v_sub_nc_u32_e32 v89, 30, v89
	v_lshlrev_b32_e32 v90, v90, v14
	v_cndmask_b32_e64 v89, v91, v89, s16
	v_and_b32_e32 v90, 3, v90
	v_lshl_add_u32 v89, v89, 23, 0x37800000
	v_cndmask_b32_e64 v13, v13, v90, s16
	v_and_b32_e32 v90, 0x80000000, v92
	v_lshlrev_b32_e32 v13, 21, v13
	v_or3_b32 v13, v90, v89, v13
.LBB2_909:                              ;   in Loop: Header=BB2_743 Depth=4
	s_or_b32 exec_lo, exec_lo, s17
	v_cmp_gt_i16_sdwa s17, v10, v100 src0_sel:BYTE_0 src1_sel:DWORD
	s_mov_b32 s16, 0
	s_and_saveexec_b32 s72, s17
	s_xor_b32 s17, exec_lo, s72
	s_cbranch_execz .LBB2_1095
; %bb.910:                              ;   in Loop: Header=BB2_743 Depth=4
	v_cmp_eq_u16_sdwa s73, v10, v101 src0_sel:BYTE_0 src1_sel:DWORD
	s_mov_b32 s16, -1
	s_and_saveexec_b32 s72, s73
; %bb.911:                              ;   in Loop: Header=BB2_743 Depth=4
	s_xor_b32 s16, exec_lo, -1
; %bb.912:                              ;   in Loop: Header=BB2_743 Depth=4
	s_or_b32 exec_lo, exec_lo, s72
	s_and_b32 s16, s16, exec_lo
	s_or_saveexec_b32 s17, s17
	v_mov_b32_e32 v89, 0x7f800001
	s_xor_b32 exec_lo, exec_lo, s17
	s_cbranch_execnz .LBB2_1096
.LBB2_913:                              ;   in Loop: Header=BB2_743 Depth=4
	s_or_b32 exec_lo, exec_lo, s17
	s_and_saveexec_b32 s17, s16
	s_cbranch_execz .LBB2_915
.LBB2_914:                              ;   in Loop: Header=BB2_743 Depth=4
	v_and_b32_e32 v89, 3, v10
	v_bfe_u32 v92, v10, 2, 5
	v_lshlrev_b32_e32 v93, 24, v10
	v_ffbh_u32_e32 v90, v89
	v_cmp_eq_u32_e64 s16, 0, v92
	v_min_u32_e32 v90, 32, v90
	v_subrev_nc_u32_e32 v91, 29, v90
	v_sub_nc_u32_e32 v90, 30, v90
	v_lshlrev_b32_e32 v91, v91, v10
	v_cndmask_b32_e64 v90, v92, v90, s16
	v_and_b32_e32 v91, 3, v91
	v_lshl_add_u32 v90, v90, 23, 0x37800000
	v_cndmask_b32_e64 v89, v89, v91, s16
	v_and_b32_e32 v91, 0x80000000, v93
	v_lshlrev_b32_e32 v89, 21, v89
	v_or3_b32 v89, v91, v90, v89
.LBB2_915:                              ;   in Loop: Header=BB2_743 Depth=4
	s_or_b32 exec_lo, exec_lo, s17
	v_mul_f32_e32 v89, v13, v89
	v_and_b32_e32 v13, 0x7f800000, v89
	v_cmp_ne_u32_e64 s16, 0x7f800000, v13
	v_mov_b32_e32 v13, 0x80
	s_and_saveexec_b32 s72, s16
	s_cbranch_execz .LBB2_923
; %bb.916:                              ;   in Loop: Header=BB2_743 Depth=4
	v_mov_b32_e32 v13, 0
	s_mov_b32 s73, exec_lo
	v_cmpx_ne_u32_e32 0, v89
	s_cbranch_execz .LBB2_922
; %bb.917:                              ;   in Loop: Header=BB2_743 Depth=4
	v_bfe_u32 v13, v89, 23, 8
	v_and_b32_e32 v90, 0x7fffff, v89
	v_sub_nc_u32_e32 v91, 0x70, v13
	v_cmp_gt_u32_e64 s16, 0x71, v13
	v_or_b32_e32 v92, 0x800000, v90
	v_cndmask_b32_e64 v91, 0, v91, s16
	v_cmp_eq_u32_e64 s16, 0, v13
	v_add_nc_u32_e32 v13, 0xffffff91, v13
	v_cndmask_b32_e64 v91, v91, 0x6f, s16
	v_cndmask_b32_e64 v90, v92, v90, s16
	;; [unrolled: 1-line block ×3, first 2 shown]
	v_lshl_add_u32 v92, 0x200000, v91, -1
	v_lshrrev_b32_e32 v93, v91, v90
	v_lshlrev_b32_e64 v95, v91, 0x100000
	v_add_nc_u32_e32 v91, v91, v13
	v_and_b32_e32 v90, v92, v90
	v_bfe_u32 v94, v93, 21, 1
	v_cmp_eq_u32_e64 s17, v90, v95
	v_add_nc_u32_e32 v92, -1, v94
	v_cndmask_b32_e64 v90, 0, v92, s17
	v_lshrrev_b32_e32 v92, 23, v93
	s_mov_b32 s17, exec_lo
	v_add_nc_u32_e32 v90, v90, v93
	v_xor_b32_e32 v92, 1, v92
	v_and_b32_e32 v13, 0x1fffff, v90
	v_add_nc_u32_e32 v90, v13, v93
                                        ; implicit-def: $vgpr13
	v_cmpx_ne_u32_e64 v91, v92
	s_xor_b32 s17, exec_lo, s17
; %bb.918:                              ;   in Loop: Header=BB2_743 Depth=4
	v_cmp_lt_u32_e64 s16, 0xffffff, v90
	v_sub_nc_u32_e32 v13, v91, v92
	v_cndmask_b32_e64 v91, 0, 1, s16
	v_add_co_ci_u32_e64 v13, null, 0, v13, s16
	v_lshrrev_b32_e32 v90, v91, v90
; %bb.919:                              ;   in Loop: Header=BB2_743 Depth=4
	s_andn2_saveexec_b32 s16, s17
; %bb.920:                              ;   in Loop: Header=BB2_743 Depth=4
	v_bfe_u32 v13, v90, 23, 1
; %bb.921:                              ;   in Loop: Header=BB2_743 Depth=4
	s_or_b32 exec_lo, exec_lo, s16
	v_lshrrev_b32_e32 v90, 21, v90
	v_min_i32_e32 v91, 31, v13
	v_cmp_gt_i32_e64 s16, 32, v13
	v_and_b32_sdwa v89, v89, v101 dst_sel:DWORD dst_unused:UNUSED_PAD src0_sel:BYTE_3 src1_sel:DWORD
	v_lshlrev_b32_e32 v91, 2, v91
	v_cndmask_b32_e64 v90, 3, v90, s16
	v_and_b32_e32 v91, 0xfc, v91
	v_and_b32_e32 v92, 3, v90
	v_or_b32_e32 v13, v13, v90
	v_or3_b32 v89, v91, v89, v92
	v_cmp_ne_u32_e64 s16, 0, v13
	v_cndmask_b32_e64 v13, 0, v89, s16
.LBB2_922:                              ;   in Loop: Header=BB2_743 Depth=4
	s_or_b32 exec_lo, exec_lo, s73
.LBB2_923:                              ;   in Loop: Header=BB2_743 Depth=4
	s_or_b32 exec_lo, exec_lo, s72
	v_cmp_gt_i16_sdwa s17, v14, v100 src0_sel:BYTE_1 src1_sel:DWORD
	s_mov_b32 s16, 0
	s_and_saveexec_b32 s72, s17
	s_xor_b32 s17, exec_lo, s72
	s_cbranch_execz .LBB2_1097
; %bb.924:                              ;   in Loop: Header=BB2_743 Depth=4
	v_cmp_eq_u16_sdwa s73, v14, v101 src0_sel:BYTE_1 src1_sel:DWORD
	s_mov_b32 s16, -1
	s_and_saveexec_b32 s72, s73
; %bb.925:                              ;   in Loop: Header=BB2_743 Depth=4
	s_xor_b32 s16, exec_lo, -1
; %bb.926:                              ;   in Loop: Header=BB2_743 Depth=4
	s_or_b32 exec_lo, exec_lo, s72
	s_and_b32 s16, s16, exec_lo
	s_or_saveexec_b32 s17, s17
	v_mov_b32_e32 v89, 0x7f800001
	s_xor_b32 exec_lo, exec_lo, s17
	s_cbranch_execnz .LBB2_1098
.LBB2_927:                              ;   in Loop: Header=BB2_743 Depth=4
	s_or_b32 exec_lo, exec_lo, s17
	s_and_saveexec_b32 s17, s16
	s_cbranch_execz .LBB2_929
.LBB2_928:                              ;   in Loop: Header=BB2_743 Depth=4
	v_and_b32_sdwa v89, v102, v14 dst_sel:DWORD dst_unused:UNUSED_PAD src0_sel:DWORD src1_sel:BYTE_1
	v_and_b32_e32 v90, 3, v89
	v_bfe_u32 v93, v89, 2, 5
	v_ffbh_u32_e32 v91, v90
	v_cmp_eq_u32_e64 s16, 0, v93
	v_min_u32_e32 v91, 32, v91
	v_subrev_nc_u32_e32 v92, 29, v91
	v_sub_nc_u32_e32 v91, 30, v91
	v_lshlrev_b32_e32 v89, v92, v89
	v_lshlrev_b32_sdwa v92, v103, v14 dst_sel:DWORD dst_unused:UNUSED_PAD src0_sel:DWORD src1_sel:BYTE_1
	v_cndmask_b32_e64 v91, v93, v91, s16
	v_and_b32_e32 v89, 3, v89
	v_lshl_add_u32 v91, v91, 23, 0x37800000
	v_cndmask_b32_e64 v89, v90, v89, s16
	v_and_b32_e32 v90, 0x80000000, v92
	v_lshlrev_b32_e32 v89, 21, v89
	v_or3_b32 v89, v90, v91, v89
.LBB2_929:                              ;   in Loop: Header=BB2_743 Depth=4
	s_or_b32 exec_lo, exec_lo, s17
	v_cmp_gt_i16_sdwa s17, v10, v100 src0_sel:BYTE_1 src1_sel:DWORD
	s_mov_b32 s16, 0
	s_and_saveexec_b32 s72, s17
	s_xor_b32 s17, exec_lo, s72
	s_cbranch_execz .LBB2_1099
; %bb.930:                              ;   in Loop: Header=BB2_743 Depth=4
	v_cmp_eq_u16_sdwa s73, v10, v101 src0_sel:BYTE_1 src1_sel:DWORD
	s_mov_b32 s16, -1
	s_and_saveexec_b32 s72, s73
; %bb.931:                              ;   in Loop: Header=BB2_743 Depth=4
	s_xor_b32 s16, exec_lo, -1
; %bb.932:                              ;   in Loop: Header=BB2_743 Depth=4
	s_or_b32 exec_lo, exec_lo, s72
	s_and_b32 s16, s16, exec_lo
	s_or_saveexec_b32 s17, s17
	v_mov_b32_e32 v90, 0x7f800001
	s_xor_b32 exec_lo, exec_lo, s17
	s_cbranch_execnz .LBB2_1100
.LBB2_933:                              ;   in Loop: Header=BB2_743 Depth=4
	s_or_b32 exec_lo, exec_lo, s17
	s_and_saveexec_b32 s17, s16
	s_cbranch_execz .LBB2_935
.LBB2_934:                              ;   in Loop: Header=BB2_743 Depth=4
	v_and_b32_sdwa v90, v102, v10 dst_sel:DWORD dst_unused:UNUSED_PAD src0_sel:DWORD src1_sel:BYTE_1
	v_and_b32_e32 v91, 3, v90
	v_bfe_u32 v94, v90, 2, 5
	v_ffbh_u32_e32 v92, v91
	v_cmp_eq_u32_e64 s16, 0, v94
	v_min_u32_e32 v92, 32, v92
	v_subrev_nc_u32_e32 v93, 29, v92
	v_sub_nc_u32_e32 v92, 30, v92
	v_lshlrev_b32_e32 v90, v93, v90
	v_lshlrev_b32_sdwa v93, v103, v10 dst_sel:DWORD dst_unused:UNUSED_PAD src0_sel:DWORD src1_sel:BYTE_1
	v_cndmask_b32_e64 v92, v94, v92, s16
	v_and_b32_e32 v90, 3, v90
	v_lshl_add_u32 v92, v92, 23, 0x37800000
	v_cndmask_b32_e64 v90, v91, v90, s16
	v_and_b32_e32 v91, 0x80000000, v93
	v_lshlrev_b32_e32 v90, 21, v90
	v_or3_b32 v90, v91, v92, v90
.LBB2_935:                              ;   in Loop: Header=BB2_743 Depth=4
	s_or_b32 exec_lo, exec_lo, s17
	v_mul_f32_e32 v90, v89, v90
	v_and_b32_e32 v89, 0x7f800000, v90
	v_cmp_ne_u32_e64 s16, 0x7f800000, v89
	v_mov_b32_e32 v89, 0x8000
	s_and_saveexec_b32 s72, s16
	s_cbranch_execz .LBB2_943
; %bb.936:                              ;   in Loop: Header=BB2_743 Depth=4
	v_mov_b32_e32 v89, 0
	s_mov_b32 s73, exec_lo
	v_cmpx_ne_u32_e32 0, v90
	s_cbranch_execz .LBB2_942
; %bb.937:                              ;   in Loop: Header=BB2_743 Depth=4
	v_bfe_u32 v89, v90, 23, 8
	v_and_b32_e32 v91, 0x7fffff, v90
	v_sub_nc_u32_e32 v92, 0x70, v89
	v_cmp_gt_u32_e64 s16, 0x71, v89
	v_or_b32_e32 v93, 0x800000, v91
	v_cndmask_b32_e64 v92, 0, v92, s16
	v_cmp_eq_u32_e64 s16, 0, v89
	v_add_nc_u32_e32 v89, 0xffffff91, v89
	v_cndmask_b32_e64 v92, v92, 0x6f, s16
	v_cndmask_b32_e64 v91, v93, v91, s16
	;; [unrolled: 1-line block ×3, first 2 shown]
	v_lshl_add_u32 v93, 0x200000, v92, -1
	v_lshrrev_b32_e32 v94, v92, v91
	v_lshlrev_b32_e64 v104, v92, 0x100000
	v_add_nc_u32_e32 v92, v92, v89
	v_and_b32_e32 v91, v93, v91
	v_bfe_u32 v95, v94, 21, 1
	v_cmp_eq_u32_e64 s17, v91, v104
	v_add_nc_u32_e32 v93, -1, v95
	v_cndmask_b32_e64 v91, 0, v93, s17
	v_lshrrev_b32_e32 v93, 23, v94
	s_mov_b32 s17, exec_lo
	v_add_nc_u32_e32 v91, v91, v94
	v_xor_b32_e32 v93, 1, v93
	v_and_b32_e32 v89, 0x1fffff, v91
	v_add_nc_u32_e32 v91, v89, v94
                                        ; implicit-def: $vgpr89
	v_cmpx_ne_u32_e64 v92, v93
	s_xor_b32 s17, exec_lo, s17
; %bb.938:                              ;   in Loop: Header=BB2_743 Depth=4
	v_cmp_lt_u32_e64 s16, 0xffffff, v91
	v_sub_nc_u32_e32 v89, v92, v93
	v_cndmask_b32_e64 v92, 0, 1, s16
	v_add_co_ci_u32_e64 v89, null, 0, v89, s16
	v_lshrrev_b32_e32 v91, v92, v91
; %bb.939:                              ;   in Loop: Header=BB2_743 Depth=4
	s_andn2_saveexec_b32 s16, s17
; %bb.940:                              ;   in Loop: Header=BB2_743 Depth=4
	v_bfe_u32 v89, v91, 23, 1
; %bb.941:                              ;   in Loop: Header=BB2_743 Depth=4
	s_or_b32 exec_lo, exec_lo, s16
	v_lshrrev_b32_e32 v91, 21, v91
	v_min_i32_e32 v92, 31, v89
	v_cmp_gt_i32_e64 s16, 32, v89
	v_and_b32_sdwa v90, v90, v101 dst_sel:DWORD dst_unused:UNUSED_PAD src0_sel:BYTE_3 src1_sel:DWORD
	v_lshlrev_b32_e32 v92, 2, v92
	v_cndmask_b32_e64 v91, 3, v91, s16
	v_and_b32_e32 v92, 0xfc, v92
	v_and_b32_e32 v93, 3, v91
	v_or_b32_e32 v89, v89, v91
	v_or3_b32 v90, v90, v92, v93
	v_cmp_ne_u32_e64 s16, 0, v89
	v_lshlrev_b32_e32 v90, 8, v90
	v_cndmask_b32_e64 v89, 0, v90, s16
.LBB2_942:                              ;   in Loop: Header=BB2_743 Depth=4
	s_or_b32 exec_lo, exec_lo, s73
.LBB2_943:                              ;   in Loop: Header=BB2_743 Depth=4
	s_or_b32 exec_lo, exec_lo, s72
	v_and_b32_sdwa v91, v14, v112 dst_sel:DWORD dst_unused:UNUSED_PAD src0_sel:WORD_1 src1_sel:DWORD
	s_mov_b32 s17, 0
	s_mov_b32 s72, exec_lo
	v_cmpx_lt_i16_e32 0x7f, v91
	s_xor_b32 s72, exec_lo, s72
	s_cbranch_execz .LBB2_1101
; %bb.944:                              ;   in Loop: Header=BB2_743 Depth=4
	s_mov_b32 s17, -1
	s_mov_b32 s73, exec_lo
	v_cmpx_eq_u16_e32 0x80, v91
; %bb.945:                              ;   in Loop: Header=BB2_743 Depth=4
	s_xor_b32 s17, exec_lo, -1
; %bb.946:                              ;   in Loop: Header=BB2_743 Depth=4
	s_or_b32 exec_lo, exec_lo, s73
	s_and_b32 s17, s17, exec_lo
                                        ; implicit-def: $vgpr91
	s_or_saveexec_b32 s72, s72
	v_mov_b32_e32 v90, 0x7f800001
	s_xor_b32 exec_lo, exec_lo, s72
	s_cbranch_execnz .LBB2_1102
.LBB2_947:                              ;   in Loop: Header=BB2_743 Depth=4
	s_or_b32 exec_lo, exec_lo, s72
	s_and_saveexec_b32 s72, s17
	s_cbranch_execz .LBB2_949
.LBB2_948:                              ;   in Loop: Header=BB2_743 Depth=4
	v_bfe_u32 v90, v14, 16, 2
	v_bfe_u32 v93, v14, 18, 5
	v_lshlrev_b32_e32 v94, 8, v14
	v_ffbh_u32_e32 v91, v90
	v_cmp_eq_u32_e64 s16, 0, v93
	v_min_u32_e32 v91, 32, v91
	v_subrev_nc_u32_e32 v92, 29, v91
	v_sub_nc_u32_e32 v91, 30, v91
	v_lshlrev_b32_sdwa v92, v92, v14 dst_sel:DWORD dst_unused:UNUSED_PAD src0_sel:DWORD src1_sel:WORD_1
	v_cndmask_b32_e64 v91, v93, v91, s16
	v_and_b32_e32 v92, 3, v92
	v_lshl_add_u32 v91, v91, 23, 0x37800000
	v_cndmask_b32_e64 v90, v90, v92, s16
	v_and_b32_e32 v92, 0x80000000, v94
	v_lshlrev_b32_e32 v90, 21, v90
	v_or3_b32 v90, v92, v91, v90
.LBB2_949:                              ;   in Loop: Header=BB2_743 Depth=4
	s_or_b32 exec_lo, exec_lo, s72
	v_and_b32_sdwa v92, v10, v112 dst_sel:DWORD dst_unused:UNUSED_PAD src0_sel:WORD_1 src1_sel:DWORD
	s_mov_b32 s17, 0
	s_mov_b32 s72, exec_lo
	v_cmpx_lt_i16_e32 0x7f, v92
	s_xor_b32 s72, exec_lo, s72
	s_cbranch_execz .LBB2_1103
; %bb.950:                              ;   in Loop: Header=BB2_743 Depth=4
	s_mov_b32 s17, -1
	s_mov_b32 s73, exec_lo
	v_cmpx_eq_u16_e32 0x80, v92
; %bb.951:                              ;   in Loop: Header=BB2_743 Depth=4
	s_xor_b32 s17, exec_lo, -1
; %bb.952:                              ;   in Loop: Header=BB2_743 Depth=4
	s_or_b32 exec_lo, exec_lo, s73
	s_and_b32 s17, s17, exec_lo
                                        ; implicit-def: $vgpr92
	s_or_saveexec_b32 s72, s72
	v_mov_b32_e32 v91, 0x7f800001
	s_xor_b32 exec_lo, exec_lo, s72
	s_cbranch_execnz .LBB2_1104
.LBB2_953:                              ;   in Loop: Header=BB2_743 Depth=4
	s_or_b32 exec_lo, exec_lo, s72
	s_and_saveexec_b32 s72, s17
	s_cbranch_execz .LBB2_955
.LBB2_954:                              ;   in Loop: Header=BB2_743 Depth=4
	v_and_b32_sdwa v91, v10, v113 dst_sel:DWORD dst_unused:UNUSED_PAD src0_sel:WORD_1 src1_sel:DWORD
	v_bfe_u32 v94, v10, 18, 5
	v_lshlrev_b32_sdwa v95, v103, v10 dst_sel:DWORD dst_unused:UNUSED_PAD src0_sel:DWORD src1_sel:WORD_1
	v_ffbh_u32_e32 v92, v91
	v_cmp_eq_u32_e64 s16, 0, v94
	v_min_u32_e32 v92, 32, v92
	v_subrev_nc_u32_e32 v93, 29, v92
	v_sub_nc_u32_e32 v92, 30, v92
	v_lshlrev_b32_sdwa v93, v93, v10 dst_sel:DWORD dst_unused:UNUSED_PAD src0_sel:DWORD src1_sel:WORD_1
	v_cndmask_b32_e64 v92, v94, v92, s16
	v_and_b32_e32 v93, 3, v93
	v_lshl_add_u32 v92, v92, 23, 0x37800000
	v_cndmask_b32_e64 v91, v91, v93, s16
	v_and_b32_e32 v93, 0x80000000, v95
	v_lshlrev_b32_e32 v91, 21, v91
	v_or3_b32 v91, v93, v92, v91
.LBB2_955:                              ;   in Loop: Header=BB2_743 Depth=4
	s_or_b32 exec_lo, exec_lo, s72
	v_mul_f32_e32 v91, v90, v91
	v_and_b32_e32 v90, 0x7f800000, v91
	v_cmp_ne_u32_e64 s16, 0x7f800000, v90
	v_mov_b32_e32 v90, 0x80
	s_and_saveexec_b32 s72, s16
	s_cbranch_execz .LBB2_963
; %bb.956:                              ;   in Loop: Header=BB2_743 Depth=4
	v_mov_b32_e32 v90, 0
	s_mov_b32 s73, exec_lo
	v_cmpx_ne_u32_e32 0, v91
	s_cbranch_execz .LBB2_962
; %bb.957:                              ;   in Loop: Header=BB2_743 Depth=4
	v_bfe_u32 v90, v91, 23, 8
	v_and_b32_e32 v92, 0x7fffff, v91
	v_sub_nc_u32_e32 v93, 0x70, v90
	v_cmp_gt_u32_e64 s16, 0x71, v90
	v_or_b32_e32 v94, 0x800000, v92
	v_cndmask_b32_e64 v93, 0, v93, s16
	v_cmp_eq_u32_e64 s16, 0, v90
	v_add_nc_u32_e32 v90, 0xffffff91, v90
	v_cndmask_b32_e64 v93, v93, 0x6f, s16
	v_cndmask_b32_e64 v92, v94, v92, s16
	;; [unrolled: 1-line block ×3, first 2 shown]
	v_lshl_add_u32 v94, 0x200000, v93, -1
	v_lshrrev_b32_e32 v95, v93, v92
	v_lshlrev_b32_e64 v105, v93, 0x100000
	v_add_nc_u32_e32 v93, v93, v90
	v_and_b32_e32 v92, v94, v92
	v_bfe_u32 v104, v95, 21, 1
	v_cmp_eq_u32_e64 s17, v92, v105
	v_add_nc_u32_e32 v94, -1, v104
	v_cndmask_b32_e64 v92, 0, v94, s17
	v_lshrrev_b32_e32 v94, 23, v95
	s_mov_b32 s17, exec_lo
	v_add_nc_u32_e32 v92, v92, v95
	v_xor_b32_e32 v94, 1, v94
	v_and_b32_e32 v90, 0x1fffff, v92
	v_add_nc_u32_e32 v92, v90, v95
                                        ; implicit-def: $vgpr90
	v_cmpx_ne_u32_e64 v93, v94
	s_xor_b32 s17, exec_lo, s17
; %bb.958:                              ;   in Loop: Header=BB2_743 Depth=4
	v_cmp_lt_u32_e64 s16, 0xffffff, v92
	v_sub_nc_u32_e32 v90, v93, v94
	v_cndmask_b32_e64 v93, 0, 1, s16
	v_add_co_ci_u32_e64 v90, null, 0, v90, s16
	v_lshrrev_b32_e32 v92, v93, v92
; %bb.959:                              ;   in Loop: Header=BB2_743 Depth=4
	s_andn2_saveexec_b32 s16, s17
; %bb.960:                              ;   in Loop: Header=BB2_743 Depth=4
	v_bfe_u32 v90, v92, 23, 1
; %bb.961:                              ;   in Loop: Header=BB2_743 Depth=4
	s_or_b32 exec_lo, exec_lo, s16
	v_lshrrev_b32_e32 v92, 21, v92
	v_min_i32_e32 v93, 31, v90
	v_cmp_gt_i32_e64 s16, 32, v90
	v_and_b32_sdwa v91, v91, v101 dst_sel:DWORD dst_unused:UNUSED_PAD src0_sel:BYTE_3 src1_sel:DWORD
	v_lshlrev_b32_e32 v93, 2, v93
	v_cndmask_b32_e64 v92, 3, v92, s16
	v_and_b32_e32 v93, 0xfc, v93
	v_and_b32_e32 v94, 3, v92
	v_or_b32_e32 v90, v90, v92
	v_or3_b32 v91, v93, v91, v94
	v_cmp_ne_u32_e64 s16, 0, v90
	v_cndmask_b32_e64 v90, 0, v91, s16
.LBB2_962:                              ;   in Loop: Header=BB2_743 Depth=4
	s_or_b32 exec_lo, exec_lo, s73
.LBB2_963:                              ;   in Loop: Header=BB2_743 Depth=4
	s_or_b32 exec_lo, exec_lo, s72
	v_cmp_gt_i16_sdwa s17, v14, v100 src0_sel:BYTE_3 src1_sel:DWORD
	s_mov_b32 s16, 0
	s_and_saveexec_b32 s72, s17
	s_xor_b32 s17, exec_lo, s72
	s_cbranch_execz .LBB2_1105
; %bb.964:                              ;   in Loop: Header=BB2_743 Depth=4
	v_cmp_eq_u16_sdwa s73, v14, v101 src0_sel:BYTE_3 src1_sel:DWORD
	s_mov_b32 s16, -1
	s_and_saveexec_b32 s72, s73
; %bb.965:                              ;   in Loop: Header=BB2_743 Depth=4
	s_xor_b32 s16, exec_lo, -1
; %bb.966:                              ;   in Loop: Header=BB2_743 Depth=4
	s_or_b32 exec_lo, exec_lo, s72
	s_and_b32 s16, s16, exec_lo
	s_or_saveexec_b32 s17, s17
	v_mov_b32_e32 v91, 0x7f800001
	s_xor_b32 exec_lo, exec_lo, s17
	s_cbranch_execnz .LBB2_1106
.LBB2_967:                              ;   in Loop: Header=BB2_743 Depth=4
	s_or_b32 exec_lo, exec_lo, s17
	s_and_saveexec_b32 s17, s16
	s_cbranch_execz .LBB2_969
.LBB2_968:                              ;   in Loop: Header=BB2_743 Depth=4
	v_bfe_u32 v91, v14, 24, 2
	v_bfe_u32 v94, v14, 26, 5
	v_ffbh_u32_e32 v92, v91
	v_cmp_eq_u32_e64 s16, 0, v94
	v_min_u32_e32 v92, 32, v92
	v_subrev_nc_u32_e32 v93, 29, v92
	v_sub_nc_u32_e32 v92, 30, v92
	v_lshlrev_b32_sdwa v93, v93, v14 dst_sel:DWORD dst_unused:UNUSED_PAD src0_sel:DWORD src1_sel:BYTE_3
	v_cndmask_b32_e64 v92, v94, v92, s16
	v_and_b32_e32 v14, 0x80000000, v14
	v_and_b32_e32 v93, 3, v93
	v_lshl_add_u32 v92, v92, 23, 0x37800000
	v_cndmask_b32_e64 v91, v91, v93, s16
	v_lshlrev_b32_e32 v91, 21, v91
	v_or3_b32 v91, v14, v92, v91
.LBB2_969:                              ;   in Loop: Header=BB2_743 Depth=4
	s_or_b32 exec_lo, exec_lo, s17
	v_cmp_gt_i16_sdwa s17, v10, v100 src0_sel:BYTE_3 src1_sel:DWORD
	s_mov_b32 s16, 0
	s_and_saveexec_b32 s72, s17
	s_xor_b32 s17, exec_lo, s72
	s_cbranch_execz .LBB2_1107
; %bb.970:                              ;   in Loop: Header=BB2_743 Depth=4
	v_cmp_eq_u16_sdwa s73, v10, v101 src0_sel:BYTE_3 src1_sel:DWORD
	s_mov_b32 s16, -1
	s_and_saveexec_b32 s72, s73
; %bb.971:                              ;   in Loop: Header=BB2_743 Depth=4
	s_xor_b32 s16, exec_lo, -1
; %bb.972:                              ;   in Loop: Header=BB2_743 Depth=4
	s_or_b32 exec_lo, exec_lo, s72
	s_and_b32 s16, s16, exec_lo
	s_or_saveexec_b32 s17, s17
	v_mov_b32_e32 v14, 0x7f800001
	s_xor_b32 exec_lo, exec_lo, s17
	s_cbranch_execnz .LBB2_1108
.LBB2_973:                              ;   in Loop: Header=BB2_743 Depth=4
	s_or_b32 exec_lo, exec_lo, s17
	s_and_saveexec_b32 s17, s16
	s_cbranch_execz .LBB2_975
.LBB2_974:                              ;   in Loop: Header=BB2_743 Depth=4
	v_and_b32_sdwa v14, v10, v113 dst_sel:DWORD dst_unused:UNUSED_PAD src0_sel:BYTE_3 src1_sel:DWORD
	v_bfe_u32 v94, v10, 26, 5
	v_ffbh_u32_e32 v92, v14
	v_cmp_eq_u32_e64 s16, 0, v94
	v_min_u32_e32 v92, 32, v92
	v_subrev_nc_u32_e32 v93, 29, v92
	v_sub_nc_u32_e32 v92, 30, v92
	v_lshlrev_b32_sdwa v93, v93, v10 dst_sel:DWORD dst_unused:UNUSED_PAD src0_sel:DWORD src1_sel:BYTE_3
	v_cndmask_b32_e64 v92, v94, v92, s16
	v_and_b32_e32 v10, 0x80000000, v10
	v_and_b32_e32 v93, 3, v93
	v_lshl_add_u32 v92, v92, 23, 0x37800000
	v_cndmask_b32_e64 v14, v14, v93, s16
	v_lshlrev_b32_e32 v14, 21, v14
	v_or3_b32 v14, v10, v92, v14
.LBB2_975:                              ;   in Loop: Header=BB2_743 Depth=4
	s_or_b32 exec_lo, exec_lo, s17
	v_mul_f32_e32 v14, v91, v14
	v_and_b32_e32 v10, 0x7f800000, v14
	v_cmp_ne_u32_e64 s16, 0x7f800000, v10
	v_mov_b32_e32 v10, 0x8000
	s_and_saveexec_b32 s72, s16
	s_cbranch_execz .LBB2_983
; %bb.976:                              ;   in Loop: Header=BB2_743 Depth=4
	v_mov_b32_e32 v10, 0
	s_mov_b32 s73, exec_lo
	v_cmpx_ne_u32_e32 0, v14
	s_cbranch_execz .LBB2_982
; %bb.977:                              ;   in Loop: Header=BB2_743 Depth=4
	v_bfe_u32 v10, v14, 23, 8
	v_and_b32_e32 v91, 0x7fffff, v14
	v_sub_nc_u32_e32 v92, 0x70, v10
	v_cmp_gt_u32_e64 s16, 0x71, v10
	v_or_b32_e32 v93, 0x800000, v91
	v_cndmask_b32_e64 v92, 0, v92, s16
	v_cmp_eq_u32_e64 s16, 0, v10
	v_add_nc_u32_e32 v10, 0xffffff91, v10
	v_cndmask_b32_e64 v92, v92, 0x6f, s16
	v_cndmask_b32_e64 v91, v93, v91, s16
	;; [unrolled: 1-line block ×3, first 2 shown]
	v_lshl_add_u32 v93, 0x200000, v92, -1
	v_lshrrev_b32_e32 v94, v92, v91
	v_lshlrev_b32_e64 v104, v92, 0x100000
	v_add_nc_u32_e32 v92, v92, v10
	v_and_b32_e32 v91, v93, v91
	v_bfe_u32 v95, v94, 21, 1
	v_cmp_eq_u32_e64 s17, v91, v104
	v_add_nc_u32_e32 v93, -1, v95
	v_cndmask_b32_e64 v91, 0, v93, s17
	v_lshrrev_b32_e32 v93, 23, v94
	s_mov_b32 s17, exec_lo
	v_add_nc_u32_e32 v91, v91, v94
	v_xor_b32_e32 v93, 1, v93
	v_and_b32_e32 v10, 0x1fffff, v91
	v_add_nc_u32_e32 v91, v10, v94
                                        ; implicit-def: $vgpr10
	v_cmpx_ne_u32_e64 v92, v93
	s_xor_b32 s17, exec_lo, s17
; %bb.978:                              ;   in Loop: Header=BB2_743 Depth=4
	v_cmp_lt_u32_e64 s16, 0xffffff, v91
	v_sub_nc_u32_e32 v10, v92, v93
	v_cndmask_b32_e64 v92, 0, 1, s16
	v_add_co_ci_u32_e64 v10, null, 0, v10, s16
	v_lshrrev_b32_e32 v91, v92, v91
; %bb.979:                              ;   in Loop: Header=BB2_743 Depth=4
	s_andn2_saveexec_b32 s16, s17
; %bb.980:                              ;   in Loop: Header=BB2_743 Depth=4
	v_bfe_u32 v10, v91, 23, 1
; %bb.981:                              ;   in Loop: Header=BB2_743 Depth=4
	s_or_b32 exec_lo, exec_lo, s16
	v_lshrrev_b32_e32 v91, 21, v91
	v_min_i32_e32 v92, 31, v10
	v_cmp_gt_i32_e64 s16, 32, v10
	v_and_b32_sdwa v14, v14, v101 dst_sel:DWORD dst_unused:UNUSED_PAD src0_sel:BYTE_3 src1_sel:DWORD
	v_lshlrev_b32_e32 v92, 2, v92
	v_cndmask_b32_e64 v91, 3, v91, s16
	v_and_b32_e32 v92, 0xfc, v92
	v_and_b32_e32 v93, 3, v91
	v_or_b32_e32 v10, v10, v91
	v_or3_b32 v14, v14, v92, v93
	v_cmp_ne_u32_e64 s16, 0, v10
	v_lshlrev_b32_e32 v14, 8, v14
	v_cndmask_b32_e64 v10, 0, v14, s16
.LBB2_982:                              ;   in Loop: Header=BB2_743 Depth=4
	s_or_b32 exec_lo, exec_lo, s73
.LBB2_983:                              ;   in Loop: Header=BB2_743 Depth=4
	s_or_b32 exec_lo, exec_lo, s72
	v_cmp_gt_i16_sdwa s17, v15, v100 src0_sel:BYTE_0 src1_sel:DWORD
	s_mov_b32 s16, 0
	s_and_saveexec_b32 s72, s17
	s_xor_b32 s17, exec_lo, s72
	s_cbranch_execz .LBB2_1109
; %bb.984:                              ;   in Loop: Header=BB2_743 Depth=4
	v_cmp_eq_u16_sdwa s73, v15, v101 src0_sel:BYTE_0 src1_sel:DWORD
	s_mov_b32 s16, -1
	s_and_saveexec_b32 s72, s73
; %bb.985:                              ;   in Loop: Header=BB2_743 Depth=4
	s_xor_b32 s16, exec_lo, -1
; %bb.986:                              ;   in Loop: Header=BB2_743 Depth=4
	s_or_b32 exec_lo, exec_lo, s72
	s_and_b32 s16, s16, exec_lo
	s_or_saveexec_b32 s17, s17
	v_mov_b32_e32 v14, 0x7f800001
	s_xor_b32 exec_lo, exec_lo, s17
	s_cbranch_execnz .LBB2_1110
.LBB2_987:                              ;   in Loop: Header=BB2_743 Depth=4
	s_or_b32 exec_lo, exec_lo, s17
	s_and_saveexec_b32 s17, s16
	s_cbranch_execz .LBB2_989
.LBB2_988:                              ;   in Loop: Header=BB2_743 Depth=4
	v_and_b32_e32 v14, 3, v15
	v_bfe_u32 v93, v15, 2, 5
	v_lshlrev_b32_e32 v94, 24, v15
	v_ffbh_u32_e32 v91, v14
	v_cmp_eq_u32_e64 s16, 0, v93
	v_min_u32_e32 v91, 32, v91
	v_subrev_nc_u32_e32 v92, 29, v91
	v_sub_nc_u32_e32 v91, 30, v91
	v_lshlrev_b32_e32 v92, v92, v15
	v_cndmask_b32_e64 v91, v93, v91, s16
	v_and_b32_e32 v92, 3, v92
	v_lshl_add_u32 v91, v91, 23, 0x37800000
	v_cndmask_b32_e64 v14, v14, v92, s16
	v_and_b32_e32 v92, 0x80000000, v94
	v_lshlrev_b32_e32 v14, 21, v14
	v_or3_b32 v14, v92, v91, v14
.LBB2_989:                              ;   in Loop: Header=BB2_743 Depth=4
	s_or_b32 exec_lo, exec_lo, s17
	v_cmp_gt_i16_sdwa s17, v11, v100 src0_sel:BYTE_0 src1_sel:DWORD
	s_mov_b32 s16, 0
	s_and_saveexec_b32 s72, s17
	s_xor_b32 s17, exec_lo, s72
	s_cbranch_execz .LBB2_1111
; %bb.990:                              ;   in Loop: Header=BB2_743 Depth=4
	v_cmp_eq_u16_sdwa s73, v11, v101 src0_sel:BYTE_0 src1_sel:DWORD
	s_mov_b32 s16, -1
	s_and_saveexec_b32 s72, s73
; %bb.991:                              ;   in Loop: Header=BB2_743 Depth=4
	s_xor_b32 s16, exec_lo, -1
; %bb.992:                              ;   in Loop: Header=BB2_743 Depth=4
	s_or_b32 exec_lo, exec_lo, s72
	s_and_b32 s16, s16, exec_lo
	s_or_saveexec_b32 s17, s17
	v_mov_b32_e32 v91, 0x7f800001
	s_xor_b32 exec_lo, exec_lo, s17
	s_cbranch_execnz .LBB2_1112
.LBB2_993:                              ;   in Loop: Header=BB2_743 Depth=4
	s_or_b32 exec_lo, exec_lo, s17
	s_and_saveexec_b32 s17, s16
	s_cbranch_execz .LBB2_995
.LBB2_994:                              ;   in Loop: Header=BB2_743 Depth=4
	v_and_b32_e32 v91, 3, v11
	v_bfe_u32 v94, v11, 2, 5
	v_lshlrev_b32_e32 v95, 24, v11
	v_ffbh_u32_e32 v92, v91
	v_cmp_eq_u32_e64 s16, 0, v94
	v_min_u32_e32 v92, 32, v92
	v_subrev_nc_u32_e32 v93, 29, v92
	v_sub_nc_u32_e32 v92, 30, v92
	v_lshlrev_b32_e32 v93, v93, v11
	v_cndmask_b32_e64 v92, v94, v92, s16
	v_and_b32_e32 v93, 3, v93
	v_lshl_add_u32 v92, v92, 23, 0x37800000
	v_cndmask_b32_e64 v91, v91, v93, s16
	v_and_b32_e32 v93, 0x80000000, v95
	v_lshlrev_b32_e32 v91, 21, v91
	v_or3_b32 v91, v93, v92, v91
.LBB2_995:                              ;   in Loop: Header=BB2_743 Depth=4
	s_or_b32 exec_lo, exec_lo, s17
	v_mul_f32_e32 v91, v14, v91
	v_and_b32_e32 v14, 0x7f800000, v91
	v_cmp_ne_u32_e64 s16, 0x7f800000, v14
	v_mov_b32_e32 v14, 0x80
	s_and_saveexec_b32 s72, s16
	s_cbranch_execz .LBB2_1003
; %bb.996:                              ;   in Loop: Header=BB2_743 Depth=4
	v_mov_b32_e32 v14, 0
	s_mov_b32 s73, exec_lo
	v_cmpx_ne_u32_e32 0, v91
	s_cbranch_execz .LBB2_1002
; %bb.997:                              ;   in Loop: Header=BB2_743 Depth=4
	v_bfe_u32 v14, v91, 23, 8
	v_and_b32_e32 v92, 0x7fffff, v91
	v_sub_nc_u32_e32 v93, 0x70, v14
	v_cmp_gt_u32_e64 s16, 0x71, v14
	v_or_b32_e32 v94, 0x800000, v92
	v_cndmask_b32_e64 v93, 0, v93, s16
	v_cmp_eq_u32_e64 s16, 0, v14
	v_add_nc_u32_e32 v14, 0xffffff91, v14
	v_cndmask_b32_e64 v93, v93, 0x6f, s16
	v_cndmask_b32_e64 v92, v94, v92, s16
	;; [unrolled: 1-line block ×3, first 2 shown]
	v_lshl_add_u32 v94, 0x200000, v93, -1
	v_lshrrev_b32_e32 v95, v93, v92
	v_lshlrev_b32_e64 v105, v93, 0x100000
	v_add_nc_u32_e32 v93, v93, v14
	v_and_b32_e32 v92, v94, v92
	v_bfe_u32 v104, v95, 21, 1
	v_cmp_eq_u32_e64 s17, v92, v105
	v_add_nc_u32_e32 v94, -1, v104
	v_cndmask_b32_e64 v92, 0, v94, s17
	v_lshrrev_b32_e32 v94, 23, v95
	s_mov_b32 s17, exec_lo
	v_add_nc_u32_e32 v92, v92, v95
	v_xor_b32_e32 v94, 1, v94
	v_and_b32_e32 v14, 0x1fffff, v92
	v_add_nc_u32_e32 v92, v14, v95
                                        ; implicit-def: $vgpr14
	v_cmpx_ne_u32_e64 v93, v94
	s_xor_b32 s17, exec_lo, s17
; %bb.998:                              ;   in Loop: Header=BB2_743 Depth=4
	v_cmp_lt_u32_e64 s16, 0xffffff, v92
	v_sub_nc_u32_e32 v14, v93, v94
	v_cndmask_b32_e64 v93, 0, 1, s16
	v_add_co_ci_u32_e64 v14, null, 0, v14, s16
	v_lshrrev_b32_e32 v92, v93, v92
; %bb.999:                              ;   in Loop: Header=BB2_743 Depth=4
	s_andn2_saveexec_b32 s16, s17
; %bb.1000:                             ;   in Loop: Header=BB2_743 Depth=4
	v_bfe_u32 v14, v92, 23, 1
; %bb.1001:                             ;   in Loop: Header=BB2_743 Depth=4
	s_or_b32 exec_lo, exec_lo, s16
	v_lshrrev_b32_e32 v92, 21, v92
	v_min_i32_e32 v93, 31, v14
	v_cmp_gt_i32_e64 s16, 32, v14
	v_and_b32_sdwa v91, v91, v101 dst_sel:DWORD dst_unused:UNUSED_PAD src0_sel:BYTE_3 src1_sel:DWORD
	v_lshlrev_b32_e32 v93, 2, v93
	v_cndmask_b32_e64 v92, 3, v92, s16
	v_and_b32_e32 v93, 0xfc, v93
	v_and_b32_e32 v94, 3, v92
	v_or_b32_e32 v14, v14, v92
	v_or3_b32 v91, v93, v91, v94
	v_cmp_ne_u32_e64 s16, 0, v14
	v_cndmask_b32_e64 v14, 0, v91, s16
.LBB2_1002:                             ;   in Loop: Header=BB2_743 Depth=4
	s_or_b32 exec_lo, exec_lo, s73
.LBB2_1003:                             ;   in Loop: Header=BB2_743 Depth=4
	s_or_b32 exec_lo, exec_lo, s72
	v_cmp_gt_i16_sdwa s17, v15, v100 src0_sel:BYTE_1 src1_sel:DWORD
	s_mov_b32 s16, 0
	s_and_saveexec_b32 s72, s17
	s_xor_b32 s17, exec_lo, s72
	s_cbranch_execz .LBB2_1113
; %bb.1004:                             ;   in Loop: Header=BB2_743 Depth=4
	v_cmp_eq_u16_sdwa s73, v15, v101 src0_sel:BYTE_1 src1_sel:DWORD
	s_mov_b32 s16, -1
	s_and_saveexec_b32 s72, s73
; %bb.1005:                             ;   in Loop: Header=BB2_743 Depth=4
	s_xor_b32 s16, exec_lo, -1
; %bb.1006:                             ;   in Loop: Header=BB2_743 Depth=4
	s_or_b32 exec_lo, exec_lo, s72
	s_and_b32 s16, s16, exec_lo
	s_or_saveexec_b32 s17, s17
	v_mov_b32_e32 v91, 0x7f800001
	s_xor_b32 exec_lo, exec_lo, s17
	s_cbranch_execnz .LBB2_1114
.LBB2_1007:                             ;   in Loop: Header=BB2_743 Depth=4
	s_or_b32 exec_lo, exec_lo, s17
	s_and_saveexec_b32 s17, s16
	s_cbranch_execz .LBB2_1009
.LBB2_1008:                             ;   in Loop: Header=BB2_743 Depth=4
	v_and_b32_sdwa v91, v102, v15 dst_sel:DWORD dst_unused:UNUSED_PAD src0_sel:DWORD src1_sel:BYTE_1
	v_and_b32_e32 v92, 3, v91
	v_bfe_u32 v95, v91, 2, 5
	v_ffbh_u32_e32 v93, v92
	v_cmp_eq_u32_e64 s16, 0, v95
	v_min_u32_e32 v93, 32, v93
	v_subrev_nc_u32_e32 v94, 29, v93
	v_sub_nc_u32_e32 v93, 30, v93
	v_lshlrev_b32_e32 v91, v94, v91
	v_lshlrev_b32_sdwa v94, v103, v15 dst_sel:DWORD dst_unused:UNUSED_PAD src0_sel:DWORD src1_sel:BYTE_1
	v_cndmask_b32_e64 v93, v95, v93, s16
	v_and_b32_e32 v91, 3, v91
	v_lshl_add_u32 v93, v93, 23, 0x37800000
	v_cndmask_b32_e64 v91, v92, v91, s16
	v_and_b32_e32 v92, 0x80000000, v94
	v_lshlrev_b32_e32 v91, 21, v91
	v_or3_b32 v91, v92, v93, v91
.LBB2_1009:                             ;   in Loop: Header=BB2_743 Depth=4
	s_or_b32 exec_lo, exec_lo, s17
	v_cmp_gt_i16_sdwa s17, v11, v100 src0_sel:BYTE_1 src1_sel:DWORD
	s_mov_b32 s16, 0
	s_and_saveexec_b32 s72, s17
	s_xor_b32 s17, exec_lo, s72
	s_cbranch_execz .LBB2_1115
; %bb.1010:                             ;   in Loop: Header=BB2_743 Depth=4
	v_cmp_eq_u16_sdwa s73, v11, v101 src0_sel:BYTE_1 src1_sel:DWORD
	s_mov_b32 s16, -1
	s_and_saveexec_b32 s72, s73
; %bb.1011:                             ;   in Loop: Header=BB2_743 Depth=4
	s_xor_b32 s16, exec_lo, -1
; %bb.1012:                             ;   in Loop: Header=BB2_743 Depth=4
	s_or_b32 exec_lo, exec_lo, s72
	s_and_b32 s16, s16, exec_lo
	s_or_saveexec_b32 s17, s17
	v_mov_b32_e32 v92, 0x7f800001
	s_xor_b32 exec_lo, exec_lo, s17
	s_cbranch_execnz .LBB2_1116
.LBB2_1013:                             ;   in Loop: Header=BB2_743 Depth=4
	s_or_b32 exec_lo, exec_lo, s17
	s_and_saveexec_b32 s17, s16
	s_cbranch_execz .LBB2_1015
.LBB2_1014:                             ;   in Loop: Header=BB2_743 Depth=4
	v_and_b32_sdwa v92, v102, v11 dst_sel:DWORD dst_unused:UNUSED_PAD src0_sel:DWORD src1_sel:BYTE_1
	v_and_b32_e32 v93, 3, v92
	v_bfe_u32 v104, v92, 2, 5
	v_ffbh_u32_e32 v94, v93
	v_cmp_eq_u32_e64 s16, 0, v104
	v_min_u32_e32 v94, 32, v94
	v_subrev_nc_u32_e32 v95, 29, v94
	v_sub_nc_u32_e32 v94, 30, v94
	v_lshlrev_b32_e32 v92, v95, v92
	v_lshlrev_b32_sdwa v95, v103, v11 dst_sel:DWORD dst_unused:UNUSED_PAD src0_sel:DWORD src1_sel:BYTE_1
	v_cndmask_b32_e64 v94, v104, v94, s16
	v_and_b32_e32 v92, 3, v92
	v_lshl_add_u32 v94, v94, 23, 0x37800000
	v_cndmask_b32_e64 v92, v93, v92, s16
	v_and_b32_e32 v93, 0x80000000, v95
	v_lshlrev_b32_e32 v92, 21, v92
	v_or3_b32 v92, v93, v94, v92
.LBB2_1015:                             ;   in Loop: Header=BB2_743 Depth=4
	s_or_b32 exec_lo, exec_lo, s17
	v_mul_f32_e32 v92, v91, v92
	v_and_b32_e32 v91, 0x7f800000, v92
	v_cmp_ne_u32_e64 s16, 0x7f800000, v91
	v_mov_b32_e32 v91, 0x8000
	s_and_saveexec_b32 s72, s16
	s_cbranch_execz .LBB2_1023
; %bb.1016:                             ;   in Loop: Header=BB2_743 Depth=4
	v_mov_b32_e32 v91, 0
	s_mov_b32 s73, exec_lo
	v_cmpx_ne_u32_e32 0, v92
	s_cbranch_execz .LBB2_1022
; %bb.1017:                             ;   in Loop: Header=BB2_743 Depth=4
	v_bfe_u32 v91, v92, 23, 8
	v_and_b32_e32 v93, 0x7fffff, v92
	v_sub_nc_u32_e32 v94, 0x70, v91
	v_cmp_gt_u32_e64 s16, 0x71, v91
	v_or_b32_e32 v95, 0x800000, v93
	v_cndmask_b32_e64 v94, 0, v94, s16
	v_cmp_eq_u32_e64 s16, 0, v91
	v_add_nc_u32_e32 v91, 0xffffff91, v91
	v_cndmask_b32_e64 v94, v94, 0x6f, s16
	v_cndmask_b32_e64 v93, v95, v93, s16
	;; [unrolled: 1-line block ×3, first 2 shown]
	v_lshl_add_u32 v95, 0x200000, v94, -1
	v_lshrrev_b32_e32 v104, v94, v93
	v_lshlrev_b32_e64 v106, v94, 0x100000
	v_add_nc_u32_e32 v94, v94, v91
	v_and_b32_e32 v93, v95, v93
	v_bfe_u32 v105, v104, 21, 1
	v_cmp_eq_u32_e64 s17, v93, v106
	v_add_nc_u32_e32 v95, -1, v105
	v_cndmask_b32_e64 v93, 0, v95, s17
	v_lshrrev_b32_e32 v95, 23, v104
	s_mov_b32 s17, exec_lo
	v_add_nc_u32_e32 v93, v93, v104
	v_xor_b32_e32 v95, 1, v95
	v_and_b32_e32 v91, 0x1fffff, v93
	v_add_nc_u32_e32 v93, v91, v104
                                        ; implicit-def: $vgpr91
	v_cmpx_ne_u32_e64 v94, v95
	s_xor_b32 s17, exec_lo, s17
; %bb.1018:                             ;   in Loop: Header=BB2_743 Depth=4
	v_cmp_lt_u32_e64 s16, 0xffffff, v93
	v_sub_nc_u32_e32 v91, v94, v95
	v_cndmask_b32_e64 v94, 0, 1, s16
	v_add_co_ci_u32_e64 v91, null, 0, v91, s16
	v_lshrrev_b32_e32 v93, v94, v93
; %bb.1019:                             ;   in Loop: Header=BB2_743 Depth=4
	s_andn2_saveexec_b32 s16, s17
; %bb.1020:                             ;   in Loop: Header=BB2_743 Depth=4
	v_bfe_u32 v91, v93, 23, 1
; %bb.1021:                             ;   in Loop: Header=BB2_743 Depth=4
	s_or_b32 exec_lo, exec_lo, s16
	v_lshrrev_b32_e32 v93, 21, v93
	v_min_i32_e32 v94, 31, v91
	v_cmp_gt_i32_e64 s16, 32, v91
	v_and_b32_sdwa v92, v92, v101 dst_sel:DWORD dst_unused:UNUSED_PAD src0_sel:BYTE_3 src1_sel:DWORD
	v_lshlrev_b32_e32 v94, 2, v94
	v_cndmask_b32_e64 v93, 3, v93, s16
	v_and_b32_e32 v94, 0xfc, v94
	v_and_b32_e32 v95, 3, v93
	v_or_b32_e32 v91, v91, v93
	v_or3_b32 v92, v92, v94, v95
	v_cmp_ne_u32_e64 s16, 0, v91
	v_lshlrev_b32_e32 v92, 8, v92
	v_cndmask_b32_e64 v91, 0, v92, s16
.LBB2_1022:                             ;   in Loop: Header=BB2_743 Depth=4
	s_or_b32 exec_lo, exec_lo, s73
.LBB2_1023:                             ;   in Loop: Header=BB2_743 Depth=4
	s_or_b32 exec_lo, exec_lo, s72
	v_and_b32_sdwa v93, v15, v112 dst_sel:DWORD dst_unused:UNUSED_PAD src0_sel:WORD_1 src1_sel:DWORD
	s_mov_b32 s17, 0
	s_mov_b32 s72, exec_lo
	v_cmpx_lt_i16_e32 0x7f, v93
	s_xor_b32 s72, exec_lo, s72
	s_cbranch_execz .LBB2_1117
; %bb.1024:                             ;   in Loop: Header=BB2_743 Depth=4
	s_mov_b32 s17, -1
	s_mov_b32 s73, exec_lo
	v_cmpx_eq_u16_e32 0x80, v93
; %bb.1025:                             ;   in Loop: Header=BB2_743 Depth=4
	s_xor_b32 s17, exec_lo, -1
; %bb.1026:                             ;   in Loop: Header=BB2_743 Depth=4
	s_or_b32 exec_lo, exec_lo, s73
	s_and_b32 s17, s17, exec_lo
                                        ; implicit-def: $vgpr93
	s_or_saveexec_b32 s72, s72
	v_mov_b32_e32 v92, 0x7f800001
	s_xor_b32 exec_lo, exec_lo, s72
	s_cbranch_execnz .LBB2_1118
.LBB2_1027:                             ;   in Loop: Header=BB2_743 Depth=4
	s_or_b32 exec_lo, exec_lo, s72
	s_and_saveexec_b32 s72, s17
	s_cbranch_execz .LBB2_1029
.LBB2_1028:                             ;   in Loop: Header=BB2_743 Depth=4
	v_bfe_u32 v92, v15, 16, 2
	v_bfe_u32 v95, v15, 18, 5
	v_lshlrev_b32_e32 v104, 8, v15
	v_ffbh_u32_e32 v93, v92
	v_cmp_eq_u32_e64 s16, 0, v95
	v_min_u32_e32 v93, 32, v93
	v_subrev_nc_u32_e32 v94, 29, v93
	v_sub_nc_u32_e32 v93, 30, v93
	v_lshlrev_b32_sdwa v94, v94, v15 dst_sel:DWORD dst_unused:UNUSED_PAD src0_sel:DWORD src1_sel:WORD_1
	v_cndmask_b32_e64 v93, v95, v93, s16
	v_and_b32_e32 v94, 3, v94
	v_lshl_add_u32 v93, v93, 23, 0x37800000
	v_cndmask_b32_e64 v92, v92, v94, s16
	v_and_b32_e32 v94, 0x80000000, v104
	v_lshlrev_b32_e32 v92, 21, v92
	v_or3_b32 v92, v94, v93, v92
.LBB2_1029:                             ;   in Loop: Header=BB2_743 Depth=4
	s_or_b32 exec_lo, exec_lo, s72
	v_and_b32_sdwa v94, v11, v112 dst_sel:DWORD dst_unused:UNUSED_PAD src0_sel:WORD_1 src1_sel:DWORD
	s_mov_b32 s17, 0
	s_mov_b32 s72, exec_lo
	v_cmpx_lt_i16_e32 0x7f, v94
	s_xor_b32 s72, exec_lo, s72
	s_cbranch_execz .LBB2_1119
; %bb.1030:                             ;   in Loop: Header=BB2_743 Depth=4
	s_mov_b32 s17, -1
	s_mov_b32 s73, exec_lo
	v_cmpx_eq_u16_e32 0x80, v94
; %bb.1031:                             ;   in Loop: Header=BB2_743 Depth=4
	s_xor_b32 s17, exec_lo, -1
; %bb.1032:                             ;   in Loop: Header=BB2_743 Depth=4
	s_or_b32 exec_lo, exec_lo, s73
	s_and_b32 s17, s17, exec_lo
                                        ; implicit-def: $vgpr94
	s_or_saveexec_b32 s72, s72
	v_mov_b32_e32 v93, 0x7f800001
	s_xor_b32 exec_lo, exec_lo, s72
	s_cbranch_execnz .LBB2_1120
.LBB2_1033:                             ;   in Loop: Header=BB2_743 Depth=4
	s_or_b32 exec_lo, exec_lo, s72
	s_and_saveexec_b32 s72, s17
	s_cbranch_execz .LBB2_1035
.LBB2_1034:                             ;   in Loop: Header=BB2_743 Depth=4
	v_and_b32_sdwa v93, v11, v113 dst_sel:DWORD dst_unused:UNUSED_PAD src0_sel:WORD_1 src1_sel:DWORD
	v_bfe_u32 v104, v11, 18, 5
	v_lshlrev_b32_sdwa v105, v103, v11 dst_sel:DWORD dst_unused:UNUSED_PAD src0_sel:DWORD src1_sel:WORD_1
	v_ffbh_u32_e32 v94, v93
	v_cmp_eq_u32_e64 s16, 0, v104
	v_min_u32_e32 v94, 32, v94
	v_subrev_nc_u32_e32 v95, 29, v94
	v_sub_nc_u32_e32 v94, 30, v94
	v_lshlrev_b32_sdwa v95, v95, v11 dst_sel:DWORD dst_unused:UNUSED_PAD src0_sel:DWORD src1_sel:WORD_1
	v_cndmask_b32_e64 v94, v104, v94, s16
	v_and_b32_e32 v95, 3, v95
	v_lshl_add_u32 v94, v94, 23, 0x37800000
	v_cndmask_b32_e64 v93, v93, v95, s16
	v_and_b32_e32 v95, 0x80000000, v105
	v_lshlrev_b32_e32 v93, 21, v93
	v_or3_b32 v93, v95, v94, v93
.LBB2_1035:                             ;   in Loop: Header=BB2_743 Depth=4
	s_or_b32 exec_lo, exec_lo, s72
	v_mul_f32_e32 v93, v92, v93
	v_and_b32_e32 v92, 0x7f800000, v93
	v_cmp_ne_u32_e64 s16, 0x7f800000, v92
	v_mov_b32_e32 v92, 0x80
	s_and_saveexec_b32 s72, s16
	s_cbranch_execz .LBB2_1043
; %bb.1036:                             ;   in Loop: Header=BB2_743 Depth=4
	v_mov_b32_e32 v92, 0
	s_mov_b32 s73, exec_lo
	v_cmpx_ne_u32_e32 0, v93
	s_cbranch_execz .LBB2_1042
; %bb.1037:                             ;   in Loop: Header=BB2_743 Depth=4
	v_bfe_u32 v92, v93, 23, 8
	v_and_b32_e32 v94, 0x7fffff, v93
	v_sub_nc_u32_e32 v95, 0x70, v92
	v_cmp_gt_u32_e64 s16, 0x71, v92
	v_or_b32_e32 v104, 0x800000, v94
	v_cndmask_b32_e64 v95, 0, v95, s16
	v_cmp_eq_u32_e64 s16, 0, v92
	v_add_nc_u32_e32 v92, 0xffffff91, v92
	v_cndmask_b32_e64 v95, v95, 0x6f, s16
	v_cndmask_b32_e64 v94, v104, v94, s16
	;; [unrolled: 1-line block ×3, first 2 shown]
	v_lshl_add_u32 v104, 0x200000, v95, -1
	v_lshrrev_b32_e32 v105, v95, v94
	v_lshlrev_b32_e64 v107, v95, 0x100000
	v_add_nc_u32_e32 v95, v95, v92
	v_and_b32_e32 v94, v104, v94
	v_bfe_u32 v106, v105, 21, 1
	v_cmp_eq_u32_e64 s17, v94, v107
	v_add_nc_u32_e32 v104, -1, v106
	v_cndmask_b32_e64 v94, 0, v104, s17
	v_lshrrev_b32_e32 v104, 23, v105
	s_mov_b32 s17, exec_lo
	v_add_nc_u32_e32 v94, v94, v105
	v_xor_b32_e32 v104, 1, v104
	v_and_b32_e32 v92, 0x1fffff, v94
	v_add_nc_u32_e32 v94, v92, v105
                                        ; implicit-def: $vgpr92
	v_cmpx_ne_u32_e64 v95, v104
	s_xor_b32 s17, exec_lo, s17
; %bb.1038:                             ;   in Loop: Header=BB2_743 Depth=4
	v_cmp_lt_u32_e64 s16, 0xffffff, v94
	v_sub_nc_u32_e32 v92, v95, v104
	v_cndmask_b32_e64 v95, 0, 1, s16
	v_add_co_ci_u32_e64 v92, null, 0, v92, s16
	v_lshrrev_b32_e32 v94, v95, v94
; %bb.1039:                             ;   in Loop: Header=BB2_743 Depth=4
	s_andn2_saveexec_b32 s16, s17
; %bb.1040:                             ;   in Loop: Header=BB2_743 Depth=4
	v_bfe_u32 v92, v94, 23, 1
; %bb.1041:                             ;   in Loop: Header=BB2_743 Depth=4
	s_or_b32 exec_lo, exec_lo, s16
	v_lshrrev_b32_e32 v94, 21, v94
	v_min_i32_e32 v95, 31, v92
	v_cmp_gt_i32_e64 s16, 32, v92
	v_and_b32_sdwa v93, v93, v101 dst_sel:DWORD dst_unused:UNUSED_PAD src0_sel:BYTE_3 src1_sel:DWORD
	v_lshlrev_b32_e32 v95, 2, v95
	v_cndmask_b32_e64 v94, 3, v94, s16
	v_and_b32_e32 v95, 0xfc, v95
	v_and_b32_e32 v104, 3, v94
	v_or_b32_e32 v92, v92, v94
	v_or3_b32 v93, v95, v93, v104
	v_cmp_ne_u32_e64 s16, 0, v92
	v_cndmask_b32_e64 v92, 0, v93, s16
.LBB2_1042:                             ;   in Loop: Header=BB2_743 Depth=4
	s_or_b32 exec_lo, exec_lo, s73
.LBB2_1043:                             ;   in Loop: Header=BB2_743 Depth=4
	s_or_b32 exec_lo, exec_lo, s72
	v_cmp_gt_i16_sdwa s17, v15, v100 src0_sel:BYTE_3 src1_sel:DWORD
	s_mov_b32 s16, 0
	s_and_saveexec_b32 s72, s17
	s_xor_b32 s17, exec_lo, s72
	s_cbranch_execz .LBB2_1121
; %bb.1044:                             ;   in Loop: Header=BB2_743 Depth=4
	v_cmp_eq_u16_sdwa s73, v15, v101 src0_sel:BYTE_3 src1_sel:DWORD
	s_mov_b32 s16, -1
	s_and_saveexec_b32 s72, s73
; %bb.1045:                             ;   in Loop: Header=BB2_743 Depth=4
	s_xor_b32 s16, exec_lo, -1
; %bb.1046:                             ;   in Loop: Header=BB2_743 Depth=4
	s_or_b32 exec_lo, exec_lo, s72
	s_and_b32 s16, s16, exec_lo
	s_or_saveexec_b32 s17, s17
	v_mov_b32_e32 v93, 0x7f800001
	s_xor_b32 exec_lo, exec_lo, s17
	s_cbranch_execnz .LBB2_1122
.LBB2_1047:                             ;   in Loop: Header=BB2_743 Depth=4
	s_or_b32 exec_lo, exec_lo, s17
	s_and_saveexec_b32 s17, s16
	s_cbranch_execz .LBB2_1049
.LBB2_1048:                             ;   in Loop: Header=BB2_743 Depth=4
	v_bfe_u32 v93, v15, 24, 2
	v_bfe_u32 v104, v15, 26, 5
	v_ffbh_u32_e32 v94, v93
	v_cmp_eq_u32_e64 s16, 0, v104
	v_min_u32_e32 v94, 32, v94
	v_subrev_nc_u32_e32 v95, 29, v94
	v_sub_nc_u32_e32 v94, 30, v94
	v_lshlrev_b32_sdwa v95, v95, v15 dst_sel:DWORD dst_unused:UNUSED_PAD src0_sel:DWORD src1_sel:BYTE_3
	v_cndmask_b32_e64 v94, v104, v94, s16
	v_and_b32_e32 v15, 0x80000000, v15
	v_and_b32_e32 v95, 3, v95
	v_lshl_add_u32 v94, v94, 23, 0x37800000
	v_cndmask_b32_e64 v93, v93, v95, s16
	v_lshlrev_b32_e32 v93, 21, v93
	v_or3_b32 v93, v15, v94, v93
.LBB2_1049:                             ;   in Loop: Header=BB2_743 Depth=4
	s_or_b32 exec_lo, exec_lo, s17
	v_cmp_gt_i16_sdwa s17, v11, v100 src0_sel:BYTE_3 src1_sel:DWORD
	s_mov_b32 s16, 0
	s_and_saveexec_b32 s72, s17
	s_xor_b32 s17, exec_lo, s72
	s_cbranch_execz .LBB2_1123
; %bb.1050:                             ;   in Loop: Header=BB2_743 Depth=4
	v_cmp_eq_u16_sdwa s73, v11, v101 src0_sel:BYTE_3 src1_sel:DWORD
	s_mov_b32 s16, -1
	s_and_saveexec_b32 s72, s73
; %bb.1051:                             ;   in Loop: Header=BB2_743 Depth=4
	s_xor_b32 s16, exec_lo, -1
; %bb.1052:                             ;   in Loop: Header=BB2_743 Depth=4
	s_or_b32 exec_lo, exec_lo, s72
	s_and_b32 s16, s16, exec_lo
	s_or_saveexec_b32 s17, s17
	v_mov_b32_e32 v15, 0x7f800001
	s_xor_b32 exec_lo, exec_lo, s17
	s_cbranch_execnz .LBB2_1124
.LBB2_1053:                             ;   in Loop: Header=BB2_743 Depth=4
	s_or_b32 exec_lo, exec_lo, s17
	s_and_saveexec_b32 s17, s16
	s_cbranch_execz .LBB2_1055
.LBB2_1054:                             ;   in Loop: Header=BB2_743 Depth=4
	v_and_b32_sdwa v15, v11, v113 dst_sel:DWORD dst_unused:UNUSED_PAD src0_sel:BYTE_3 src1_sel:DWORD
	v_bfe_u32 v104, v11, 26, 5
	v_ffbh_u32_e32 v94, v15
	v_cmp_eq_u32_e64 s16, 0, v104
	v_min_u32_e32 v94, 32, v94
	v_subrev_nc_u32_e32 v95, 29, v94
	v_sub_nc_u32_e32 v94, 30, v94
	v_lshlrev_b32_sdwa v95, v95, v11 dst_sel:DWORD dst_unused:UNUSED_PAD src0_sel:DWORD src1_sel:BYTE_3
	v_cndmask_b32_e64 v94, v104, v94, s16
	v_and_b32_e32 v11, 0x80000000, v11
	v_and_b32_e32 v95, 3, v95
	v_lshl_add_u32 v94, v94, 23, 0x37800000
	v_cndmask_b32_e64 v15, v15, v95, s16
	v_lshlrev_b32_e32 v15, 21, v15
	v_or3_b32 v15, v11, v94, v15
.LBB2_1055:                             ;   in Loop: Header=BB2_743 Depth=4
	s_or_b32 exec_lo, exec_lo, s17
	v_mul_f32_e32 v11, v93, v15
	v_and_b32_e32 v15, 0x7f800000, v11
	v_cmp_ne_u32_e64 s16, 0x7f800000, v15
	v_mov_b32_e32 v15, 0x8000
	s_and_saveexec_b32 s72, s16
	s_cbranch_execz .LBB2_742
; %bb.1056:                             ;   in Loop: Header=BB2_743 Depth=4
	v_mov_b32_e32 v15, 0
	s_mov_b32 s73, exec_lo
	v_cmpx_ne_u32_e32 0, v11
	s_cbranch_execz .LBB2_741
; %bb.1057:                             ;   in Loop: Header=BB2_743 Depth=4
	v_bfe_u32 v15, v11, 23, 8
	v_and_b32_e32 v93, 0x7fffff, v11
	v_sub_nc_u32_e32 v94, 0x70, v15
	v_cmp_gt_u32_e64 s16, 0x71, v15
	v_or_b32_e32 v95, 0x800000, v93
	v_cndmask_b32_e64 v94, 0, v94, s16
	v_cmp_eq_u32_e64 s16, 0, v15
	v_add_nc_u32_e32 v15, 0xffffff91, v15
	v_cndmask_b32_e64 v94, v94, 0x6f, s16
	v_cndmask_b32_e64 v93, v95, v93, s16
	;; [unrolled: 1-line block ×3, first 2 shown]
	v_lshl_add_u32 v95, 0x200000, v94, -1
	v_lshrrev_b32_e32 v104, v94, v93
	v_lshlrev_b32_e64 v106, v94, 0x100000
	v_add_nc_u32_e32 v94, v94, v15
	v_and_b32_e32 v93, v95, v93
	v_bfe_u32 v105, v104, 21, 1
	v_cmp_eq_u32_e64 s17, v93, v106
	v_add_nc_u32_e32 v95, -1, v105
	v_cndmask_b32_e64 v93, 0, v95, s17
	v_lshrrev_b32_e32 v95, 23, v104
	s_mov_b32 s17, exec_lo
	v_add_nc_u32_e32 v93, v93, v104
	v_xor_b32_e32 v95, 1, v95
	v_and_b32_e32 v15, 0x1fffff, v93
	v_add_nc_u32_e32 v93, v15, v104
                                        ; implicit-def: $vgpr15
	v_cmpx_ne_u32_e64 v94, v95
	s_xor_b32 s17, exec_lo, s17
; %bb.1058:                             ;   in Loop: Header=BB2_743 Depth=4
	v_cmp_lt_u32_e64 s16, 0xffffff, v93
	v_sub_nc_u32_e32 v15, v94, v95
	v_cndmask_b32_e64 v94, 0, 1, s16
	v_add_co_ci_u32_e64 v15, null, 0, v15, s16
	v_lshrrev_b32_e32 v93, v94, v93
; %bb.1059:                             ;   in Loop: Header=BB2_743 Depth=4
	s_andn2_saveexec_b32 s16, s17
	s_cbranch_execz .LBB2_740
; %bb.1060:                             ;   in Loop: Header=BB2_743 Depth=4
	v_bfe_u32 v15, v93, 23, 1
	s_branch .LBB2_740
.LBB2_1061:                             ;   in Loop: Header=BB2_743 Depth=4
	s_or_saveexec_b32 s17, s17
	v_mov_b32_e32 v76, 0x7f800001
	s_xor_b32 exec_lo, exec_lo, s17
	s_cbranch_execz .LBB2_747
.LBB2_1062:                             ;   in Loop: Header=BB2_743 Depth=4
	v_cmp_ne_u16_sdwa s72, v12, v2 src0_sel:BYTE_0 src1_sel:DWORD
	v_mov_b32_e32 v76, 0
	s_andn2_b32 s16, s16, exec_lo
	s_and_b32 s72, s72, exec_lo
	s_or_b32 s16, s16, s72
	s_or_b32 exec_lo, exec_lo, s17
	s_and_saveexec_b32 s17, s16
	s_cbranch_execnz .LBB2_748
	s_branch .LBB2_749
.LBB2_1063:                             ;   in Loop: Header=BB2_743 Depth=4
	s_or_saveexec_b32 s17, s17
	v_mov_b32_e32 v77, 0x7f800001
	s_xor_b32 exec_lo, exec_lo, s17
	s_cbranch_execz .LBB2_753
.LBB2_1064:                             ;   in Loop: Header=BB2_743 Depth=4
	v_cmp_ne_u16_sdwa s72, v8, v2 src0_sel:BYTE_0 src1_sel:DWORD
	v_mov_b32_e32 v77, 0
	s_andn2_b32 s16, s16, exec_lo
	s_and_b32 s72, s72, exec_lo
	s_or_b32 s16, s16, s72
	s_or_b32 exec_lo, exec_lo, s17
	s_and_saveexec_b32 s17, s16
	s_cbranch_execnz .LBB2_754
	s_branch .LBB2_755
.LBB2_1065:                             ;   in Loop: Header=BB2_743 Depth=4
	s_or_saveexec_b32 s17, s17
	v_mov_b32_e32 v77, 0x7f800001
	s_xor_b32 exec_lo, exec_lo, s17
	s_cbranch_execz .LBB2_767
.LBB2_1066:                             ;   in Loop: Header=BB2_743 Depth=4
	v_cmp_ne_u16_sdwa s72, v12, v2 src0_sel:BYTE_1 src1_sel:DWORD
	v_mov_b32_e32 v77, 0
	s_andn2_b32 s16, s16, exec_lo
	s_and_b32 s72, s72, exec_lo
	s_or_b32 s16, s16, s72
	s_or_b32 exec_lo, exec_lo, s17
	s_and_saveexec_b32 s17, s16
	s_cbranch_execnz .LBB2_768
	s_branch .LBB2_769
.LBB2_1067:                             ;   in Loop: Header=BB2_743 Depth=4
	s_or_saveexec_b32 s17, s17
	v_mov_b32_e32 v78, 0x7f800001
	s_xor_b32 exec_lo, exec_lo, s17
	s_cbranch_execz .LBB2_773
.LBB2_1068:                             ;   in Loop: Header=BB2_743 Depth=4
	v_cmp_ne_u16_sdwa s72, v8, v2 src0_sel:BYTE_1 src1_sel:DWORD
	v_mov_b32_e32 v78, 0
	s_andn2_b32 s16, s16, exec_lo
	s_and_b32 s72, s72, exec_lo
	s_or_b32 s16, s16, s72
	s_or_b32 exec_lo, exec_lo, s17
	s_and_saveexec_b32 s17, s16
	s_cbranch_execnz .LBB2_774
	s_branch .LBB2_775
.LBB2_1069:                             ;   in Loop: Header=BB2_743 Depth=4
	s_or_saveexec_b32 s72, s72
	v_mov_b32_e32 v78, 0x7f800001
	s_xor_b32 exec_lo, exec_lo, s72
	s_cbranch_execz .LBB2_787
.LBB2_1070:                             ;   in Loop: Header=BB2_743 Depth=4
	v_cmp_ne_u16_e64 s16, 0, v79
	v_mov_b32_e32 v78, 0
	s_andn2_b32 s17, s17, exec_lo
	s_and_b32 s16, s16, exec_lo
	s_or_b32 s17, s17, s16
	s_or_b32 exec_lo, exec_lo, s72
	s_and_saveexec_b32 s72, s17
	s_cbranch_execnz .LBB2_788
	s_branch .LBB2_789
.LBB2_1071:                             ;   in Loop: Header=BB2_743 Depth=4
	s_or_saveexec_b32 s72, s72
	v_mov_b32_e32 v79, 0x7f800001
	s_xor_b32 exec_lo, exec_lo, s72
	s_cbranch_execz .LBB2_793
.LBB2_1072:                             ;   in Loop: Header=BB2_743 Depth=4
	v_cmp_ne_u16_e64 s16, 0, v88
	v_mov_b32_e32 v79, 0
	s_andn2_b32 s17, s17, exec_lo
	s_and_b32 s16, s16, exec_lo
	s_or_b32 s17, s17, s16
	s_or_b32 exec_lo, exec_lo, s72
	s_and_saveexec_b32 s72, s17
	s_cbranch_execnz .LBB2_794
	s_branch .LBB2_795
.LBB2_1073:                             ;   in Loop: Header=BB2_743 Depth=4
	s_or_saveexec_b32 s17, s17
	v_mov_b32_e32 v79, 0x7f800001
	s_xor_b32 exec_lo, exec_lo, s17
	s_cbranch_execz .LBB2_807
.LBB2_1074:                             ;   in Loop: Header=BB2_743 Depth=4
	v_cmp_ne_u16_sdwa s72, v12, v2 src0_sel:BYTE_3 src1_sel:DWORD
	v_mov_b32_e32 v79, 0
	s_andn2_b32 s16, s16, exec_lo
	s_and_b32 s72, s72, exec_lo
	s_or_b32 s16, s16, s72
	s_or_b32 exec_lo, exec_lo, s17
	s_and_saveexec_b32 s17, s16
	s_cbranch_execnz .LBB2_808
	s_branch .LBB2_809
.LBB2_1075:                             ;   in Loop: Header=BB2_743 Depth=4
	s_or_saveexec_b32 s17, s17
	v_mov_b32_e32 v12, 0x7f800001
	s_xor_b32 exec_lo, exec_lo, s17
	s_cbranch_execz .LBB2_813
.LBB2_1076:                             ;   in Loop: Header=BB2_743 Depth=4
	v_cmp_ne_u16_sdwa s72, v8, v2 src0_sel:BYTE_3 src1_sel:DWORD
	v_mov_b32_e32 v12, 0
	s_andn2_b32 s16, s16, exec_lo
	s_and_b32 s72, s72, exec_lo
	s_or_b32 s16, s16, s72
	s_or_b32 exec_lo, exec_lo, s17
	s_and_saveexec_b32 s17, s16
	s_cbranch_execnz .LBB2_814
	s_branch .LBB2_815
.LBB2_1077:                             ;   in Loop: Header=BB2_743 Depth=4
	s_or_saveexec_b32 s17, s17
	v_mov_b32_e32 v12, 0x7f800001
	s_xor_b32 exec_lo, exec_lo, s17
	s_cbranch_execz .LBB2_827
.LBB2_1078:                             ;   in Loop: Header=BB2_743 Depth=4
	v_cmp_ne_u16_sdwa s72, v13, v2 src0_sel:BYTE_0 src1_sel:DWORD
	v_mov_b32_e32 v12, 0
	s_andn2_b32 s16, s16, exec_lo
	s_and_b32 s72, s72, exec_lo
	s_or_b32 s16, s16, s72
	s_or_b32 exec_lo, exec_lo, s17
	s_and_saveexec_b32 s17, s16
	s_cbranch_execnz .LBB2_828
	s_branch .LBB2_829
.LBB2_1079:                             ;   in Loop: Header=BB2_743 Depth=4
	s_or_saveexec_b32 s17, s17
	v_mov_b32_e32 v79, 0x7f800001
	s_xor_b32 exec_lo, exec_lo, s17
	s_cbranch_execz .LBB2_833
.LBB2_1080:                             ;   in Loop: Header=BB2_743 Depth=4
	v_cmp_ne_u16_sdwa s72, v9, v2 src0_sel:BYTE_0 src1_sel:DWORD
	v_mov_b32_e32 v79, 0
	s_andn2_b32 s16, s16, exec_lo
	s_and_b32 s72, s72, exec_lo
	s_or_b32 s16, s16, s72
	s_or_b32 exec_lo, exec_lo, s17
	s_and_saveexec_b32 s17, s16
	s_cbranch_execnz .LBB2_834
	s_branch .LBB2_835
.LBB2_1081:                             ;   in Loop: Header=BB2_743 Depth=4
	s_or_saveexec_b32 s17, s17
	v_mov_b32_e32 v79, 0x7f800001
	s_xor_b32 exec_lo, exec_lo, s17
	s_cbranch_execz .LBB2_847
.LBB2_1082:                             ;   in Loop: Header=BB2_743 Depth=4
	v_cmp_ne_u16_sdwa s72, v13, v2 src0_sel:BYTE_1 src1_sel:DWORD
	v_mov_b32_e32 v79, 0
	s_andn2_b32 s16, s16, exec_lo
	s_and_b32 s72, s72, exec_lo
	s_or_b32 s16, s16, s72
	s_or_b32 exec_lo, exec_lo, s17
	s_and_saveexec_b32 s17, s16
	s_cbranch_execnz .LBB2_848
	s_branch .LBB2_849
.LBB2_1083:                             ;   in Loop: Header=BB2_743 Depth=4
	s_or_saveexec_b32 s17, s17
	v_mov_b32_e32 v88, 0x7f800001
	s_xor_b32 exec_lo, exec_lo, s17
	s_cbranch_execz .LBB2_853
.LBB2_1084:                             ;   in Loop: Header=BB2_743 Depth=4
	v_cmp_ne_u16_sdwa s72, v9, v2 src0_sel:BYTE_1 src1_sel:DWORD
	v_mov_b32_e32 v88, 0
	s_andn2_b32 s16, s16, exec_lo
	s_and_b32 s72, s72, exec_lo
	s_or_b32 s16, s16, s72
	s_or_b32 exec_lo, exec_lo, s17
	s_and_saveexec_b32 s17, s16
	s_cbranch_execnz .LBB2_854
	s_branch .LBB2_855
.LBB2_1085:                             ;   in Loop: Header=BB2_743 Depth=4
	s_or_saveexec_b32 s72, s72
	v_mov_b32_e32 v88, 0x7f800001
	s_xor_b32 exec_lo, exec_lo, s72
	s_cbranch_execz .LBB2_867
.LBB2_1086:                             ;   in Loop: Header=BB2_743 Depth=4
	v_cmp_ne_u16_e64 s16, 0, v89
	v_mov_b32_e32 v88, 0
	s_andn2_b32 s17, s17, exec_lo
	s_and_b32 s16, s16, exec_lo
	s_or_b32 s17, s17, s16
	s_or_b32 exec_lo, exec_lo, s72
	s_and_saveexec_b32 s72, s17
	s_cbranch_execnz .LBB2_868
	s_branch .LBB2_869
.LBB2_1087:                             ;   in Loop: Header=BB2_743 Depth=4
	s_or_saveexec_b32 s72, s72
	v_mov_b32_e32 v89, 0x7f800001
	s_xor_b32 exec_lo, exec_lo, s72
	s_cbranch_execz .LBB2_873
.LBB2_1088:                             ;   in Loop: Header=BB2_743 Depth=4
	v_cmp_ne_u16_e64 s16, 0, v90
	v_mov_b32_e32 v89, 0
	s_andn2_b32 s17, s17, exec_lo
	s_and_b32 s16, s16, exec_lo
	s_or_b32 s17, s17, s16
	s_or_b32 exec_lo, exec_lo, s72
	s_and_saveexec_b32 s72, s17
	s_cbranch_execnz .LBB2_874
	s_branch .LBB2_875
.LBB2_1089:                             ;   in Loop: Header=BB2_743 Depth=4
	s_or_saveexec_b32 s17, s17
	v_mov_b32_e32 v89, 0x7f800001
	s_xor_b32 exec_lo, exec_lo, s17
	s_cbranch_execz .LBB2_887
.LBB2_1090:                             ;   in Loop: Header=BB2_743 Depth=4
	v_cmp_ne_u16_sdwa s72, v13, v2 src0_sel:BYTE_3 src1_sel:DWORD
	v_mov_b32_e32 v89, 0
	s_andn2_b32 s16, s16, exec_lo
	s_and_b32 s72, s72, exec_lo
	s_or_b32 s16, s16, s72
	s_or_b32 exec_lo, exec_lo, s17
	s_and_saveexec_b32 s17, s16
	s_cbranch_execnz .LBB2_888
	s_branch .LBB2_889
.LBB2_1091:                             ;   in Loop: Header=BB2_743 Depth=4
	s_or_saveexec_b32 s17, s17
	v_mov_b32_e32 v13, 0x7f800001
	s_xor_b32 exec_lo, exec_lo, s17
	s_cbranch_execz .LBB2_893
.LBB2_1092:                             ;   in Loop: Header=BB2_743 Depth=4
	v_cmp_ne_u16_sdwa s72, v9, v2 src0_sel:BYTE_3 src1_sel:DWORD
	v_mov_b32_e32 v13, 0
	s_andn2_b32 s16, s16, exec_lo
	s_and_b32 s72, s72, exec_lo
	s_or_b32 s16, s16, s72
	s_or_b32 exec_lo, exec_lo, s17
	s_and_saveexec_b32 s17, s16
	s_cbranch_execnz .LBB2_894
	s_branch .LBB2_895
.LBB2_1093:                             ;   in Loop: Header=BB2_743 Depth=4
	s_or_saveexec_b32 s17, s17
	v_mov_b32_e32 v13, 0x7f800001
	s_xor_b32 exec_lo, exec_lo, s17
	s_cbranch_execz .LBB2_907
.LBB2_1094:                             ;   in Loop: Header=BB2_743 Depth=4
	v_cmp_ne_u16_sdwa s72, v14, v2 src0_sel:BYTE_0 src1_sel:DWORD
	v_mov_b32_e32 v13, 0
	s_andn2_b32 s16, s16, exec_lo
	s_and_b32 s72, s72, exec_lo
	s_or_b32 s16, s16, s72
	s_or_b32 exec_lo, exec_lo, s17
	s_and_saveexec_b32 s17, s16
	s_cbranch_execnz .LBB2_908
	s_branch .LBB2_909
.LBB2_1095:                             ;   in Loop: Header=BB2_743 Depth=4
	s_or_saveexec_b32 s17, s17
	v_mov_b32_e32 v89, 0x7f800001
	s_xor_b32 exec_lo, exec_lo, s17
	s_cbranch_execz .LBB2_913
.LBB2_1096:                             ;   in Loop: Header=BB2_743 Depth=4
	v_cmp_ne_u16_sdwa s72, v10, v2 src0_sel:BYTE_0 src1_sel:DWORD
	v_mov_b32_e32 v89, 0
	s_andn2_b32 s16, s16, exec_lo
	s_and_b32 s72, s72, exec_lo
	s_or_b32 s16, s16, s72
	s_or_b32 exec_lo, exec_lo, s17
	s_and_saveexec_b32 s17, s16
	s_cbranch_execnz .LBB2_914
	s_branch .LBB2_915
.LBB2_1097:                             ;   in Loop: Header=BB2_743 Depth=4
	s_or_saveexec_b32 s17, s17
	v_mov_b32_e32 v89, 0x7f800001
	s_xor_b32 exec_lo, exec_lo, s17
	s_cbranch_execz .LBB2_927
.LBB2_1098:                             ;   in Loop: Header=BB2_743 Depth=4
	v_cmp_ne_u16_sdwa s72, v14, v2 src0_sel:BYTE_1 src1_sel:DWORD
	v_mov_b32_e32 v89, 0
	s_andn2_b32 s16, s16, exec_lo
	s_and_b32 s72, s72, exec_lo
	s_or_b32 s16, s16, s72
	s_or_b32 exec_lo, exec_lo, s17
	s_and_saveexec_b32 s17, s16
	s_cbranch_execnz .LBB2_928
	s_branch .LBB2_929
.LBB2_1099:                             ;   in Loop: Header=BB2_743 Depth=4
	s_or_saveexec_b32 s17, s17
	v_mov_b32_e32 v90, 0x7f800001
	s_xor_b32 exec_lo, exec_lo, s17
	s_cbranch_execz .LBB2_933
.LBB2_1100:                             ;   in Loop: Header=BB2_743 Depth=4
	v_cmp_ne_u16_sdwa s72, v10, v2 src0_sel:BYTE_1 src1_sel:DWORD
	v_mov_b32_e32 v90, 0
	s_andn2_b32 s16, s16, exec_lo
	s_and_b32 s72, s72, exec_lo
	s_or_b32 s16, s16, s72
	s_or_b32 exec_lo, exec_lo, s17
	s_and_saveexec_b32 s17, s16
	s_cbranch_execnz .LBB2_934
	s_branch .LBB2_935
.LBB2_1101:                             ;   in Loop: Header=BB2_743 Depth=4
	s_or_saveexec_b32 s72, s72
	v_mov_b32_e32 v90, 0x7f800001
	s_xor_b32 exec_lo, exec_lo, s72
	s_cbranch_execz .LBB2_947
.LBB2_1102:                             ;   in Loop: Header=BB2_743 Depth=4
	v_cmp_ne_u16_e64 s16, 0, v91
	v_mov_b32_e32 v90, 0
	s_andn2_b32 s17, s17, exec_lo
	s_and_b32 s16, s16, exec_lo
	s_or_b32 s17, s17, s16
	s_or_b32 exec_lo, exec_lo, s72
	s_and_saveexec_b32 s72, s17
	s_cbranch_execnz .LBB2_948
	s_branch .LBB2_949
.LBB2_1103:                             ;   in Loop: Header=BB2_743 Depth=4
	s_or_saveexec_b32 s72, s72
	v_mov_b32_e32 v91, 0x7f800001
	s_xor_b32 exec_lo, exec_lo, s72
	s_cbranch_execz .LBB2_953
.LBB2_1104:                             ;   in Loop: Header=BB2_743 Depth=4
	v_cmp_ne_u16_e64 s16, 0, v92
	v_mov_b32_e32 v91, 0
	s_andn2_b32 s17, s17, exec_lo
	s_and_b32 s16, s16, exec_lo
	s_or_b32 s17, s17, s16
	s_or_b32 exec_lo, exec_lo, s72
	s_and_saveexec_b32 s72, s17
	s_cbranch_execnz .LBB2_954
	s_branch .LBB2_955
.LBB2_1105:                             ;   in Loop: Header=BB2_743 Depth=4
	s_or_saveexec_b32 s17, s17
	v_mov_b32_e32 v91, 0x7f800001
	s_xor_b32 exec_lo, exec_lo, s17
	s_cbranch_execz .LBB2_967
.LBB2_1106:                             ;   in Loop: Header=BB2_743 Depth=4
	v_cmp_ne_u16_sdwa s72, v14, v2 src0_sel:BYTE_3 src1_sel:DWORD
	v_mov_b32_e32 v91, 0
	s_andn2_b32 s16, s16, exec_lo
	s_and_b32 s72, s72, exec_lo
	s_or_b32 s16, s16, s72
	s_or_b32 exec_lo, exec_lo, s17
	s_and_saveexec_b32 s17, s16
	s_cbranch_execnz .LBB2_968
	s_branch .LBB2_969
.LBB2_1107:                             ;   in Loop: Header=BB2_743 Depth=4
	s_or_saveexec_b32 s17, s17
	v_mov_b32_e32 v14, 0x7f800001
	s_xor_b32 exec_lo, exec_lo, s17
	s_cbranch_execz .LBB2_973
.LBB2_1108:                             ;   in Loop: Header=BB2_743 Depth=4
	v_cmp_ne_u16_sdwa s72, v10, v2 src0_sel:BYTE_3 src1_sel:DWORD
	v_mov_b32_e32 v14, 0
	s_andn2_b32 s16, s16, exec_lo
	s_and_b32 s72, s72, exec_lo
	s_or_b32 s16, s16, s72
	s_or_b32 exec_lo, exec_lo, s17
	s_and_saveexec_b32 s17, s16
	s_cbranch_execnz .LBB2_974
	s_branch .LBB2_975
.LBB2_1109:                             ;   in Loop: Header=BB2_743 Depth=4
	s_or_saveexec_b32 s17, s17
	v_mov_b32_e32 v14, 0x7f800001
	s_xor_b32 exec_lo, exec_lo, s17
	s_cbranch_execz .LBB2_987
.LBB2_1110:                             ;   in Loop: Header=BB2_743 Depth=4
	v_cmp_ne_u16_sdwa s72, v15, v2 src0_sel:BYTE_0 src1_sel:DWORD
	v_mov_b32_e32 v14, 0
	s_andn2_b32 s16, s16, exec_lo
	s_and_b32 s72, s72, exec_lo
	s_or_b32 s16, s16, s72
	s_or_b32 exec_lo, exec_lo, s17
	s_and_saveexec_b32 s17, s16
	s_cbranch_execnz .LBB2_988
	s_branch .LBB2_989
.LBB2_1111:                             ;   in Loop: Header=BB2_743 Depth=4
	s_or_saveexec_b32 s17, s17
	v_mov_b32_e32 v91, 0x7f800001
	s_xor_b32 exec_lo, exec_lo, s17
	s_cbranch_execz .LBB2_993
.LBB2_1112:                             ;   in Loop: Header=BB2_743 Depth=4
	v_cmp_ne_u16_sdwa s72, v11, v2 src0_sel:BYTE_0 src1_sel:DWORD
	v_mov_b32_e32 v91, 0
	s_andn2_b32 s16, s16, exec_lo
	s_and_b32 s72, s72, exec_lo
	s_or_b32 s16, s16, s72
	s_or_b32 exec_lo, exec_lo, s17
	s_and_saveexec_b32 s17, s16
	s_cbranch_execnz .LBB2_994
	s_branch .LBB2_995
.LBB2_1113:                             ;   in Loop: Header=BB2_743 Depth=4
	s_or_saveexec_b32 s17, s17
	v_mov_b32_e32 v91, 0x7f800001
	s_xor_b32 exec_lo, exec_lo, s17
	s_cbranch_execz .LBB2_1007
.LBB2_1114:                             ;   in Loop: Header=BB2_743 Depth=4
	v_cmp_ne_u16_sdwa s72, v15, v2 src0_sel:BYTE_1 src1_sel:DWORD
	v_mov_b32_e32 v91, 0
	s_andn2_b32 s16, s16, exec_lo
	s_and_b32 s72, s72, exec_lo
	s_or_b32 s16, s16, s72
	s_or_b32 exec_lo, exec_lo, s17
	s_and_saveexec_b32 s17, s16
	s_cbranch_execnz .LBB2_1008
	s_branch .LBB2_1009
.LBB2_1115:                             ;   in Loop: Header=BB2_743 Depth=4
	s_or_saveexec_b32 s17, s17
	v_mov_b32_e32 v92, 0x7f800001
	s_xor_b32 exec_lo, exec_lo, s17
	s_cbranch_execz .LBB2_1013
.LBB2_1116:                             ;   in Loop: Header=BB2_743 Depth=4
	v_cmp_ne_u16_sdwa s72, v11, v2 src0_sel:BYTE_1 src1_sel:DWORD
	v_mov_b32_e32 v92, 0
	s_andn2_b32 s16, s16, exec_lo
	s_and_b32 s72, s72, exec_lo
	s_or_b32 s16, s16, s72
	s_or_b32 exec_lo, exec_lo, s17
	s_and_saveexec_b32 s17, s16
	s_cbranch_execnz .LBB2_1014
	s_branch .LBB2_1015
.LBB2_1117:                             ;   in Loop: Header=BB2_743 Depth=4
	s_or_saveexec_b32 s72, s72
	v_mov_b32_e32 v92, 0x7f800001
	s_xor_b32 exec_lo, exec_lo, s72
	s_cbranch_execz .LBB2_1027
.LBB2_1118:                             ;   in Loop: Header=BB2_743 Depth=4
	v_cmp_ne_u16_e64 s16, 0, v93
	v_mov_b32_e32 v92, 0
	s_andn2_b32 s17, s17, exec_lo
	s_and_b32 s16, s16, exec_lo
	s_or_b32 s17, s17, s16
	s_or_b32 exec_lo, exec_lo, s72
	s_and_saveexec_b32 s72, s17
	s_cbranch_execnz .LBB2_1028
	s_branch .LBB2_1029
.LBB2_1119:                             ;   in Loop: Header=BB2_743 Depth=4
	s_or_saveexec_b32 s72, s72
	v_mov_b32_e32 v93, 0x7f800001
	s_xor_b32 exec_lo, exec_lo, s72
	s_cbranch_execz .LBB2_1033
.LBB2_1120:                             ;   in Loop: Header=BB2_743 Depth=4
	v_cmp_ne_u16_e64 s16, 0, v94
	v_mov_b32_e32 v93, 0
	s_andn2_b32 s17, s17, exec_lo
	s_and_b32 s16, s16, exec_lo
	s_or_b32 s17, s17, s16
	s_or_b32 exec_lo, exec_lo, s72
	s_and_saveexec_b32 s72, s17
	s_cbranch_execnz .LBB2_1034
	s_branch .LBB2_1035
.LBB2_1121:                             ;   in Loop: Header=BB2_743 Depth=4
	s_or_saveexec_b32 s17, s17
	v_mov_b32_e32 v93, 0x7f800001
	s_xor_b32 exec_lo, exec_lo, s17
	s_cbranch_execz .LBB2_1047
.LBB2_1122:                             ;   in Loop: Header=BB2_743 Depth=4
	v_cmp_ne_u16_sdwa s72, v15, v2 src0_sel:BYTE_3 src1_sel:DWORD
	v_mov_b32_e32 v93, 0
	s_andn2_b32 s16, s16, exec_lo
	s_and_b32 s72, s72, exec_lo
	s_or_b32 s16, s16, s72
	s_or_b32 exec_lo, exec_lo, s17
	s_and_saveexec_b32 s17, s16
	s_cbranch_execnz .LBB2_1048
	s_branch .LBB2_1049
.LBB2_1123:                             ;   in Loop: Header=BB2_743 Depth=4
	s_or_saveexec_b32 s17, s17
	v_mov_b32_e32 v15, 0x7f800001
	s_xor_b32 exec_lo, exec_lo, s17
	s_cbranch_execz .LBB2_1053
.LBB2_1124:                             ;   in Loop: Header=BB2_743 Depth=4
	v_cmp_ne_u16_sdwa s72, v11, v2 src0_sel:BYTE_3 src1_sel:DWORD
	v_mov_b32_e32 v15, 0
	s_andn2_b32 s16, s16, exec_lo
	s_and_b32 s72, s72, exec_lo
	s_or_b32 s16, s16, s72
	s_or_b32 exec_lo, exec_lo, s17
	s_and_saveexec_b32 s17, s16
	s_cbranch_execnz .LBB2_1054
	s_branch .LBB2_1055
.LBB2_1125:                             ;   in Loop: Header=BB2_274 Depth=3
	s_or_b32 exec_lo, exec_lo, s63
.LBB2_1126:                             ;   in Loop: Header=BB2_274 Depth=3
	s_or_b32 exec_lo, exec_lo, s62
	v_and_b32_e32 v9, 15, v62
	v_mov_b32_e32 v14, 0
	s_mov_b32 s17, 0
	s_mov_b32 s62, exec_lo
                                        ; implicit-def: $vgpr70
                                        ; implicit-def: $vgpr8
	v_cndmask_b32_e32 v15, v63, v9, vcc_lo
	v_cmpx_ne_u32_e32 0, v15
	s_cbranch_execz .LBB2_1128
; %bb.1127:                             ;   in Loop: Header=BB2_274 Depth=3
	v_cmp_lt_i32_e64 s16, 0, v74
	v_sub_nc_u32_e32 v9, v63, v9
	s_mov_b32 s17, exec_lo
	v_cndmask_b32_e64 v8, 0, v87, s16
	v_cndmask_b32_e32 v9, 0, v9, vcc_lo
	v_sub_nc_u32_e32 v8, v8, v74
	v_add3_u32 v14, v72, v55, v9
	v_lshl_add_u32 v70, v8, 5, v73
	v_ashrrev_i32_e32 v8, 31, v70
	v_lshrrev_b32_e32 v8, 27, v8
	v_add_nc_u32_e32 v8, v70, v8
	v_ashrrev_i32_e32 v8, 5, v8
.LBB2_1128:                             ;   in Loop: Header=BB2_274 Depth=3
	s_or_b32 exec_lo, exec_lo, s62
	s_and_b32 s62, s17, exec_lo
.LBB2_1129:                             ;   in Loop: Header=BB2_274 Depth=3
	s_or_b32 exec_lo, exec_lo, s61
	s_and_saveexec_b32 s17, s62
	s_cbranch_execz .LBB2_1354
.LBB2_1130:                             ;   in Loop: Header=BB2_274 Depth=3
	v_ashrrev_i32_e32 v9, 31, v15
	s_mov_b32 s61, exec_lo
	v_add_nc_u32_sdwa v9, v15, v9 dst_sel:DWORD dst_unused:UNUSED_PAD src0_sel:DWORD src1_sel:BYTE_3
	v_ashrrev_i32_e32 v80, 8, v9
	v_ashrrev_i32_e32 v9, 31, v70
	v_sub_nc_u32_e32 v55, v80, v8
	v_lshrrev_b32_e32 v71, 27, v9
	v_cmpx_lt_i32_e32 0, v55
	s_cbranch_execz .LBB2_1326
; %bb.1131:                             ;   in Loop: Header=BB2_274 Depth=3
	v_add_nc_u32_e32 v9, v70, v71
	s_trap 2
	ds_read_b64 v[10:11], v0
	v_lshlrev_b32_e32 v8, 8, v8
	v_add_co_u32 v68, vcc_lo, 0xe0, v68
	v_and_b32_e32 v9, 0xffffffe0, v9
	v_add_co_ci_u32_e64 v69, null, 0, v69, vcc_lo
	s_mov_b32 s62, 0
	v_sub_nc_u32_e32 v9, v70, v9
	v_add3_u32 v12, v14, v9, v8
	v_ashrrev_i32_e32 v13, 31, v12
	v_add_co_u32 v8, vcc_lo, v12, v66
	v_add_co_ci_u32_e64 v9, null, v13, v67, vcc_lo
	s_waitcnt lgkmcnt(0)
	v_add_co_u32 v10, vcc_lo, v10, v12
	v_add_co_ci_u32_e64 v11, null, v11, v13, vcc_lo
	v_add_co_u32 v12, vcc_lo, v68, v12
	v_add_co_ci_u32_e64 v13, null, v69, v13, vcc_lo
	s_branch .LBB2_1135
.LBB2_1132:                             ;   in Loop: Header=BB2_1135 Depth=4
	s_or_b32 exec_lo, exec_lo, s16
	v_lshrrev_b32_e32 v81, 21, v81
	v_cmp_gt_i32_e32 vcc_lo, 32, v67
	v_min_i32_e32 v62, 31, v67
	v_and_b32_sdwa v66, v66, v101 dst_sel:DWORD dst_unused:UNUSED_PAD src0_sel:BYTE_3 src1_sel:DWORD
	v_cndmask_b32_e32 v81, 3, v81, vcc_lo
	v_lshlrev_b32_e32 v62, 2, v62
	v_and_b32_e32 v73, 3, v81
	v_or_b32_e32 v67, v67, v81
	v_or3_b32 v66, v62, v66, v73
	v_cmp_ne_u32_e32 vcc_lo, 0, v67
	v_cndmask_b32_e32 v67, 0, v66, vcc_lo
.LBB2_1133:                             ;   in Loop: Header=BB2_1135 Depth=4
	s_or_b32 exec_lo, exec_lo, s72
.LBB2_1134:                             ;   in Loop: Header=BB2_1135 Depth=4
	s_or_b32 exec_lo, exec_lo, s63
	v_add_co_u32 v75, vcc_lo, 0xffffff20, v12
	v_add_co_ci_u32_e64 v76, null, -1, v13, vcc_lo
	v_add_co_u32 v77, vcc_lo, 0xffffff40, v12
	v_add_co_ci_u32_e64 v78, null, -1, v13, vcc_lo
	v_add_co_u32 v81, vcc_lo, 0xffffff60, v12
	flat_store_byte v[75:76], v68 glc slc
	flat_store_byte v[77:78], v82 glc slc
	v_add_co_ci_u32_e64 v82, null, -1, v13, vcc_lo
	v_add_co_u32 v75, vcc_lo, 0xffffff80, v12
	v_add_co_ci_u32_e64 v76, null, -1, v13, vcc_lo
	v_add_co_u32 v77, vcc_lo, 0xffffffa0, v12
	;; [unrolled: 2-line block ×4, first 2 shown]
	v_sub_nc_u32_e32 v55, v55, v87
	v_add_co_ci_u32_e64 v91, null, -1, v13, vcc_lo
	v_add_co_u32 v8, vcc_lo, v8, v117
	v_add_co_ci_u32_e64 v9, null, 0, v9, vcc_lo
	v_add_co_u32 v10, vcc_lo, v10, v117
	flat_store_byte v[81:82], v63 glc slc
	flat_store_byte v[75:76], v74 glc slc
	;; [unrolled: 1-line block ×6, first 2 shown]
	v_add_co_ci_u32_e64 v11, null, 0, v11, vcc_lo
	v_cmp_gt_i32_e32 vcc_lo, 1, v55
	v_add_co_u32 v12, s16, v12, v117
	v_add_co_ci_u32_e64 v13, null, 0, v13, s16
	s_or_b32 s62, vcc_lo, s62
	s_andn2_b32 exec_lo, exec_lo, s62
	s_cbranch_execz .LBB2_1325
.LBB2_1135:                             ;   Parent Loop BB2_47 Depth=1
                                        ;     Parent Loop BB2_271 Depth=2
                                        ;       Parent Loop BB2_274 Depth=3
                                        ; =>      This Inner Loop Header: Depth=4
	s_clause 0x7
	flat_load_ubyte v79, v[8:9] slc
	flat_load_ubyte v77, v[8:9] offset:32 slc
	flat_load_ubyte v76, v[8:9] offset:64 slc
	flat_load_ubyte v75, v[8:9] offset:96 slc
	flat_load_ubyte v73, v[8:9] offset:128 slc
	flat_load_ubyte v62, v[8:9] offset:160 slc
	flat_load_ubyte v81, v[8:9] offset:192 slc
	flat_load_ubyte v67, v[8:9] offset:224 slc
	s_clause 0x7
	flat_load_ubyte v68, v[10:11] slc
	flat_load_ubyte v82, v[10:11] offset:32 slc
	flat_load_ubyte v63, v[10:11] offset:64 slc
	;; [unrolled: 1-line block ×7, first 2 shown]
	s_mov_b32 s16, 0
	s_mov_b32 s63, exec_lo
	s_waitcnt vmcnt(15) lgkmcnt(15)
	v_cmpx_lt_i16_e32 0x7f, v79
	s_xor_b32 s63, exec_lo, s63
	s_cbranch_execz .LBB2_1293
; %bb.1136:                             ;   in Loop: Header=BB2_1135 Depth=4
	s_mov_b32 s16, -1
	s_mov_b32 s72, exec_lo
	v_cmpx_eq_u16_e32 0x80, v79
; %bb.1137:                             ;   in Loop: Header=BB2_1135 Depth=4
	s_xor_b32 s16, exec_lo, -1
; %bb.1138:                             ;   in Loop: Header=BB2_1135 Depth=4
	s_or_b32 exec_lo, exec_lo, s72
	s_and_b32 s16, s16, exec_lo
	s_or_saveexec_b32 s63, s63
	v_mov_b32_e32 v78, 0x7f800001
	s_xor_b32 exec_lo, exec_lo, s63
	s_cbranch_execnz .LBB2_1294
.LBB2_1139:                             ;   in Loop: Header=BB2_1135 Depth=4
	s_or_b32 exec_lo, exec_lo, s63
	s_and_saveexec_b32 s63, s16
	s_cbranch_execz .LBB2_1141
.LBB2_1140:                             ;   in Loop: Header=BB2_1135 Depth=4
	v_and_b32_e32 v78, 0xffff, v79
	v_lshlrev_b32_e32 v79, 24, v79
	v_and_b32_e32 v88, 3, v78
	v_bfe_u32 v91, v78, 2, 5
	v_and_b32_e32 v79, 0x80000000, v79
	v_ffbh_u32_e32 v89, v88
	v_cmp_eq_u32_e32 vcc_lo, 0, v91
	v_min_u32_e32 v89, 32, v89
	v_subrev_nc_u32_e32 v90, 29, v89
	v_sub_nc_u32_e32 v89, 30, v89
	v_lshlrev_b32_e32 v78, v90, v78
	v_cndmask_b32_e32 v89, v91, v89, vcc_lo
	v_and_b32_e32 v78, 3, v78
	v_cndmask_b32_e32 v78, v88, v78, vcc_lo
	v_lshl_add_u32 v88, v89, 23, 0x37800000
	v_lshlrev_b32_e32 v78, 21, v78
	v_or3_b32 v78, v79, v88, v78
.LBB2_1141:                             ;   in Loop: Header=BB2_1135 Depth=4
	s_or_b32 exec_lo, exec_lo, s63
	s_waitcnt vmcnt(7) lgkmcnt(7)
	v_cmp_gt_i16_sdwa s63, v68, v100 src0_sel:BYTE_0 src1_sel:DWORD
	s_mov_b32 s16, 0
	s_and_saveexec_b32 s72, s63
	s_xor_b32 s63, exec_lo, s72
	s_cbranch_execz .LBB2_1295
; %bb.1142:                             ;   in Loop: Header=BB2_1135 Depth=4
	v_cmp_eq_u16_sdwa s73, v68, v101 src0_sel:BYTE_0 src1_sel:DWORD
	s_mov_b32 s16, -1
	s_and_saveexec_b32 s72, s73
; %bb.1143:                             ;   in Loop: Header=BB2_1135 Depth=4
	s_xor_b32 s16, exec_lo, -1
; %bb.1144:                             ;   in Loop: Header=BB2_1135 Depth=4
	s_or_b32 exec_lo, exec_lo, s72
	s_and_b32 s16, s16, exec_lo
	s_or_saveexec_b32 s63, s63
	v_mov_b32_e32 v79, 0x7f800001
	s_xor_b32 exec_lo, exec_lo, s63
	s_cbranch_execnz .LBB2_1296
.LBB2_1145:                             ;   in Loop: Header=BB2_1135 Depth=4
	s_or_b32 exec_lo, exec_lo, s63
	s_and_saveexec_b32 s63, s16
	s_cbranch_execz .LBB2_1147
.LBB2_1146:                             ;   in Loop: Header=BB2_1135 Depth=4
	v_and_b32_e32 v79, 3, v68
	v_lshrrev_b16 v89, 2, v68
	v_ffbh_u32_e32 v88, v79
	v_and_b32_e32 v89, 31, v89
	v_min_u32_e32 v88, 32, v88
	v_cmp_eq_u32_e32 vcc_lo, 0, v89
	v_subrev_nc_u32_e32 v90, 29, v88
	v_sub_nc_u32_e32 v88, 30, v88
	v_lshlrev_b32_e32 v90, v90, v68
	v_lshlrev_b32_e32 v68, 24, v68
	v_cndmask_b32_e32 v88, v89, v88, vcc_lo
	v_and_b32_e32 v90, 3, v90
	v_and_b32_e32 v68, 0x80000000, v68
	v_lshl_add_u32 v88, v88, 23, 0x37800000
	v_cndmask_b32_e32 v79, v79, v90, vcc_lo
	v_lshlrev_b32_e32 v79, 21, v79
	v_or3_b32 v79, v68, v88, v79
.LBB2_1147:                             ;   in Loop: Header=BB2_1135 Depth=4
	s_or_b32 exec_lo, exec_lo, s63
	v_mul_f32_e32 v78, v78, v79
	v_and_b32_e32 v68, 0x7f800000, v78
	v_cmp_ne_u32_e32 vcc_lo, 0x7f800000, v68
	v_mov_b32_e32 v68, 0x80
	s_and_saveexec_b32 s63, vcc_lo
	s_cbranch_execz .LBB2_1155
; %bb.1148:                             ;   in Loop: Header=BB2_1135 Depth=4
	v_mov_b32_e32 v68, 0
	s_mov_b32 s72, exec_lo
	v_cmpx_ne_u32_e32 0, v78
	s_cbranch_execz .LBB2_1154
; %bb.1149:                             ;   in Loop: Header=BB2_1135 Depth=4
	v_bfe_u32 v68, v78, 23, 8
	v_and_b32_e32 v79, 0x7fffff, v78
	v_sub_nc_u32_e32 v88, 0x70, v68
	v_cmp_gt_u32_e32 vcc_lo, 0x71, v68
	v_or_b32_e32 v89, 0x800000, v79
	v_cndmask_b32_e32 v88, 0, v88, vcc_lo
	v_cmp_eq_u32_e32 vcc_lo, 0, v68
	v_add_nc_u32_e32 v68, 0xffffff91, v68
	v_cndmask_b32_e64 v88, v88, 0x6f, vcc_lo
	v_cndmask_b32_e32 v79, v89, v79, vcc_lo
	v_cndmask_b32_e64 v68, v68, 0xffffff92, vcc_lo
	v_lshl_add_u32 v89, 0x200000, v88, -1
	v_lshrrev_b32_e32 v90, v88, v79
	v_lshlrev_b32_e64 v92, v88, 0x100000
	v_add_nc_u32_e32 v88, v88, v68
	v_and_b32_e32 v79, v89, v79
	v_bfe_u32 v91, v90, 21, 1
	v_cmp_eq_u32_e64 s16, v79, v92
	v_add_nc_u32_e32 v89, -1, v91
	v_cndmask_b32_e64 v79, 0, v89, s16
	v_lshrrev_b32_e32 v89, 23, v90
	s_mov_b32 s16, exec_lo
	v_add_nc_u32_e32 v79, v79, v90
	v_xor_b32_e32 v89, 1, v89
	v_and_b32_e32 v68, 0x1fffff, v79
	v_add_nc_u32_e32 v79, v68, v90
                                        ; implicit-def: $vgpr68
	v_cmpx_ne_u32_e64 v88, v89
	s_xor_b32 s16, exec_lo, s16
; %bb.1150:                             ;   in Loop: Header=BB2_1135 Depth=4
	v_cmp_lt_u32_e32 vcc_lo, 0xffffff, v79
	v_sub_nc_u32_e32 v68, v88, v89
	v_cndmask_b32_e64 v88, 0, 1, vcc_lo
	v_add_co_ci_u32_e64 v68, null, 0, v68, vcc_lo
	v_lshrrev_b32_e32 v79, v88, v79
; %bb.1151:                             ;   in Loop: Header=BB2_1135 Depth=4
	s_andn2_saveexec_b32 s16, s16
; %bb.1152:                             ;   in Loop: Header=BB2_1135 Depth=4
	v_bfe_u32 v68, v79, 23, 1
; %bb.1153:                             ;   in Loop: Header=BB2_1135 Depth=4
	s_or_b32 exec_lo, exec_lo, s16
	v_lshrrev_b32_e32 v79, 21, v79
	v_cmp_gt_i32_e32 vcc_lo, 32, v68
	v_min_i32_e32 v88, 31, v68
	v_and_b32_sdwa v78, v78, v101 dst_sel:DWORD dst_unused:UNUSED_PAD src0_sel:BYTE_3 src1_sel:DWORD
	v_cndmask_b32_e32 v79, 3, v79, vcc_lo
	v_lshlrev_b32_e32 v88, 2, v88
	v_and_b32_e32 v89, 3, v79
	v_or_b32_e32 v68, v68, v79
	v_or3_b32 v78, v88, v78, v89
	v_cmp_ne_u32_e32 vcc_lo, 0, v68
	v_cndmask_b32_e32 v68, 0, v78, vcc_lo
.LBB2_1154:                             ;   in Loop: Header=BB2_1135 Depth=4
	s_or_b32 exec_lo, exec_lo, s72
.LBB2_1155:                             ;   in Loop: Header=BB2_1135 Depth=4
	s_or_b32 exec_lo, exec_lo, s63
	v_cmp_gt_i16_sdwa s63, v77, v100 src0_sel:BYTE_0 src1_sel:DWORD
	s_mov_b32 s16, 0
	s_and_saveexec_b32 s72, s63
	s_xor_b32 s63, exec_lo, s72
	s_cbranch_execz .LBB2_1297
; %bb.1156:                             ;   in Loop: Header=BB2_1135 Depth=4
	v_cmp_eq_u16_sdwa s73, v77, v101 src0_sel:BYTE_0 src1_sel:DWORD
	s_mov_b32 s16, -1
	s_and_saveexec_b32 s72, s73
; %bb.1157:                             ;   in Loop: Header=BB2_1135 Depth=4
	s_xor_b32 s16, exec_lo, -1
; %bb.1158:                             ;   in Loop: Header=BB2_1135 Depth=4
	s_or_b32 exec_lo, exec_lo, s72
	s_and_b32 s16, s16, exec_lo
	s_or_saveexec_b32 s63, s63
	v_mov_b32_e32 v78, 0x7f800001
	s_xor_b32 exec_lo, exec_lo, s63
	s_cbranch_execnz .LBB2_1298
.LBB2_1159:                             ;   in Loop: Header=BB2_1135 Depth=4
	s_or_b32 exec_lo, exec_lo, s63
	s_and_saveexec_b32 s63, s16
	s_cbranch_execz .LBB2_1161
.LBB2_1160:                             ;   in Loop: Header=BB2_1135 Depth=4
	v_and_b32_e32 v78, 3, v77
	v_lshrrev_b16 v88, 2, v77
	v_ffbh_u32_e32 v79, v78
	v_and_b32_e32 v88, 31, v88
	v_min_u32_e32 v79, 32, v79
	v_cmp_eq_u32_e32 vcc_lo, 0, v88
	v_subrev_nc_u32_e32 v89, 29, v79
	v_sub_nc_u32_e32 v79, 30, v79
	v_lshlrev_b32_e32 v89, v89, v77
	v_lshlrev_b32_e32 v77, 24, v77
	v_cndmask_b32_e32 v79, v88, v79, vcc_lo
	v_and_b32_e32 v89, 3, v89
	v_and_b32_e32 v77, 0x80000000, v77
	v_lshl_add_u32 v79, v79, 23, 0x37800000
	v_cndmask_b32_e32 v78, v78, v89, vcc_lo
	v_lshlrev_b32_e32 v78, 21, v78
	v_or3_b32 v78, v77, v79, v78
.LBB2_1161:                             ;   in Loop: Header=BB2_1135 Depth=4
	s_or_b32 exec_lo, exec_lo, s63
	s_waitcnt vmcnt(6) lgkmcnt(6)
	v_cmp_gt_i16_sdwa s63, v82, v100 src0_sel:BYTE_0 src1_sel:DWORD
	s_mov_b32 s16, 0
	s_and_saveexec_b32 s72, s63
	s_xor_b32 s63, exec_lo, s72
	s_cbranch_execz .LBB2_1299
; %bb.1162:                             ;   in Loop: Header=BB2_1135 Depth=4
	v_cmp_eq_u16_sdwa s73, v82, v101 src0_sel:BYTE_0 src1_sel:DWORD
	s_mov_b32 s16, -1
	s_and_saveexec_b32 s72, s73
; %bb.1163:                             ;   in Loop: Header=BB2_1135 Depth=4
	s_xor_b32 s16, exec_lo, -1
; %bb.1164:                             ;   in Loop: Header=BB2_1135 Depth=4
	s_or_b32 exec_lo, exec_lo, s72
	s_and_b32 s16, s16, exec_lo
	s_or_saveexec_b32 s63, s63
	v_mov_b32_e32 v77, 0x7f800001
	s_xor_b32 exec_lo, exec_lo, s63
	s_cbranch_execnz .LBB2_1300
.LBB2_1165:                             ;   in Loop: Header=BB2_1135 Depth=4
	s_or_b32 exec_lo, exec_lo, s63
	s_and_saveexec_b32 s63, s16
	s_cbranch_execz .LBB2_1167
.LBB2_1166:                             ;   in Loop: Header=BB2_1135 Depth=4
	v_and_b32_e32 v77, 3, v82
	v_lshrrev_b16 v88, 2, v82
	v_ffbh_u32_e32 v79, v77
	v_and_b32_e32 v88, 31, v88
	v_min_u32_e32 v79, 32, v79
	v_cmp_eq_u32_e32 vcc_lo, 0, v88
	v_subrev_nc_u32_e32 v89, 29, v79
	v_sub_nc_u32_e32 v79, 30, v79
	v_lshlrev_b32_e32 v89, v89, v82
	v_lshlrev_b32_e32 v82, 24, v82
	v_cndmask_b32_e32 v79, v88, v79, vcc_lo
	v_and_b32_e32 v89, 3, v89
	v_and_b32_e32 v82, 0x80000000, v82
	v_lshl_add_u32 v79, v79, 23, 0x37800000
	v_cndmask_b32_e32 v77, v77, v89, vcc_lo
	v_lshlrev_b32_e32 v77, 21, v77
	v_or3_b32 v77, v82, v79, v77
.LBB2_1167:                             ;   in Loop: Header=BB2_1135 Depth=4
	s_or_b32 exec_lo, exec_lo, s63
	v_mul_f32_e32 v77, v78, v77
	v_and_b32_e32 v82, 0x7f800000, v77
	v_cmp_ne_u32_e32 vcc_lo, 0x7f800000, v82
	v_mov_b32_e32 v82, 0x80
	s_and_saveexec_b32 s63, vcc_lo
	s_cbranch_execz .LBB2_1175
; %bb.1168:                             ;   in Loop: Header=BB2_1135 Depth=4
	v_mov_b32_e32 v82, 0
	s_mov_b32 s72, exec_lo
	v_cmpx_ne_u32_e32 0, v77
	s_cbranch_execz .LBB2_1174
; %bb.1169:                             ;   in Loop: Header=BB2_1135 Depth=4
	v_bfe_u32 v82, v77, 23, 8
	v_and_b32_e32 v78, 0x7fffff, v77
	v_sub_nc_u32_e32 v79, 0x70, v82
	v_cmp_gt_u32_e32 vcc_lo, 0x71, v82
	v_or_b32_e32 v88, 0x800000, v78
	v_cndmask_b32_e32 v79, 0, v79, vcc_lo
	v_cmp_eq_u32_e32 vcc_lo, 0, v82
	v_add_nc_u32_e32 v82, 0xffffff91, v82
	v_cndmask_b32_e64 v79, v79, 0x6f, vcc_lo
	v_cndmask_b32_e32 v78, v88, v78, vcc_lo
	v_cndmask_b32_e64 v82, v82, 0xffffff92, vcc_lo
	v_lshl_add_u32 v88, 0x200000, v79, -1
	v_lshrrev_b32_e32 v89, v79, v78
	v_lshlrev_b32_e64 v91, v79, 0x100000
	v_add_nc_u32_e32 v79, v79, v82
	v_and_b32_e32 v78, v88, v78
	v_bfe_u32 v90, v89, 21, 1
	v_cmp_eq_u32_e64 s16, v78, v91
	v_add_nc_u32_e32 v88, -1, v90
	v_cndmask_b32_e64 v78, 0, v88, s16
	v_lshrrev_b32_e32 v88, 23, v89
	s_mov_b32 s16, exec_lo
	v_add_nc_u32_e32 v78, v78, v89
	v_xor_b32_e32 v88, 1, v88
	v_and_b32_e32 v82, 0x1fffff, v78
	v_add_nc_u32_e32 v78, v82, v89
                                        ; implicit-def: $vgpr82
	v_cmpx_ne_u32_e64 v79, v88
	s_xor_b32 s16, exec_lo, s16
; %bb.1170:                             ;   in Loop: Header=BB2_1135 Depth=4
	v_cmp_lt_u32_e32 vcc_lo, 0xffffff, v78
	v_sub_nc_u32_e32 v82, v79, v88
	v_cndmask_b32_e64 v79, 0, 1, vcc_lo
	v_add_co_ci_u32_e64 v82, null, 0, v82, vcc_lo
	v_lshrrev_b32_e32 v78, v79, v78
; %bb.1171:                             ;   in Loop: Header=BB2_1135 Depth=4
	s_andn2_saveexec_b32 s16, s16
; %bb.1172:                             ;   in Loop: Header=BB2_1135 Depth=4
	v_bfe_u32 v82, v78, 23, 1
; %bb.1173:                             ;   in Loop: Header=BB2_1135 Depth=4
	s_or_b32 exec_lo, exec_lo, s16
	v_lshrrev_b32_e32 v78, 21, v78
	v_cmp_gt_i32_e32 vcc_lo, 32, v82
	v_min_i32_e32 v79, 31, v82
	v_and_b32_sdwa v77, v77, v101 dst_sel:DWORD dst_unused:UNUSED_PAD src0_sel:BYTE_3 src1_sel:DWORD
	v_cndmask_b32_e32 v78, 3, v78, vcc_lo
	v_lshlrev_b32_e32 v79, 2, v79
	v_and_b32_e32 v88, 3, v78
	v_or_b32_e32 v82, v82, v78
	v_or3_b32 v77, v79, v77, v88
	v_cmp_ne_u32_e32 vcc_lo, 0, v82
	v_cndmask_b32_e32 v82, 0, v77, vcc_lo
.LBB2_1174:                             ;   in Loop: Header=BB2_1135 Depth=4
	s_or_b32 exec_lo, exec_lo, s72
.LBB2_1175:                             ;   in Loop: Header=BB2_1135 Depth=4
	s_or_b32 exec_lo, exec_lo, s63
	v_cmp_gt_i16_sdwa s63, v76, v100 src0_sel:BYTE_0 src1_sel:DWORD
	s_mov_b32 s16, 0
	s_and_saveexec_b32 s72, s63
	s_xor_b32 s63, exec_lo, s72
	s_cbranch_execz .LBB2_1301
; %bb.1176:                             ;   in Loop: Header=BB2_1135 Depth=4
	v_cmp_eq_u16_sdwa s73, v76, v101 src0_sel:BYTE_0 src1_sel:DWORD
	s_mov_b32 s16, -1
	s_and_saveexec_b32 s72, s73
; %bb.1177:                             ;   in Loop: Header=BB2_1135 Depth=4
	s_xor_b32 s16, exec_lo, -1
; %bb.1178:                             ;   in Loop: Header=BB2_1135 Depth=4
	s_or_b32 exec_lo, exec_lo, s72
	s_and_b32 s16, s16, exec_lo
	s_or_saveexec_b32 s63, s63
	v_mov_b32_e32 v77, 0x7f800001
	s_xor_b32 exec_lo, exec_lo, s63
	s_cbranch_execnz .LBB2_1302
.LBB2_1179:                             ;   in Loop: Header=BB2_1135 Depth=4
	s_or_b32 exec_lo, exec_lo, s63
	s_and_saveexec_b32 s63, s16
	s_cbranch_execz .LBB2_1181
.LBB2_1180:                             ;   in Loop: Header=BB2_1135 Depth=4
	v_and_b32_e32 v77, 3, v76
	v_lshrrev_b16 v79, 2, v76
	v_ffbh_u32_e32 v78, v77
	v_and_b32_e32 v79, 31, v79
	v_min_u32_e32 v78, 32, v78
	v_cmp_eq_u32_e32 vcc_lo, 0, v79
	v_subrev_nc_u32_e32 v88, 29, v78
	v_sub_nc_u32_e32 v78, 30, v78
	v_lshlrev_b32_e32 v88, v88, v76
	v_lshlrev_b32_e32 v76, 24, v76
	v_cndmask_b32_e32 v78, v79, v78, vcc_lo
	v_and_b32_e32 v88, 3, v88
	v_and_b32_e32 v76, 0x80000000, v76
	v_lshl_add_u32 v78, v78, 23, 0x37800000
	v_cndmask_b32_e32 v77, v77, v88, vcc_lo
	v_lshlrev_b32_e32 v77, 21, v77
	v_or3_b32 v77, v76, v78, v77
.LBB2_1181:                             ;   in Loop: Header=BB2_1135 Depth=4
	s_or_b32 exec_lo, exec_lo, s63
	s_waitcnt vmcnt(5) lgkmcnt(5)
	v_cmp_gt_i16_sdwa s63, v63, v100 src0_sel:BYTE_0 src1_sel:DWORD
	s_mov_b32 s16, 0
	s_and_saveexec_b32 s72, s63
	s_xor_b32 s63, exec_lo, s72
	s_cbranch_execz .LBB2_1303
; %bb.1182:                             ;   in Loop: Header=BB2_1135 Depth=4
	v_cmp_eq_u16_sdwa s73, v63, v101 src0_sel:BYTE_0 src1_sel:DWORD
	s_mov_b32 s16, -1
	s_and_saveexec_b32 s72, s73
; %bb.1183:                             ;   in Loop: Header=BB2_1135 Depth=4
	s_xor_b32 s16, exec_lo, -1
; %bb.1184:                             ;   in Loop: Header=BB2_1135 Depth=4
	s_or_b32 exec_lo, exec_lo, s72
	s_and_b32 s16, s16, exec_lo
	s_or_saveexec_b32 s63, s63
	v_mov_b32_e32 v76, 0x7f800001
	s_xor_b32 exec_lo, exec_lo, s63
	s_cbranch_execnz .LBB2_1304
.LBB2_1185:                             ;   in Loop: Header=BB2_1135 Depth=4
	s_or_b32 exec_lo, exec_lo, s63
	s_and_saveexec_b32 s63, s16
	s_cbranch_execz .LBB2_1187
.LBB2_1186:                             ;   in Loop: Header=BB2_1135 Depth=4
	v_and_b32_e32 v76, 3, v63
	v_lshrrev_b16 v79, 2, v63
	v_ffbh_u32_e32 v78, v76
	v_and_b32_e32 v79, 31, v79
	v_min_u32_e32 v78, 32, v78
	v_cmp_eq_u32_e32 vcc_lo, 0, v79
	v_subrev_nc_u32_e32 v88, 29, v78
	v_sub_nc_u32_e32 v78, 30, v78
	v_lshlrev_b32_e32 v88, v88, v63
	v_lshlrev_b32_e32 v63, 24, v63
	v_cndmask_b32_e32 v78, v79, v78, vcc_lo
	v_and_b32_e32 v88, 3, v88
	v_and_b32_e32 v63, 0x80000000, v63
	v_lshl_add_u32 v78, v78, 23, 0x37800000
	v_cndmask_b32_e32 v76, v76, v88, vcc_lo
	v_lshlrev_b32_e32 v76, 21, v76
	v_or3_b32 v76, v63, v78, v76
.LBB2_1187:                             ;   in Loop: Header=BB2_1135 Depth=4
	s_or_b32 exec_lo, exec_lo, s63
	v_mul_f32_e32 v76, v77, v76
	v_and_b32_e32 v63, 0x7f800000, v76
	v_cmp_ne_u32_e32 vcc_lo, 0x7f800000, v63
	v_mov_b32_e32 v63, 0x80
	s_and_saveexec_b32 s63, vcc_lo
	s_cbranch_execz .LBB2_1195
; %bb.1188:                             ;   in Loop: Header=BB2_1135 Depth=4
	v_mov_b32_e32 v63, 0
	s_mov_b32 s72, exec_lo
	v_cmpx_ne_u32_e32 0, v76
	s_cbranch_execz .LBB2_1194
; %bb.1189:                             ;   in Loop: Header=BB2_1135 Depth=4
	v_bfe_u32 v63, v76, 23, 8
	v_and_b32_e32 v77, 0x7fffff, v76
	v_sub_nc_u32_e32 v78, 0x70, v63
	v_cmp_gt_u32_e32 vcc_lo, 0x71, v63
	v_or_b32_e32 v79, 0x800000, v77
	v_cndmask_b32_e32 v78, 0, v78, vcc_lo
	v_cmp_eq_u32_e32 vcc_lo, 0, v63
	v_add_nc_u32_e32 v63, 0xffffff91, v63
	v_cndmask_b32_e64 v78, v78, 0x6f, vcc_lo
	v_cndmask_b32_e32 v77, v79, v77, vcc_lo
	v_cndmask_b32_e64 v63, v63, 0xffffff92, vcc_lo
	v_lshl_add_u32 v79, 0x200000, v78, -1
	v_lshrrev_b32_e32 v88, v78, v77
	v_lshlrev_b32_e64 v90, v78, 0x100000
	v_add_nc_u32_e32 v78, v78, v63
	v_and_b32_e32 v77, v79, v77
	v_bfe_u32 v89, v88, 21, 1
	v_cmp_eq_u32_e64 s16, v77, v90
	v_add_nc_u32_e32 v79, -1, v89
	v_cndmask_b32_e64 v77, 0, v79, s16
	v_lshrrev_b32_e32 v79, 23, v88
	s_mov_b32 s16, exec_lo
	v_add_nc_u32_e32 v77, v77, v88
	v_xor_b32_e32 v79, 1, v79
	v_and_b32_e32 v63, 0x1fffff, v77
	v_add_nc_u32_e32 v77, v63, v88
                                        ; implicit-def: $vgpr63
	v_cmpx_ne_u32_e64 v78, v79
	s_xor_b32 s16, exec_lo, s16
; %bb.1190:                             ;   in Loop: Header=BB2_1135 Depth=4
	v_cmp_lt_u32_e32 vcc_lo, 0xffffff, v77
	v_sub_nc_u32_e32 v63, v78, v79
	v_cndmask_b32_e64 v78, 0, 1, vcc_lo
	v_add_co_ci_u32_e64 v63, null, 0, v63, vcc_lo
	v_lshrrev_b32_e32 v77, v78, v77
; %bb.1191:                             ;   in Loop: Header=BB2_1135 Depth=4
	s_andn2_saveexec_b32 s16, s16
; %bb.1192:                             ;   in Loop: Header=BB2_1135 Depth=4
	v_bfe_u32 v63, v77, 23, 1
; %bb.1193:                             ;   in Loop: Header=BB2_1135 Depth=4
	s_or_b32 exec_lo, exec_lo, s16
	v_lshrrev_b32_e32 v77, 21, v77
	v_cmp_gt_i32_e32 vcc_lo, 32, v63
	v_min_i32_e32 v78, 31, v63
	v_and_b32_sdwa v76, v76, v101 dst_sel:DWORD dst_unused:UNUSED_PAD src0_sel:BYTE_3 src1_sel:DWORD
	v_cndmask_b32_e32 v77, 3, v77, vcc_lo
	v_lshlrev_b32_e32 v78, 2, v78
	v_and_b32_e32 v79, 3, v77
	v_or_b32_e32 v63, v63, v77
	v_or3_b32 v76, v78, v76, v79
	v_cmp_ne_u32_e32 vcc_lo, 0, v63
	v_cndmask_b32_e32 v63, 0, v76, vcc_lo
.LBB2_1194:                             ;   in Loop: Header=BB2_1135 Depth=4
	s_or_b32 exec_lo, exec_lo, s72
.LBB2_1195:                             ;   in Loop: Header=BB2_1135 Depth=4
	s_or_b32 exec_lo, exec_lo, s63
	v_cmp_gt_i16_sdwa s63, v75, v100 src0_sel:BYTE_0 src1_sel:DWORD
	s_mov_b32 s16, 0
	s_and_saveexec_b32 s72, s63
	s_xor_b32 s63, exec_lo, s72
	s_cbranch_execz .LBB2_1305
; %bb.1196:                             ;   in Loop: Header=BB2_1135 Depth=4
	v_cmp_eq_u16_sdwa s73, v75, v101 src0_sel:BYTE_0 src1_sel:DWORD
	s_mov_b32 s16, -1
	s_and_saveexec_b32 s72, s73
; %bb.1197:                             ;   in Loop: Header=BB2_1135 Depth=4
	s_xor_b32 s16, exec_lo, -1
; %bb.1198:                             ;   in Loop: Header=BB2_1135 Depth=4
	s_or_b32 exec_lo, exec_lo, s72
	s_and_b32 s16, s16, exec_lo
	s_or_saveexec_b32 s63, s63
	v_mov_b32_e32 v76, 0x7f800001
	s_xor_b32 exec_lo, exec_lo, s63
	s_cbranch_execnz .LBB2_1306
.LBB2_1199:                             ;   in Loop: Header=BB2_1135 Depth=4
	s_or_b32 exec_lo, exec_lo, s63
	s_and_saveexec_b32 s63, s16
	s_cbranch_execz .LBB2_1201
.LBB2_1200:                             ;   in Loop: Header=BB2_1135 Depth=4
	v_and_b32_e32 v76, 3, v75
	v_lshrrev_b16 v78, 2, v75
	v_ffbh_u32_e32 v77, v76
	v_and_b32_e32 v78, 31, v78
	v_min_u32_e32 v77, 32, v77
	v_cmp_eq_u32_e32 vcc_lo, 0, v78
	v_subrev_nc_u32_e32 v79, 29, v77
	v_sub_nc_u32_e32 v77, 30, v77
	v_lshlrev_b32_e32 v79, v79, v75
	v_lshlrev_b32_e32 v75, 24, v75
	v_cndmask_b32_e32 v77, v78, v77, vcc_lo
	v_and_b32_e32 v79, 3, v79
	v_and_b32_e32 v75, 0x80000000, v75
	v_lshl_add_u32 v77, v77, 23, 0x37800000
	v_cndmask_b32_e32 v76, v76, v79, vcc_lo
	v_lshlrev_b32_e32 v76, 21, v76
	v_or3_b32 v76, v75, v77, v76
.LBB2_1201:                             ;   in Loop: Header=BB2_1135 Depth=4
	s_or_b32 exec_lo, exec_lo, s63
	s_waitcnt vmcnt(4) lgkmcnt(4)
	v_cmp_gt_i16_sdwa s63, v74, v100 src0_sel:BYTE_0 src1_sel:DWORD
	s_mov_b32 s16, 0
	s_and_saveexec_b32 s72, s63
	s_xor_b32 s63, exec_lo, s72
	s_cbranch_execz .LBB2_1307
; %bb.1202:                             ;   in Loop: Header=BB2_1135 Depth=4
	v_cmp_eq_u16_sdwa s73, v74, v101 src0_sel:BYTE_0 src1_sel:DWORD
	s_mov_b32 s16, -1
	s_and_saveexec_b32 s72, s73
; %bb.1203:                             ;   in Loop: Header=BB2_1135 Depth=4
	s_xor_b32 s16, exec_lo, -1
; %bb.1204:                             ;   in Loop: Header=BB2_1135 Depth=4
	s_or_b32 exec_lo, exec_lo, s72
	s_and_b32 s16, s16, exec_lo
	s_or_saveexec_b32 s63, s63
	v_mov_b32_e32 v75, 0x7f800001
	s_xor_b32 exec_lo, exec_lo, s63
	s_cbranch_execnz .LBB2_1308
.LBB2_1205:                             ;   in Loop: Header=BB2_1135 Depth=4
	s_or_b32 exec_lo, exec_lo, s63
	s_and_saveexec_b32 s63, s16
	s_cbranch_execz .LBB2_1207
.LBB2_1206:                             ;   in Loop: Header=BB2_1135 Depth=4
	v_and_b32_e32 v75, 3, v74
	v_lshrrev_b16 v78, 2, v74
	v_ffbh_u32_e32 v77, v75
	v_and_b32_e32 v78, 31, v78
	v_min_u32_e32 v77, 32, v77
	v_cmp_eq_u32_e32 vcc_lo, 0, v78
	v_subrev_nc_u32_e32 v79, 29, v77
	v_sub_nc_u32_e32 v77, 30, v77
	v_lshlrev_b32_e32 v79, v79, v74
	v_lshlrev_b32_e32 v74, 24, v74
	v_cndmask_b32_e32 v77, v78, v77, vcc_lo
	v_and_b32_e32 v79, 3, v79
	v_and_b32_e32 v74, 0x80000000, v74
	v_lshl_add_u32 v77, v77, 23, 0x37800000
	v_cndmask_b32_e32 v75, v75, v79, vcc_lo
	v_lshlrev_b32_e32 v75, 21, v75
	v_or3_b32 v75, v74, v77, v75
.LBB2_1207:                             ;   in Loop: Header=BB2_1135 Depth=4
	s_or_b32 exec_lo, exec_lo, s63
	v_mul_f32_e32 v75, v76, v75
	v_and_b32_e32 v74, 0x7f800000, v75
	v_cmp_ne_u32_e32 vcc_lo, 0x7f800000, v74
	v_mov_b32_e32 v74, 0x80
	s_and_saveexec_b32 s63, vcc_lo
	s_cbranch_execz .LBB2_1215
; %bb.1208:                             ;   in Loop: Header=BB2_1135 Depth=4
	v_mov_b32_e32 v74, 0
	s_mov_b32 s72, exec_lo
	v_cmpx_ne_u32_e32 0, v75
	s_cbranch_execz .LBB2_1214
; %bb.1209:                             ;   in Loop: Header=BB2_1135 Depth=4
	v_bfe_u32 v74, v75, 23, 8
	v_and_b32_e32 v76, 0x7fffff, v75
	v_sub_nc_u32_e32 v77, 0x70, v74
	v_cmp_gt_u32_e32 vcc_lo, 0x71, v74
	v_or_b32_e32 v78, 0x800000, v76
	v_cndmask_b32_e32 v77, 0, v77, vcc_lo
	v_cmp_eq_u32_e32 vcc_lo, 0, v74
	v_add_nc_u32_e32 v74, 0xffffff91, v74
	v_cndmask_b32_e64 v77, v77, 0x6f, vcc_lo
	v_cndmask_b32_e32 v76, v78, v76, vcc_lo
	v_cndmask_b32_e64 v74, v74, 0xffffff92, vcc_lo
	v_lshl_add_u32 v78, 0x200000, v77, -1
	v_lshrrev_b32_e32 v79, v77, v76
	v_lshlrev_b32_e64 v89, v77, 0x100000
	v_add_nc_u32_e32 v77, v77, v74
	v_and_b32_e32 v76, v78, v76
	v_bfe_u32 v88, v79, 21, 1
	v_cmp_eq_u32_e64 s16, v76, v89
	v_add_nc_u32_e32 v78, -1, v88
	v_cndmask_b32_e64 v76, 0, v78, s16
	v_lshrrev_b32_e32 v78, 23, v79
	s_mov_b32 s16, exec_lo
	v_add_nc_u32_e32 v76, v76, v79
	v_xor_b32_e32 v78, 1, v78
	v_and_b32_e32 v74, 0x1fffff, v76
	v_add_nc_u32_e32 v76, v74, v79
                                        ; implicit-def: $vgpr74
	v_cmpx_ne_u32_e64 v77, v78
	s_xor_b32 s16, exec_lo, s16
; %bb.1210:                             ;   in Loop: Header=BB2_1135 Depth=4
	v_cmp_lt_u32_e32 vcc_lo, 0xffffff, v76
	v_sub_nc_u32_e32 v74, v77, v78
	v_cndmask_b32_e64 v77, 0, 1, vcc_lo
	v_add_co_ci_u32_e64 v74, null, 0, v74, vcc_lo
	v_lshrrev_b32_e32 v76, v77, v76
; %bb.1211:                             ;   in Loop: Header=BB2_1135 Depth=4
	s_andn2_saveexec_b32 s16, s16
; %bb.1212:                             ;   in Loop: Header=BB2_1135 Depth=4
	v_bfe_u32 v74, v76, 23, 1
; %bb.1213:                             ;   in Loop: Header=BB2_1135 Depth=4
	s_or_b32 exec_lo, exec_lo, s16
	v_lshrrev_b32_e32 v76, 21, v76
	v_cmp_gt_i32_e32 vcc_lo, 32, v74
	v_min_i32_e32 v77, 31, v74
	v_and_b32_sdwa v75, v75, v101 dst_sel:DWORD dst_unused:UNUSED_PAD src0_sel:BYTE_3 src1_sel:DWORD
	v_cndmask_b32_e32 v76, 3, v76, vcc_lo
	v_lshlrev_b32_e32 v77, 2, v77
	v_and_b32_e32 v78, 3, v76
	v_or_b32_e32 v74, v74, v76
	v_or3_b32 v75, v77, v75, v78
	v_cmp_ne_u32_e32 vcc_lo, 0, v74
	v_cndmask_b32_e32 v74, 0, v75, vcc_lo
.LBB2_1214:                             ;   in Loop: Header=BB2_1135 Depth=4
	s_or_b32 exec_lo, exec_lo, s72
.LBB2_1215:                             ;   in Loop: Header=BB2_1135 Depth=4
	s_or_b32 exec_lo, exec_lo, s63
	v_cmp_gt_i16_sdwa s63, v73, v100 src0_sel:BYTE_0 src1_sel:DWORD
	s_mov_b32 s16, 0
	s_and_saveexec_b32 s72, s63
	s_xor_b32 s63, exec_lo, s72
	s_cbranch_execz .LBB2_1309
; %bb.1216:                             ;   in Loop: Header=BB2_1135 Depth=4
	v_cmp_eq_u16_sdwa s73, v73, v101 src0_sel:BYTE_0 src1_sel:DWORD
	s_mov_b32 s16, -1
	s_and_saveexec_b32 s72, s73
; %bb.1217:                             ;   in Loop: Header=BB2_1135 Depth=4
	s_xor_b32 s16, exec_lo, -1
; %bb.1218:                             ;   in Loop: Header=BB2_1135 Depth=4
	s_or_b32 exec_lo, exec_lo, s72
	s_and_b32 s16, s16, exec_lo
	s_or_saveexec_b32 s63, s63
	v_mov_b32_e32 v75, 0x7f800001
	s_xor_b32 exec_lo, exec_lo, s63
	s_cbranch_execnz .LBB2_1310
.LBB2_1219:                             ;   in Loop: Header=BB2_1135 Depth=4
	s_or_b32 exec_lo, exec_lo, s63
	s_and_saveexec_b32 s63, s16
	s_cbranch_execz .LBB2_1221
.LBB2_1220:                             ;   in Loop: Header=BB2_1135 Depth=4
	v_and_b32_e32 v75, 3, v73
	v_lshrrev_b16 v77, 2, v73
	v_ffbh_u32_e32 v76, v75
	v_and_b32_e32 v77, 31, v77
	v_min_u32_e32 v76, 32, v76
	v_cmp_eq_u32_e32 vcc_lo, 0, v77
	v_subrev_nc_u32_e32 v78, 29, v76
	v_sub_nc_u32_e32 v76, 30, v76
	v_lshlrev_b32_e32 v78, v78, v73
	v_lshlrev_b32_e32 v73, 24, v73
	v_cndmask_b32_e32 v76, v77, v76, vcc_lo
	v_and_b32_e32 v78, 3, v78
	v_and_b32_e32 v73, 0x80000000, v73
	v_lshl_add_u32 v76, v76, 23, 0x37800000
	v_cndmask_b32_e32 v75, v75, v78, vcc_lo
	v_lshlrev_b32_e32 v75, 21, v75
	v_or3_b32 v75, v73, v76, v75
.LBB2_1221:                             ;   in Loop: Header=BB2_1135 Depth=4
	s_or_b32 exec_lo, exec_lo, s63
	s_waitcnt vmcnt(3) lgkmcnt(3)
	v_cmp_gt_i16_sdwa s63, v72, v100 src0_sel:BYTE_0 src1_sel:DWORD
	s_mov_b32 s16, 0
	s_and_saveexec_b32 s72, s63
	s_xor_b32 s63, exec_lo, s72
	s_cbranch_execz .LBB2_1311
; %bb.1222:                             ;   in Loop: Header=BB2_1135 Depth=4
	v_cmp_eq_u16_sdwa s73, v72, v101 src0_sel:BYTE_0 src1_sel:DWORD
	s_mov_b32 s16, -1
	s_and_saveexec_b32 s72, s73
; %bb.1223:                             ;   in Loop: Header=BB2_1135 Depth=4
	s_xor_b32 s16, exec_lo, -1
; %bb.1224:                             ;   in Loop: Header=BB2_1135 Depth=4
	s_or_b32 exec_lo, exec_lo, s72
	s_and_b32 s16, s16, exec_lo
	s_or_saveexec_b32 s63, s63
	v_mov_b32_e32 v73, 0x7f800001
	s_xor_b32 exec_lo, exec_lo, s63
	s_cbranch_execnz .LBB2_1312
.LBB2_1225:                             ;   in Loop: Header=BB2_1135 Depth=4
	s_or_b32 exec_lo, exec_lo, s63
	s_and_saveexec_b32 s63, s16
	s_cbranch_execz .LBB2_1227
.LBB2_1226:                             ;   in Loop: Header=BB2_1135 Depth=4
	v_and_b32_e32 v73, 3, v72
	v_lshrrev_b16 v77, 2, v72
	v_ffbh_u32_e32 v76, v73
	v_and_b32_e32 v77, 31, v77
	v_min_u32_e32 v76, 32, v76
	v_cmp_eq_u32_e32 vcc_lo, 0, v77
	v_subrev_nc_u32_e32 v78, 29, v76
	v_sub_nc_u32_e32 v76, 30, v76
	v_lshlrev_b32_e32 v78, v78, v72
	v_lshlrev_b32_e32 v72, 24, v72
	v_cndmask_b32_e32 v76, v77, v76, vcc_lo
	v_and_b32_e32 v78, 3, v78
	v_and_b32_e32 v72, 0x80000000, v72
	v_lshl_add_u32 v76, v76, 23, 0x37800000
	v_cndmask_b32_e32 v73, v73, v78, vcc_lo
	v_lshlrev_b32_e32 v73, 21, v73
	v_or3_b32 v73, v72, v76, v73
.LBB2_1227:                             ;   in Loop: Header=BB2_1135 Depth=4
	s_or_b32 exec_lo, exec_lo, s63
	v_mul_f32_e32 v73, v75, v73
	v_and_b32_e32 v72, 0x7f800000, v73
	v_cmp_ne_u32_e32 vcc_lo, 0x7f800000, v72
	v_mov_b32_e32 v72, 0x80
	s_and_saveexec_b32 s63, vcc_lo
	s_cbranch_execz .LBB2_1235
; %bb.1228:                             ;   in Loop: Header=BB2_1135 Depth=4
	v_mov_b32_e32 v72, 0
	s_mov_b32 s72, exec_lo
	v_cmpx_ne_u32_e32 0, v73
	s_cbranch_execz .LBB2_1234
; %bb.1229:                             ;   in Loop: Header=BB2_1135 Depth=4
	v_bfe_u32 v72, v73, 23, 8
	v_and_b32_e32 v75, 0x7fffff, v73
	v_sub_nc_u32_e32 v76, 0x70, v72
	v_cmp_gt_u32_e32 vcc_lo, 0x71, v72
	v_or_b32_e32 v77, 0x800000, v75
	v_cndmask_b32_e32 v76, 0, v76, vcc_lo
	v_cmp_eq_u32_e32 vcc_lo, 0, v72
	v_add_nc_u32_e32 v72, 0xffffff91, v72
	v_cndmask_b32_e64 v76, v76, 0x6f, vcc_lo
	v_cndmask_b32_e32 v75, v77, v75, vcc_lo
	v_cndmask_b32_e64 v72, v72, 0xffffff92, vcc_lo
	v_lshl_add_u32 v77, 0x200000, v76, -1
	v_lshrrev_b32_e32 v78, v76, v75
	v_lshlrev_b32_e64 v88, v76, 0x100000
	v_add_nc_u32_e32 v76, v76, v72
	v_and_b32_e32 v75, v77, v75
	v_bfe_u32 v79, v78, 21, 1
	v_cmp_eq_u32_e64 s16, v75, v88
	v_add_nc_u32_e32 v77, -1, v79
	v_cndmask_b32_e64 v75, 0, v77, s16
	v_lshrrev_b32_e32 v77, 23, v78
	s_mov_b32 s16, exec_lo
	v_add_nc_u32_e32 v75, v75, v78
	v_xor_b32_e32 v77, 1, v77
	v_and_b32_e32 v72, 0x1fffff, v75
	v_add_nc_u32_e32 v75, v72, v78
                                        ; implicit-def: $vgpr72
	v_cmpx_ne_u32_e64 v76, v77
	s_xor_b32 s16, exec_lo, s16
; %bb.1230:                             ;   in Loop: Header=BB2_1135 Depth=4
	v_cmp_lt_u32_e32 vcc_lo, 0xffffff, v75
	v_sub_nc_u32_e32 v72, v76, v77
	v_cndmask_b32_e64 v76, 0, 1, vcc_lo
	v_add_co_ci_u32_e64 v72, null, 0, v72, vcc_lo
	v_lshrrev_b32_e32 v75, v76, v75
; %bb.1231:                             ;   in Loop: Header=BB2_1135 Depth=4
	s_andn2_saveexec_b32 s16, s16
; %bb.1232:                             ;   in Loop: Header=BB2_1135 Depth=4
	v_bfe_u32 v72, v75, 23, 1
; %bb.1233:                             ;   in Loop: Header=BB2_1135 Depth=4
	s_or_b32 exec_lo, exec_lo, s16
	v_lshrrev_b32_e32 v75, 21, v75
	v_cmp_gt_i32_e32 vcc_lo, 32, v72
	v_min_i32_e32 v76, 31, v72
	v_and_b32_sdwa v73, v73, v101 dst_sel:DWORD dst_unused:UNUSED_PAD src0_sel:BYTE_3 src1_sel:DWORD
	v_cndmask_b32_e32 v75, 3, v75, vcc_lo
	v_lshlrev_b32_e32 v76, 2, v76
	v_and_b32_e32 v77, 3, v75
	v_or_b32_e32 v72, v72, v75
	v_or3_b32 v73, v76, v73, v77
	v_cmp_ne_u32_e32 vcc_lo, 0, v72
	v_cndmask_b32_e32 v72, 0, v73, vcc_lo
.LBB2_1234:                             ;   in Loop: Header=BB2_1135 Depth=4
	s_or_b32 exec_lo, exec_lo, s72
.LBB2_1235:                             ;   in Loop: Header=BB2_1135 Depth=4
	s_or_b32 exec_lo, exec_lo, s63
	v_cmp_gt_i16_sdwa s63, v62, v100 src0_sel:BYTE_0 src1_sel:DWORD
	s_mov_b32 s16, 0
	s_and_saveexec_b32 s72, s63
	s_xor_b32 s63, exec_lo, s72
	s_cbranch_execz .LBB2_1313
; %bb.1236:                             ;   in Loop: Header=BB2_1135 Depth=4
	v_cmp_eq_u16_sdwa s73, v62, v101 src0_sel:BYTE_0 src1_sel:DWORD
	s_mov_b32 s16, -1
	s_and_saveexec_b32 s72, s73
; %bb.1237:                             ;   in Loop: Header=BB2_1135 Depth=4
	s_xor_b32 s16, exec_lo, -1
; %bb.1238:                             ;   in Loop: Header=BB2_1135 Depth=4
	s_or_b32 exec_lo, exec_lo, s72
	s_and_b32 s16, s16, exec_lo
	s_or_saveexec_b32 s63, s63
	v_mov_b32_e32 v73, 0x7f800001
	s_xor_b32 exec_lo, exec_lo, s63
	s_cbranch_execnz .LBB2_1314
.LBB2_1239:                             ;   in Loop: Header=BB2_1135 Depth=4
	s_or_b32 exec_lo, exec_lo, s63
	s_and_saveexec_b32 s63, s16
	s_cbranch_execz .LBB2_1241
.LBB2_1240:                             ;   in Loop: Header=BB2_1135 Depth=4
	v_and_b32_e32 v73, 3, v62
	v_lshrrev_b16 v76, 2, v62
	v_ffbh_u32_e32 v75, v73
	v_and_b32_e32 v76, 31, v76
	v_min_u32_e32 v75, 32, v75
	v_cmp_eq_u32_e32 vcc_lo, 0, v76
	v_subrev_nc_u32_e32 v77, 29, v75
	v_sub_nc_u32_e32 v75, 30, v75
	v_lshlrev_b32_e32 v77, v77, v62
	v_lshlrev_b32_e32 v62, 24, v62
	v_cndmask_b32_e32 v75, v76, v75, vcc_lo
	v_and_b32_e32 v77, 3, v77
	v_and_b32_e32 v62, 0x80000000, v62
	v_lshl_add_u32 v75, v75, 23, 0x37800000
	v_cndmask_b32_e32 v73, v73, v77, vcc_lo
	v_lshlrev_b32_e32 v73, 21, v73
	v_or3_b32 v73, v62, v75, v73
.LBB2_1241:                             ;   in Loop: Header=BB2_1135 Depth=4
	s_or_b32 exec_lo, exec_lo, s63
	s_waitcnt vmcnt(2) lgkmcnt(2)
	v_cmp_gt_i16_sdwa s63, v83, v100 src0_sel:BYTE_0 src1_sel:DWORD
	s_mov_b32 s16, 0
	s_and_saveexec_b32 s72, s63
	s_xor_b32 s63, exec_lo, s72
	s_cbranch_execz .LBB2_1315
; %bb.1242:                             ;   in Loop: Header=BB2_1135 Depth=4
	v_cmp_eq_u16_sdwa s73, v83, v101 src0_sel:BYTE_0 src1_sel:DWORD
	s_mov_b32 s16, -1
	s_and_saveexec_b32 s72, s73
; %bb.1243:                             ;   in Loop: Header=BB2_1135 Depth=4
	s_xor_b32 s16, exec_lo, -1
; %bb.1244:                             ;   in Loop: Header=BB2_1135 Depth=4
	s_or_b32 exec_lo, exec_lo, s72
	s_and_b32 s16, s16, exec_lo
	s_or_saveexec_b32 s63, s63
	v_mov_b32_e32 v62, 0x7f800001
	s_xor_b32 exec_lo, exec_lo, s63
	s_cbranch_execnz .LBB2_1316
.LBB2_1245:                             ;   in Loop: Header=BB2_1135 Depth=4
	s_or_b32 exec_lo, exec_lo, s63
	s_and_saveexec_b32 s63, s16
	s_cbranch_execz .LBB2_1247
.LBB2_1246:                             ;   in Loop: Header=BB2_1135 Depth=4
	v_and_b32_e32 v62, 3, v83
	v_lshrrev_b16 v76, 2, v83
	v_ffbh_u32_e32 v75, v62
	v_and_b32_e32 v76, 31, v76
	v_min_u32_e32 v75, 32, v75
	v_cmp_eq_u32_e32 vcc_lo, 0, v76
	v_subrev_nc_u32_e32 v77, 29, v75
	v_sub_nc_u32_e32 v75, 30, v75
	v_lshlrev_b32_e32 v77, v77, v83
	v_lshlrev_b32_e32 v83, 24, v83
	v_cndmask_b32_e32 v75, v76, v75, vcc_lo
	v_and_b32_e32 v77, 3, v77
	v_and_b32_e32 v83, 0x80000000, v83
	v_lshl_add_u32 v75, v75, 23, 0x37800000
	v_cndmask_b32_e32 v62, v62, v77, vcc_lo
	v_lshlrev_b32_e32 v62, 21, v62
	v_or3_b32 v62, v83, v75, v62
.LBB2_1247:                             ;   in Loop: Header=BB2_1135 Depth=4
	s_or_b32 exec_lo, exec_lo, s63
	v_mul_f32_e32 v62, v73, v62
	v_and_b32_e32 v83, 0x7f800000, v62
	v_cmp_ne_u32_e32 vcc_lo, 0x7f800000, v83
	v_mov_b32_e32 v83, 0x80
	s_and_saveexec_b32 s63, vcc_lo
	s_cbranch_execz .LBB2_1255
; %bb.1248:                             ;   in Loop: Header=BB2_1135 Depth=4
	v_mov_b32_e32 v83, 0
	s_mov_b32 s72, exec_lo
	v_cmpx_ne_u32_e32 0, v62
	s_cbranch_execz .LBB2_1254
; %bb.1249:                             ;   in Loop: Header=BB2_1135 Depth=4
	v_bfe_u32 v83, v62, 23, 8
	v_and_b32_e32 v73, 0x7fffff, v62
	v_sub_nc_u32_e32 v75, 0x70, v83
	v_cmp_gt_u32_e32 vcc_lo, 0x71, v83
	v_or_b32_e32 v76, 0x800000, v73
	v_cndmask_b32_e32 v75, 0, v75, vcc_lo
	v_cmp_eq_u32_e32 vcc_lo, 0, v83
	v_add_nc_u32_e32 v83, 0xffffff91, v83
	v_cndmask_b32_e64 v75, v75, 0x6f, vcc_lo
	v_cndmask_b32_e32 v73, v76, v73, vcc_lo
	v_cndmask_b32_e64 v83, v83, 0xffffff92, vcc_lo
	v_lshl_add_u32 v76, 0x200000, v75, -1
	v_lshrrev_b32_e32 v77, v75, v73
	v_lshlrev_b32_e64 v79, v75, 0x100000
	v_add_nc_u32_e32 v75, v75, v83
	v_and_b32_e32 v73, v76, v73
	v_bfe_u32 v78, v77, 21, 1
	v_cmp_eq_u32_e64 s16, v73, v79
	v_add_nc_u32_e32 v76, -1, v78
	v_cndmask_b32_e64 v73, 0, v76, s16
	v_lshrrev_b32_e32 v76, 23, v77
	s_mov_b32 s16, exec_lo
	v_add_nc_u32_e32 v73, v73, v77
	v_xor_b32_e32 v76, 1, v76
	v_and_b32_e32 v83, 0x1fffff, v73
	v_add_nc_u32_e32 v73, v83, v77
                                        ; implicit-def: $vgpr83
	v_cmpx_ne_u32_e64 v75, v76
	s_xor_b32 s16, exec_lo, s16
; %bb.1250:                             ;   in Loop: Header=BB2_1135 Depth=4
	v_cmp_lt_u32_e32 vcc_lo, 0xffffff, v73
	v_sub_nc_u32_e32 v83, v75, v76
	v_cndmask_b32_e64 v75, 0, 1, vcc_lo
	v_add_co_ci_u32_e64 v83, null, 0, v83, vcc_lo
	v_lshrrev_b32_e32 v73, v75, v73
; %bb.1251:                             ;   in Loop: Header=BB2_1135 Depth=4
	s_andn2_saveexec_b32 s16, s16
; %bb.1252:                             ;   in Loop: Header=BB2_1135 Depth=4
	v_bfe_u32 v83, v73, 23, 1
; %bb.1253:                             ;   in Loop: Header=BB2_1135 Depth=4
	s_or_b32 exec_lo, exec_lo, s16
	v_lshrrev_b32_e32 v73, 21, v73
	v_cmp_gt_i32_e32 vcc_lo, 32, v83
	v_min_i32_e32 v75, 31, v83
	v_and_b32_sdwa v62, v62, v101 dst_sel:DWORD dst_unused:UNUSED_PAD src0_sel:BYTE_3 src1_sel:DWORD
	v_cndmask_b32_e32 v73, 3, v73, vcc_lo
	v_lshlrev_b32_e32 v75, 2, v75
	v_and_b32_e32 v76, 3, v73
	v_or_b32_e32 v83, v83, v73
	v_or3_b32 v62, v75, v62, v76
	v_cmp_ne_u32_e32 vcc_lo, 0, v83
	v_cndmask_b32_e32 v83, 0, v62, vcc_lo
.LBB2_1254:                             ;   in Loop: Header=BB2_1135 Depth=4
	s_or_b32 exec_lo, exec_lo, s72
.LBB2_1255:                             ;   in Loop: Header=BB2_1135 Depth=4
	s_or_b32 exec_lo, exec_lo, s63
	v_cmp_gt_i16_sdwa s63, v81, v100 src0_sel:BYTE_0 src1_sel:DWORD
	s_mov_b32 s16, 0
	s_and_saveexec_b32 s72, s63
	s_xor_b32 s63, exec_lo, s72
	s_cbranch_execz .LBB2_1317
; %bb.1256:                             ;   in Loop: Header=BB2_1135 Depth=4
	v_cmp_eq_u16_sdwa s73, v81, v101 src0_sel:BYTE_0 src1_sel:DWORD
	s_mov_b32 s16, -1
	s_and_saveexec_b32 s72, s73
; %bb.1257:                             ;   in Loop: Header=BB2_1135 Depth=4
	s_xor_b32 s16, exec_lo, -1
; %bb.1258:                             ;   in Loop: Header=BB2_1135 Depth=4
	s_or_b32 exec_lo, exec_lo, s72
	s_and_b32 s16, s16, exec_lo
	s_or_saveexec_b32 s63, s63
	v_mov_b32_e32 v62, 0x7f800001
	s_xor_b32 exec_lo, exec_lo, s63
	s_cbranch_execnz .LBB2_1318
.LBB2_1259:                             ;   in Loop: Header=BB2_1135 Depth=4
	s_or_b32 exec_lo, exec_lo, s63
	s_and_saveexec_b32 s63, s16
	s_cbranch_execz .LBB2_1261
.LBB2_1260:                             ;   in Loop: Header=BB2_1135 Depth=4
	v_and_b32_e32 v62, 3, v81
	v_lshrrev_b16 v75, 2, v81
	v_ffbh_u32_e32 v73, v62
	v_and_b32_e32 v75, 31, v75
	v_min_u32_e32 v73, 32, v73
	v_cmp_eq_u32_e32 vcc_lo, 0, v75
	v_subrev_nc_u32_e32 v76, 29, v73
	v_sub_nc_u32_e32 v73, 30, v73
	v_lshlrev_b32_e32 v76, v76, v81
	v_lshlrev_b32_e32 v81, 24, v81
	v_cndmask_b32_e32 v73, v75, v73, vcc_lo
	v_and_b32_e32 v76, 3, v76
	v_and_b32_e32 v81, 0x80000000, v81
	v_lshl_add_u32 v73, v73, 23, 0x37800000
	v_cndmask_b32_e32 v62, v62, v76, vcc_lo
	v_lshlrev_b32_e32 v62, 21, v62
	v_or3_b32 v62, v81, v73, v62
.LBB2_1261:                             ;   in Loop: Header=BB2_1135 Depth=4
	s_or_b32 exec_lo, exec_lo, s63
	s_waitcnt vmcnt(1) lgkmcnt(1)
	v_cmp_gt_i16_sdwa s63, v69, v100 src0_sel:BYTE_0 src1_sel:DWORD
	s_mov_b32 s16, 0
	s_and_saveexec_b32 s72, s63
	s_xor_b32 s63, exec_lo, s72
	s_cbranch_execz .LBB2_1319
; %bb.1262:                             ;   in Loop: Header=BB2_1135 Depth=4
	v_cmp_eq_u16_sdwa s73, v69, v101 src0_sel:BYTE_0 src1_sel:DWORD
	s_mov_b32 s16, -1
	s_and_saveexec_b32 s72, s73
; %bb.1263:                             ;   in Loop: Header=BB2_1135 Depth=4
	s_xor_b32 s16, exec_lo, -1
; %bb.1264:                             ;   in Loop: Header=BB2_1135 Depth=4
	s_or_b32 exec_lo, exec_lo, s72
	s_and_b32 s16, s16, exec_lo
	s_or_saveexec_b32 s63, s63
	v_mov_b32_e32 v81, 0x7f800001
	s_xor_b32 exec_lo, exec_lo, s63
	s_cbranch_execnz .LBB2_1320
.LBB2_1265:                             ;   in Loop: Header=BB2_1135 Depth=4
	s_or_b32 exec_lo, exec_lo, s63
	s_and_saveexec_b32 s63, s16
	s_cbranch_execz .LBB2_1267
.LBB2_1266:                             ;   in Loop: Header=BB2_1135 Depth=4
	v_and_b32_e32 v81, 3, v69
	v_lshrrev_b16 v75, 2, v69
	v_ffbh_u32_e32 v73, v81
	v_and_b32_e32 v75, 31, v75
	v_min_u32_e32 v73, 32, v73
	v_cmp_eq_u32_e32 vcc_lo, 0, v75
	v_subrev_nc_u32_e32 v76, 29, v73
	v_sub_nc_u32_e32 v73, 30, v73
	v_lshlrev_b32_e32 v76, v76, v69
	v_lshlrev_b32_e32 v69, 24, v69
	v_cndmask_b32_e32 v73, v75, v73, vcc_lo
	v_and_b32_e32 v76, 3, v76
	v_and_b32_e32 v69, 0x80000000, v69
	v_lshl_add_u32 v73, v73, 23, 0x37800000
	v_cndmask_b32_e32 v81, v81, v76, vcc_lo
	v_lshlrev_b32_e32 v81, 21, v81
	v_or3_b32 v81, v69, v73, v81
.LBB2_1267:                             ;   in Loop: Header=BB2_1135 Depth=4
	s_or_b32 exec_lo, exec_lo, s63
	v_mul_f32_e32 v81, v62, v81
	v_and_b32_e32 v69, 0x7f800000, v81
	v_cmp_ne_u32_e32 vcc_lo, 0x7f800000, v69
	v_mov_b32_e32 v69, 0x80
	s_and_saveexec_b32 s63, vcc_lo
	s_cbranch_execz .LBB2_1275
; %bb.1268:                             ;   in Loop: Header=BB2_1135 Depth=4
	v_mov_b32_e32 v69, 0
	s_mov_b32 s72, exec_lo
	v_cmpx_ne_u32_e32 0, v81
	s_cbranch_execz .LBB2_1274
; %bb.1269:                             ;   in Loop: Header=BB2_1135 Depth=4
	v_bfe_u32 v69, v81, 23, 8
	v_and_b32_e32 v62, 0x7fffff, v81
	v_sub_nc_u32_e32 v73, 0x70, v69
	v_cmp_gt_u32_e32 vcc_lo, 0x71, v69
	v_or_b32_e32 v75, 0x800000, v62
	v_cndmask_b32_e32 v73, 0, v73, vcc_lo
	v_cmp_eq_u32_e32 vcc_lo, 0, v69
	v_add_nc_u32_e32 v69, 0xffffff91, v69
	v_cndmask_b32_e64 v73, v73, 0x6f, vcc_lo
	v_cndmask_b32_e32 v62, v75, v62, vcc_lo
	v_cndmask_b32_e64 v69, v69, 0xffffff92, vcc_lo
	v_lshl_add_u32 v75, 0x200000, v73, -1
	v_lshrrev_b32_e32 v76, v73, v62
	v_lshlrev_b32_e64 v78, v73, 0x100000
	v_add_nc_u32_e32 v73, v73, v69
	v_and_b32_e32 v62, v75, v62
	v_bfe_u32 v77, v76, 21, 1
	v_cmp_eq_u32_e64 s16, v62, v78
	v_add_nc_u32_e32 v75, -1, v77
	v_cndmask_b32_e64 v62, 0, v75, s16
	v_lshrrev_b32_e32 v75, 23, v76
	s_mov_b32 s16, exec_lo
	v_add_nc_u32_e32 v62, v62, v76
	v_xor_b32_e32 v75, 1, v75
	v_and_b32_e32 v69, 0x1fffff, v62
	v_add_nc_u32_e32 v62, v69, v76
                                        ; implicit-def: $vgpr69
	v_cmpx_ne_u32_e64 v73, v75
	s_xor_b32 s16, exec_lo, s16
; %bb.1270:                             ;   in Loop: Header=BB2_1135 Depth=4
	v_cmp_lt_u32_e32 vcc_lo, 0xffffff, v62
	v_sub_nc_u32_e32 v69, v73, v75
	v_cndmask_b32_e64 v73, 0, 1, vcc_lo
	v_add_co_ci_u32_e64 v69, null, 0, v69, vcc_lo
	v_lshrrev_b32_e32 v62, v73, v62
; %bb.1271:                             ;   in Loop: Header=BB2_1135 Depth=4
	s_andn2_saveexec_b32 s16, s16
; %bb.1272:                             ;   in Loop: Header=BB2_1135 Depth=4
	v_bfe_u32 v69, v62, 23, 1
; %bb.1273:                             ;   in Loop: Header=BB2_1135 Depth=4
	s_or_b32 exec_lo, exec_lo, s16
	v_lshrrev_b32_e32 v62, 21, v62
	v_cmp_gt_i32_e32 vcc_lo, 32, v69
	v_min_i32_e32 v73, 31, v69
	v_and_b32_sdwa v81, v81, v101 dst_sel:DWORD dst_unused:UNUSED_PAD src0_sel:BYTE_3 src1_sel:DWORD
	v_cndmask_b32_e32 v62, 3, v62, vcc_lo
	v_lshlrev_b32_e32 v73, 2, v73
	v_and_b32_e32 v75, 3, v62
	v_or_b32_e32 v69, v69, v62
	v_or3_b32 v81, v73, v81, v75
	v_cmp_ne_u32_e32 vcc_lo, 0, v69
	v_cndmask_b32_e32 v69, 0, v81, vcc_lo
.LBB2_1274:                             ;   in Loop: Header=BB2_1135 Depth=4
	s_or_b32 exec_lo, exec_lo, s72
.LBB2_1275:                             ;   in Loop: Header=BB2_1135 Depth=4
	s_or_b32 exec_lo, exec_lo, s63
	v_cmp_gt_i16_sdwa s63, v67, v100 src0_sel:BYTE_0 src1_sel:DWORD
	s_mov_b32 s16, 0
	s_and_saveexec_b32 s72, s63
	s_xor_b32 s63, exec_lo, s72
	s_cbranch_execz .LBB2_1321
; %bb.1276:                             ;   in Loop: Header=BB2_1135 Depth=4
	v_cmp_eq_u16_sdwa s73, v67, v101 src0_sel:BYTE_0 src1_sel:DWORD
	s_mov_b32 s16, -1
	s_and_saveexec_b32 s72, s73
; %bb.1277:                             ;   in Loop: Header=BB2_1135 Depth=4
	s_xor_b32 s16, exec_lo, -1
; %bb.1278:                             ;   in Loop: Header=BB2_1135 Depth=4
	s_or_b32 exec_lo, exec_lo, s72
	s_and_b32 s16, s16, exec_lo
	s_or_saveexec_b32 s63, s63
	v_mov_b32_e32 v81, 0x7f800001
	s_xor_b32 exec_lo, exec_lo, s63
	s_cbranch_execnz .LBB2_1322
.LBB2_1279:                             ;   in Loop: Header=BB2_1135 Depth=4
	s_or_b32 exec_lo, exec_lo, s63
	s_and_saveexec_b32 s63, s16
	s_cbranch_execz .LBB2_1281
.LBB2_1280:                             ;   in Loop: Header=BB2_1135 Depth=4
	v_and_b32_e32 v81, 3, v67
	v_lshrrev_b16 v73, 2, v67
	v_ffbh_u32_e32 v62, v81
	v_and_b32_e32 v73, 31, v73
	v_min_u32_e32 v62, 32, v62
	v_cmp_eq_u32_e32 vcc_lo, 0, v73
	v_subrev_nc_u32_e32 v75, 29, v62
	v_sub_nc_u32_e32 v62, 30, v62
	v_lshlrev_b32_e32 v75, v75, v67
	v_lshlrev_b32_e32 v67, 24, v67
	v_cndmask_b32_e32 v62, v73, v62, vcc_lo
	v_and_b32_e32 v75, 3, v75
	v_and_b32_e32 v67, 0x80000000, v67
	v_lshl_add_u32 v62, v62, 23, 0x37800000
	v_cndmask_b32_e32 v81, v81, v75, vcc_lo
	v_lshlrev_b32_e32 v81, 21, v81
	v_or3_b32 v81, v67, v62, v81
.LBB2_1281:                             ;   in Loop: Header=BB2_1135 Depth=4
	s_or_b32 exec_lo, exec_lo, s63
	s_waitcnt vmcnt(0) lgkmcnt(0)
	v_cmp_gt_i16_sdwa s63, v66, v100 src0_sel:BYTE_0 src1_sel:DWORD
	s_mov_b32 s16, 0
	s_and_saveexec_b32 s72, s63
	s_xor_b32 s63, exec_lo, s72
	s_cbranch_execz .LBB2_1323
; %bb.1282:                             ;   in Loop: Header=BB2_1135 Depth=4
	v_cmp_eq_u16_sdwa s73, v66, v101 src0_sel:BYTE_0 src1_sel:DWORD
	s_mov_b32 s16, -1
	s_and_saveexec_b32 s72, s73
; %bb.1283:                             ;   in Loop: Header=BB2_1135 Depth=4
	s_xor_b32 s16, exec_lo, -1
; %bb.1284:                             ;   in Loop: Header=BB2_1135 Depth=4
	s_or_b32 exec_lo, exec_lo, s72
	s_and_b32 s16, s16, exec_lo
	s_or_saveexec_b32 s63, s63
	v_mov_b32_e32 v67, 0x7f800001
	s_xor_b32 exec_lo, exec_lo, s63
	s_cbranch_execnz .LBB2_1324
.LBB2_1285:                             ;   in Loop: Header=BB2_1135 Depth=4
	s_or_b32 exec_lo, exec_lo, s63
	s_and_saveexec_b32 s63, s16
	s_cbranch_execz .LBB2_1287
.LBB2_1286:                             ;   in Loop: Header=BB2_1135 Depth=4
	v_and_b32_e32 v67, 3, v66
	v_lshrrev_b16 v73, 2, v66
	v_ffbh_u32_e32 v62, v67
	v_and_b32_e32 v73, 31, v73
	v_min_u32_e32 v62, 32, v62
	v_cmp_eq_u32_e32 vcc_lo, 0, v73
	v_subrev_nc_u32_e32 v75, 29, v62
	v_sub_nc_u32_e32 v62, 30, v62
	v_lshlrev_b32_e32 v75, v75, v66
	v_lshlrev_b32_e32 v66, 24, v66
	v_cndmask_b32_e32 v62, v73, v62, vcc_lo
	v_and_b32_e32 v75, 3, v75
	v_and_b32_e32 v66, 0x80000000, v66
	v_lshl_add_u32 v62, v62, 23, 0x37800000
	v_cndmask_b32_e32 v67, v67, v75, vcc_lo
	v_lshlrev_b32_e32 v67, 21, v67
	v_or3_b32 v67, v66, v62, v67
.LBB2_1287:                             ;   in Loop: Header=BB2_1135 Depth=4
	s_or_b32 exec_lo, exec_lo, s63
	v_mul_f32_e32 v66, v81, v67
	v_and_b32_e32 v67, 0x7f800000, v66
	v_cmp_ne_u32_e32 vcc_lo, 0x7f800000, v67
	v_mov_b32_e32 v67, 0x80
	s_and_saveexec_b32 s63, vcc_lo
	s_cbranch_execz .LBB2_1134
; %bb.1288:                             ;   in Loop: Header=BB2_1135 Depth=4
	v_mov_b32_e32 v67, 0
	s_mov_b32 s72, exec_lo
	v_cmpx_ne_u32_e32 0, v66
	s_cbranch_execz .LBB2_1133
; %bb.1289:                             ;   in Loop: Header=BB2_1135 Depth=4
	v_bfe_u32 v67, v66, 23, 8
	v_and_b32_e32 v81, 0x7fffff, v66
	v_sub_nc_u32_e32 v62, 0x70, v67
	v_cmp_gt_u32_e32 vcc_lo, 0x71, v67
	v_or_b32_e32 v73, 0x800000, v81
	v_cndmask_b32_e32 v62, 0, v62, vcc_lo
	v_cmp_eq_u32_e32 vcc_lo, 0, v67
	v_add_nc_u32_e32 v67, 0xffffff91, v67
	v_cndmask_b32_e64 v62, v62, 0x6f, vcc_lo
	v_cndmask_b32_e32 v81, v73, v81, vcc_lo
	v_cndmask_b32_e64 v67, v67, 0xffffff92, vcc_lo
	v_lshl_add_u32 v73, 0x200000, v62, -1
	v_lshrrev_b32_e32 v75, v62, v81
	v_lshlrev_b32_e64 v77, v62, 0x100000
	v_add_nc_u32_e32 v62, v62, v67
	v_and_b32_e32 v81, v73, v81
	v_bfe_u32 v76, v75, 21, 1
	v_cmp_eq_u32_e64 s16, v81, v77
	v_add_nc_u32_e32 v73, -1, v76
	v_cndmask_b32_e64 v81, 0, v73, s16
	v_lshrrev_b32_e32 v73, 23, v75
	s_mov_b32 s16, exec_lo
	v_add_nc_u32_e32 v81, v81, v75
	v_xor_b32_e32 v73, 1, v73
	v_and_b32_e32 v67, 0x1fffff, v81
	v_add_nc_u32_e32 v81, v67, v75
                                        ; implicit-def: $vgpr67
	v_cmpx_ne_u32_e64 v62, v73
	s_xor_b32 s16, exec_lo, s16
; %bb.1290:                             ;   in Loop: Header=BB2_1135 Depth=4
	v_cmp_lt_u32_e32 vcc_lo, 0xffffff, v81
	v_sub_nc_u32_e32 v67, v62, v73
	v_cndmask_b32_e64 v62, 0, 1, vcc_lo
	v_add_co_ci_u32_e64 v67, null, 0, v67, vcc_lo
	v_lshrrev_b32_e32 v81, v62, v81
; %bb.1291:                             ;   in Loop: Header=BB2_1135 Depth=4
	s_andn2_saveexec_b32 s16, s16
	s_cbranch_execz .LBB2_1132
; %bb.1292:                             ;   in Loop: Header=BB2_1135 Depth=4
	v_bfe_u32 v67, v81, 23, 1
	s_branch .LBB2_1132
.LBB2_1293:                             ;   in Loop: Header=BB2_1135 Depth=4
	s_or_saveexec_b32 s63, s63
	v_mov_b32_e32 v78, 0x7f800001
	s_xor_b32 exec_lo, exec_lo, s63
	s_cbranch_execz .LBB2_1139
.LBB2_1294:                             ;   in Loop: Header=BB2_1135 Depth=4
	v_cmp_ne_u16_e32 vcc_lo, 0, v79
	v_mov_b32_e32 v78, 0
	s_andn2_b32 s16, s16, exec_lo
	s_and_b32 s72, vcc_lo, exec_lo
	s_or_b32 s16, s16, s72
	s_or_b32 exec_lo, exec_lo, s63
	s_and_saveexec_b32 s63, s16
	s_cbranch_execnz .LBB2_1140
	s_branch .LBB2_1141
.LBB2_1295:                             ;   in Loop: Header=BB2_1135 Depth=4
	s_or_saveexec_b32 s63, s63
	v_mov_b32_e32 v79, 0x7f800001
	s_xor_b32 exec_lo, exec_lo, s63
	s_cbranch_execz .LBB2_1145
.LBB2_1296:                             ;   in Loop: Header=BB2_1135 Depth=4
	v_cmp_ne_u16_sdwa s72, v68, v2 src0_sel:BYTE_0 src1_sel:DWORD
	v_mov_b32_e32 v79, 0
	s_andn2_b32 s16, s16, exec_lo
	s_and_b32 s72, s72, exec_lo
	s_or_b32 s16, s16, s72
	s_or_b32 exec_lo, exec_lo, s63
	s_and_saveexec_b32 s63, s16
	s_cbranch_execnz .LBB2_1146
	s_branch .LBB2_1147
.LBB2_1297:                             ;   in Loop: Header=BB2_1135 Depth=4
	s_or_saveexec_b32 s63, s63
	v_mov_b32_e32 v78, 0x7f800001
	s_xor_b32 exec_lo, exec_lo, s63
	s_cbranch_execz .LBB2_1159
.LBB2_1298:                             ;   in Loop: Header=BB2_1135 Depth=4
	v_cmp_ne_u16_sdwa s72, v77, v2 src0_sel:BYTE_0 src1_sel:DWORD
	v_mov_b32_e32 v78, 0
	s_andn2_b32 s16, s16, exec_lo
	s_and_b32 s72, s72, exec_lo
	s_or_b32 s16, s16, s72
	s_or_b32 exec_lo, exec_lo, s63
	s_and_saveexec_b32 s63, s16
	s_cbranch_execnz .LBB2_1160
	s_branch .LBB2_1161
.LBB2_1299:                             ;   in Loop: Header=BB2_1135 Depth=4
	s_or_saveexec_b32 s63, s63
	v_mov_b32_e32 v77, 0x7f800001
	s_xor_b32 exec_lo, exec_lo, s63
	s_cbranch_execz .LBB2_1165
.LBB2_1300:                             ;   in Loop: Header=BB2_1135 Depth=4
	v_cmp_ne_u16_sdwa s72, v82, v2 src0_sel:BYTE_0 src1_sel:DWORD
	v_mov_b32_e32 v77, 0
	s_andn2_b32 s16, s16, exec_lo
	s_and_b32 s72, s72, exec_lo
	s_or_b32 s16, s16, s72
	s_or_b32 exec_lo, exec_lo, s63
	s_and_saveexec_b32 s63, s16
	s_cbranch_execnz .LBB2_1166
	s_branch .LBB2_1167
.LBB2_1301:                             ;   in Loop: Header=BB2_1135 Depth=4
	s_or_saveexec_b32 s63, s63
	v_mov_b32_e32 v77, 0x7f800001
	s_xor_b32 exec_lo, exec_lo, s63
	s_cbranch_execz .LBB2_1179
.LBB2_1302:                             ;   in Loop: Header=BB2_1135 Depth=4
	v_cmp_ne_u16_sdwa s72, v76, v2 src0_sel:BYTE_0 src1_sel:DWORD
	v_mov_b32_e32 v77, 0
	s_andn2_b32 s16, s16, exec_lo
	s_and_b32 s72, s72, exec_lo
	s_or_b32 s16, s16, s72
	s_or_b32 exec_lo, exec_lo, s63
	s_and_saveexec_b32 s63, s16
	s_cbranch_execnz .LBB2_1180
	s_branch .LBB2_1181
.LBB2_1303:                             ;   in Loop: Header=BB2_1135 Depth=4
	s_or_saveexec_b32 s63, s63
	v_mov_b32_e32 v76, 0x7f800001
	s_xor_b32 exec_lo, exec_lo, s63
	s_cbranch_execz .LBB2_1185
.LBB2_1304:                             ;   in Loop: Header=BB2_1135 Depth=4
	v_cmp_ne_u16_sdwa s72, v63, v2 src0_sel:BYTE_0 src1_sel:DWORD
	v_mov_b32_e32 v76, 0
	s_andn2_b32 s16, s16, exec_lo
	s_and_b32 s72, s72, exec_lo
	s_or_b32 s16, s16, s72
	s_or_b32 exec_lo, exec_lo, s63
	s_and_saveexec_b32 s63, s16
	s_cbranch_execnz .LBB2_1186
	s_branch .LBB2_1187
.LBB2_1305:                             ;   in Loop: Header=BB2_1135 Depth=4
	s_or_saveexec_b32 s63, s63
	v_mov_b32_e32 v76, 0x7f800001
	s_xor_b32 exec_lo, exec_lo, s63
	s_cbranch_execz .LBB2_1199
.LBB2_1306:                             ;   in Loop: Header=BB2_1135 Depth=4
	v_cmp_ne_u16_sdwa s72, v75, v2 src0_sel:BYTE_0 src1_sel:DWORD
	v_mov_b32_e32 v76, 0
	s_andn2_b32 s16, s16, exec_lo
	s_and_b32 s72, s72, exec_lo
	s_or_b32 s16, s16, s72
	s_or_b32 exec_lo, exec_lo, s63
	s_and_saveexec_b32 s63, s16
	s_cbranch_execnz .LBB2_1200
	s_branch .LBB2_1201
.LBB2_1307:                             ;   in Loop: Header=BB2_1135 Depth=4
	s_or_saveexec_b32 s63, s63
	v_mov_b32_e32 v75, 0x7f800001
	s_xor_b32 exec_lo, exec_lo, s63
	s_cbranch_execz .LBB2_1205
.LBB2_1308:                             ;   in Loop: Header=BB2_1135 Depth=4
	v_cmp_ne_u16_sdwa s72, v74, v2 src0_sel:BYTE_0 src1_sel:DWORD
	v_mov_b32_e32 v75, 0
	s_andn2_b32 s16, s16, exec_lo
	s_and_b32 s72, s72, exec_lo
	s_or_b32 s16, s16, s72
	s_or_b32 exec_lo, exec_lo, s63
	s_and_saveexec_b32 s63, s16
	s_cbranch_execnz .LBB2_1206
	s_branch .LBB2_1207
.LBB2_1309:                             ;   in Loop: Header=BB2_1135 Depth=4
	s_or_saveexec_b32 s63, s63
	v_mov_b32_e32 v75, 0x7f800001
	s_xor_b32 exec_lo, exec_lo, s63
	s_cbranch_execz .LBB2_1219
.LBB2_1310:                             ;   in Loop: Header=BB2_1135 Depth=4
	v_cmp_ne_u16_sdwa s72, v73, v2 src0_sel:BYTE_0 src1_sel:DWORD
	v_mov_b32_e32 v75, 0
	s_andn2_b32 s16, s16, exec_lo
	s_and_b32 s72, s72, exec_lo
	s_or_b32 s16, s16, s72
	s_or_b32 exec_lo, exec_lo, s63
	s_and_saveexec_b32 s63, s16
	s_cbranch_execnz .LBB2_1220
	s_branch .LBB2_1221
.LBB2_1311:                             ;   in Loop: Header=BB2_1135 Depth=4
	s_or_saveexec_b32 s63, s63
	v_mov_b32_e32 v73, 0x7f800001
	s_xor_b32 exec_lo, exec_lo, s63
	s_cbranch_execz .LBB2_1225
.LBB2_1312:                             ;   in Loop: Header=BB2_1135 Depth=4
	v_cmp_ne_u16_sdwa s72, v72, v2 src0_sel:BYTE_0 src1_sel:DWORD
	v_mov_b32_e32 v73, 0
	s_andn2_b32 s16, s16, exec_lo
	s_and_b32 s72, s72, exec_lo
	s_or_b32 s16, s16, s72
	s_or_b32 exec_lo, exec_lo, s63
	s_and_saveexec_b32 s63, s16
	s_cbranch_execnz .LBB2_1226
	s_branch .LBB2_1227
.LBB2_1313:                             ;   in Loop: Header=BB2_1135 Depth=4
	s_or_saveexec_b32 s63, s63
	v_mov_b32_e32 v73, 0x7f800001
	s_xor_b32 exec_lo, exec_lo, s63
	s_cbranch_execz .LBB2_1239
.LBB2_1314:                             ;   in Loop: Header=BB2_1135 Depth=4
	v_cmp_ne_u16_sdwa s72, v62, v2 src0_sel:BYTE_0 src1_sel:DWORD
	v_mov_b32_e32 v73, 0
	s_andn2_b32 s16, s16, exec_lo
	s_and_b32 s72, s72, exec_lo
	s_or_b32 s16, s16, s72
	s_or_b32 exec_lo, exec_lo, s63
	s_and_saveexec_b32 s63, s16
	s_cbranch_execnz .LBB2_1240
	s_branch .LBB2_1241
.LBB2_1315:                             ;   in Loop: Header=BB2_1135 Depth=4
	s_or_saveexec_b32 s63, s63
	v_mov_b32_e32 v62, 0x7f800001
	s_xor_b32 exec_lo, exec_lo, s63
	s_cbranch_execz .LBB2_1245
.LBB2_1316:                             ;   in Loop: Header=BB2_1135 Depth=4
	v_cmp_ne_u16_sdwa s72, v83, v2 src0_sel:BYTE_0 src1_sel:DWORD
	v_mov_b32_e32 v62, 0
	s_andn2_b32 s16, s16, exec_lo
	s_and_b32 s72, s72, exec_lo
	s_or_b32 s16, s16, s72
	s_or_b32 exec_lo, exec_lo, s63
	s_and_saveexec_b32 s63, s16
	s_cbranch_execnz .LBB2_1246
	s_branch .LBB2_1247
.LBB2_1317:                             ;   in Loop: Header=BB2_1135 Depth=4
	s_or_saveexec_b32 s63, s63
	v_mov_b32_e32 v62, 0x7f800001
	s_xor_b32 exec_lo, exec_lo, s63
	s_cbranch_execz .LBB2_1259
.LBB2_1318:                             ;   in Loop: Header=BB2_1135 Depth=4
	v_cmp_ne_u16_sdwa s72, v81, v2 src0_sel:BYTE_0 src1_sel:DWORD
	v_mov_b32_e32 v62, 0
	s_andn2_b32 s16, s16, exec_lo
	s_and_b32 s72, s72, exec_lo
	s_or_b32 s16, s16, s72
	s_or_b32 exec_lo, exec_lo, s63
	s_and_saveexec_b32 s63, s16
	s_cbranch_execnz .LBB2_1260
	s_branch .LBB2_1261
.LBB2_1319:                             ;   in Loop: Header=BB2_1135 Depth=4
	s_or_saveexec_b32 s63, s63
	v_mov_b32_e32 v81, 0x7f800001
	s_xor_b32 exec_lo, exec_lo, s63
	s_cbranch_execz .LBB2_1265
.LBB2_1320:                             ;   in Loop: Header=BB2_1135 Depth=4
	v_cmp_ne_u16_sdwa s72, v69, v2 src0_sel:BYTE_0 src1_sel:DWORD
	v_mov_b32_e32 v81, 0
	s_andn2_b32 s16, s16, exec_lo
	s_and_b32 s72, s72, exec_lo
	s_or_b32 s16, s16, s72
	s_or_b32 exec_lo, exec_lo, s63
	s_and_saveexec_b32 s63, s16
	s_cbranch_execnz .LBB2_1266
	s_branch .LBB2_1267
.LBB2_1321:                             ;   in Loop: Header=BB2_1135 Depth=4
	s_or_saveexec_b32 s63, s63
	v_mov_b32_e32 v81, 0x7f800001
	s_xor_b32 exec_lo, exec_lo, s63
	s_cbranch_execz .LBB2_1279
.LBB2_1322:                             ;   in Loop: Header=BB2_1135 Depth=4
	v_cmp_ne_u16_sdwa s72, v67, v2 src0_sel:BYTE_0 src1_sel:DWORD
	v_mov_b32_e32 v81, 0
	s_andn2_b32 s16, s16, exec_lo
	s_and_b32 s72, s72, exec_lo
	s_or_b32 s16, s16, s72
	s_or_b32 exec_lo, exec_lo, s63
	s_and_saveexec_b32 s63, s16
	s_cbranch_execnz .LBB2_1280
	s_branch .LBB2_1281
.LBB2_1323:                             ;   in Loop: Header=BB2_1135 Depth=4
	s_or_saveexec_b32 s63, s63
	v_mov_b32_e32 v67, 0x7f800001
	s_xor_b32 exec_lo, exec_lo, s63
	s_cbranch_execz .LBB2_1285
.LBB2_1324:                             ;   in Loop: Header=BB2_1135 Depth=4
	v_cmp_ne_u16_sdwa s72, v66, v2 src0_sel:BYTE_0 src1_sel:DWORD
	v_mov_b32_e32 v67, 0
	s_andn2_b32 s16, s16, exec_lo
	s_and_b32 s72, s72, exec_lo
	s_or_b32 s16, s16, s72
	s_or_b32 exec_lo, exec_lo, s63
	s_and_saveexec_b32 s63, s16
	s_cbranch_execnz .LBB2_1286
	s_branch .LBB2_1287
.LBB2_1325:                             ;   in Loop: Header=BB2_274 Depth=3
	s_or_b32 exec_lo, exec_lo, s62
.LBB2_1326:                             ;   in Loop: Header=BB2_274 Depth=3
	s_or_b32 exec_lo, exec_lo, s61
	v_lshlrev_b32_e32 v8, 8, v80
	v_cmp_ne_u32_e32 vcc_lo, v15, v8
	s_and_b32 exec_lo, exec_lo, vcc_lo
	s_cbranch_execz .LBB2_1354
; %bb.1327:                             ;   in Loop: Header=BB2_274 Depth=3
	v_add_nc_u32_e32 v9, v70, v71
	v_lshlrev_b32_e32 v10, 5, v55
	v_and_b32_e32 v9, 0xffffffe0, v9
	v_sub_nc_u32_e32 v9, v70, v9
	v_sub_nc_u32_e32 v9, v9, v10
	v_add_nc_u32_e32 v8, v8, v9
	v_sub_nc_u32_e32 v15, v15, v8
	v_cmp_lt_i32_e32 vcc_lo, 0, v15
	s_and_b32 exec_lo, exec_lo, vcc_lo
	s_cbranch_execz .LBB2_1354
; %bb.1328:                             ;   in Loop: Header=BB2_274 Depth=3
	s_trap 2
	ds_read_b128 v[9:12], v0
	ds_read_b64 v[66:67], v0
	v_add_nc_u32_e32 v13, v8, v14
	s_mov_b32 s61, 0
	v_ashrrev_i32_e32 v14, 31, v13
	s_waitcnt lgkmcnt(1)
	v_add_co_u32 v8, vcc_lo, v9, v13
	v_add_co_ci_u32_e64 v9, null, v10, v14, vcc_lo
	v_add_co_u32 v10, vcc_lo, v11, v13
	v_add_co_ci_u32_e64 v11, null, v12, v14, vcc_lo
	s_waitcnt lgkmcnt(0)
	v_add_co_u32 v12, vcc_lo, v66, v13
	v_add_co_ci_u32_e64 v13, null, v67, v14, vcc_lo
	s_branch .LBB2_1332
.LBB2_1329:                             ;   in Loop: Header=BB2_1332 Depth=4
	s_or_b32 exec_lo, exec_lo, s16
	v_lshrrev_b32_e32 v66, 21, v66
	v_cmp_gt_i32_e32 vcc_lo, 32, v55
	v_min_i32_e32 v67, 31, v55
	v_and_b32_sdwa v14, v14, v101 dst_sel:DWORD dst_unused:UNUSED_PAD src0_sel:BYTE_3 src1_sel:DWORD
	v_cndmask_b32_e32 v66, 3, v66, vcc_lo
	v_lshlrev_b32_e32 v67, 2, v67
	v_and_b32_e32 v68, 3, v66
	v_or_b32_e32 v55, v55, v66
	v_or3_b32 v14, v67, v14, v68
	v_cmp_ne_u32_e32 vcc_lo, 0, v55
	v_cndmask_b32_e32 v55, 0, v14, vcc_lo
.LBB2_1330:                             ;   in Loop: Header=BB2_1332 Depth=4
	s_or_b32 exec_lo, exec_lo, s63
.LBB2_1331:                             ;   in Loop: Header=BB2_1332 Depth=4
	s_or_b32 exec_lo, exec_lo, s62
	v_sub_nc_u32_e32 v15, v15, v96
	v_add_co_u32 v8, vcc_lo, v8, v96
	v_add_co_ci_u32_e64 v9, null, 0, v9, vcc_lo
	v_add_co_u32 v10, vcc_lo, v10, v96
	flat_store_byte v[12:13], v55 glc slc
	v_add_co_ci_u32_e64 v11, null, 0, v11, vcc_lo
	v_cmp_gt_i32_e32 vcc_lo, 1, v15
	v_add_co_u32 v12, s16, v12, v96
	v_add_co_ci_u32_e64 v13, null, 0, v13, s16
	s_or_b32 s61, vcc_lo, s61
	s_andn2_b32 exec_lo, exec_lo, s61
	s_cbranch_execz .LBB2_1354
.LBB2_1332:                             ;   Parent Loop BB2_47 Depth=1
                                        ;     Parent Loop BB2_271 Depth=2
                                        ;       Parent Loop BB2_274 Depth=3
                                        ; =>      This Inner Loop Header: Depth=4
	flat_load_ubyte v66, v[8:9] slc
	flat_load_ubyte v14, v[10:11] slc
	s_mov_b32 s16, 0
	s_mov_b32 s62, exec_lo
	s_waitcnt vmcnt(1) lgkmcnt(1)
	v_cmpx_lt_i16_e32 0x7f, v66
	s_xor_b32 s62, exec_lo, s62
	s_cbranch_execz .LBB2_1350
; %bb.1333:                             ;   in Loop: Header=BB2_1332 Depth=4
	s_mov_b32 s16, -1
	s_mov_b32 s63, exec_lo
	v_cmpx_eq_u16_e32 0x80, v66
; %bb.1334:                             ;   in Loop: Header=BB2_1332 Depth=4
	s_xor_b32 s16, exec_lo, -1
; %bb.1335:                             ;   in Loop: Header=BB2_1332 Depth=4
	s_or_b32 exec_lo, exec_lo, s63
	s_and_b32 s16, s16, exec_lo
	s_or_saveexec_b32 s62, s62
	v_mov_b32_e32 v55, 0x7f800001
	s_xor_b32 exec_lo, exec_lo, s62
	s_cbranch_execnz .LBB2_1351
.LBB2_1336:                             ;   in Loop: Header=BB2_1332 Depth=4
	s_or_b32 exec_lo, exec_lo, s62
	s_and_saveexec_b32 s62, s16
	s_cbranch_execz .LBB2_1338
.LBB2_1337:                             ;   in Loop: Header=BB2_1332 Depth=4
	v_and_b32_e32 v55, 0xffff, v66
	v_lshlrev_b32_e32 v66, 24, v66
	v_and_b32_e32 v67, 3, v55
	v_bfe_u32 v70, v55, 2, 5
	v_and_b32_e32 v66, 0x80000000, v66
	v_ffbh_u32_e32 v68, v67
	v_cmp_eq_u32_e32 vcc_lo, 0, v70
	v_min_u32_e32 v68, 32, v68
	v_subrev_nc_u32_e32 v69, 29, v68
	v_sub_nc_u32_e32 v68, 30, v68
	v_lshlrev_b32_e32 v55, v69, v55
	v_cndmask_b32_e32 v68, v70, v68, vcc_lo
	v_and_b32_e32 v55, 3, v55
	v_cndmask_b32_e32 v55, v67, v55, vcc_lo
	v_lshl_add_u32 v67, v68, 23, 0x37800000
	v_lshlrev_b32_e32 v55, 21, v55
	v_or3_b32 v55, v66, v67, v55
.LBB2_1338:                             ;   in Loop: Header=BB2_1332 Depth=4
	s_or_b32 exec_lo, exec_lo, s62
	s_waitcnt vmcnt(0) lgkmcnt(0)
	v_cmp_gt_i16_sdwa s62, v14, v100 src0_sel:BYTE_0 src1_sel:DWORD
	s_mov_b32 s16, 0
	s_and_saveexec_b32 s63, s62
	s_xor_b32 s62, exec_lo, s63
	s_cbranch_execz .LBB2_1352
; %bb.1339:                             ;   in Loop: Header=BB2_1332 Depth=4
	v_cmp_eq_u16_sdwa s72, v14, v101 src0_sel:BYTE_0 src1_sel:DWORD
	s_mov_b32 s16, -1
	s_and_saveexec_b32 s63, s72
; %bb.1340:                             ;   in Loop: Header=BB2_1332 Depth=4
	s_xor_b32 s16, exec_lo, -1
; %bb.1341:                             ;   in Loop: Header=BB2_1332 Depth=4
	s_or_b32 exec_lo, exec_lo, s63
	s_and_b32 s16, s16, exec_lo
	s_or_saveexec_b32 s62, s62
	v_mov_b32_e32 v66, 0x7f800001
	s_xor_b32 exec_lo, exec_lo, s62
	s_cbranch_execnz .LBB2_1353
.LBB2_1342:                             ;   in Loop: Header=BB2_1332 Depth=4
	s_or_b32 exec_lo, exec_lo, s62
	s_and_saveexec_b32 s62, s16
	s_cbranch_execz .LBB2_1344
.LBB2_1343:                             ;   in Loop: Header=BB2_1332 Depth=4
	v_and_b32_e32 v66, 3, v14
	v_lshrrev_b16 v68, 2, v14
	v_ffbh_u32_e32 v67, v66
	v_and_b32_e32 v68, 31, v68
	v_min_u32_e32 v67, 32, v67
	v_cmp_eq_u32_e32 vcc_lo, 0, v68
	v_subrev_nc_u32_e32 v69, 29, v67
	v_sub_nc_u32_e32 v67, 30, v67
	v_lshlrev_b32_e32 v69, v69, v14
	v_lshlrev_b32_e32 v14, 24, v14
	v_cndmask_b32_e32 v67, v68, v67, vcc_lo
	v_and_b32_e32 v69, 3, v69
	v_and_b32_e32 v14, 0x80000000, v14
	v_lshl_add_u32 v67, v67, 23, 0x37800000
	v_cndmask_b32_e32 v66, v66, v69, vcc_lo
	v_lshlrev_b32_e32 v66, 21, v66
	v_or3_b32 v66, v14, v67, v66
.LBB2_1344:                             ;   in Loop: Header=BB2_1332 Depth=4
	s_or_b32 exec_lo, exec_lo, s62
	v_mul_f32_e32 v14, v55, v66
	v_and_b32_e32 v55, 0x7f800000, v14
	v_cmp_ne_u32_e32 vcc_lo, 0x7f800000, v55
	v_mov_b32_e32 v55, 0x80
	s_and_saveexec_b32 s62, vcc_lo
	s_cbranch_execz .LBB2_1331
; %bb.1345:                             ;   in Loop: Header=BB2_1332 Depth=4
	v_mov_b32_e32 v55, 0
	s_mov_b32 s63, exec_lo
	v_cmpx_ne_u32_e32 0, v14
	s_cbranch_execz .LBB2_1330
; %bb.1346:                             ;   in Loop: Header=BB2_1332 Depth=4
	v_bfe_u32 v55, v14, 23, 8
	v_and_b32_e32 v66, 0x7fffff, v14
	v_sub_nc_u32_e32 v67, 0x70, v55
	v_cmp_gt_u32_e32 vcc_lo, 0x71, v55
	v_or_b32_e32 v68, 0x800000, v66
	v_cndmask_b32_e32 v67, 0, v67, vcc_lo
	v_cmp_eq_u32_e32 vcc_lo, 0, v55
	v_add_nc_u32_e32 v55, 0xffffff91, v55
	v_cndmask_b32_e64 v67, v67, 0x6f, vcc_lo
	v_cndmask_b32_e32 v66, v68, v66, vcc_lo
	v_cndmask_b32_e64 v55, v55, 0xffffff92, vcc_lo
	v_lshl_add_u32 v68, 0x200000, v67, -1
	v_lshrrev_b32_e32 v69, v67, v66
	v_lshlrev_b32_e64 v71, v67, 0x100000
	v_add_nc_u32_e32 v67, v67, v55
	v_and_b32_e32 v66, v68, v66
	v_bfe_u32 v70, v69, 21, 1
	v_cmp_eq_u32_e64 s16, v66, v71
	v_add_nc_u32_e32 v68, -1, v70
	v_cndmask_b32_e64 v66, 0, v68, s16
	v_lshrrev_b32_e32 v68, 23, v69
	s_mov_b32 s16, exec_lo
	v_add_nc_u32_e32 v66, v66, v69
	v_xor_b32_e32 v68, 1, v68
	v_and_b32_e32 v55, 0x1fffff, v66
	v_add_nc_u32_e32 v66, v55, v69
                                        ; implicit-def: $vgpr55
	v_cmpx_ne_u32_e64 v67, v68
	s_xor_b32 s16, exec_lo, s16
; %bb.1347:                             ;   in Loop: Header=BB2_1332 Depth=4
	v_cmp_lt_u32_e32 vcc_lo, 0xffffff, v66
	v_sub_nc_u32_e32 v55, v67, v68
	v_cndmask_b32_e64 v67, 0, 1, vcc_lo
	v_add_co_ci_u32_e64 v55, null, 0, v55, vcc_lo
	v_lshrrev_b32_e32 v66, v67, v66
; %bb.1348:                             ;   in Loop: Header=BB2_1332 Depth=4
	s_andn2_saveexec_b32 s16, s16
	s_cbranch_execz .LBB2_1329
; %bb.1349:                             ;   in Loop: Header=BB2_1332 Depth=4
	v_bfe_u32 v55, v66, 23, 1
	s_branch .LBB2_1329
.LBB2_1350:                             ;   in Loop: Header=BB2_1332 Depth=4
	s_or_saveexec_b32 s62, s62
	v_mov_b32_e32 v55, 0x7f800001
	s_xor_b32 exec_lo, exec_lo, s62
	s_cbranch_execz .LBB2_1336
.LBB2_1351:                             ;   in Loop: Header=BB2_1332 Depth=4
	v_cmp_ne_u16_e32 vcc_lo, 0, v66
	v_mov_b32_e32 v55, 0
	s_andn2_b32 s16, s16, exec_lo
	s_and_b32 s63, vcc_lo, exec_lo
	s_or_b32 s16, s16, s63
	s_or_b32 exec_lo, exec_lo, s62
	s_and_saveexec_b32 s62, s16
	s_cbranch_execnz .LBB2_1337
	s_branch .LBB2_1338
.LBB2_1352:                             ;   in Loop: Header=BB2_1332 Depth=4
	s_or_saveexec_b32 s62, s62
	v_mov_b32_e32 v66, 0x7f800001
	s_xor_b32 exec_lo, exec_lo, s62
	s_cbranch_execz .LBB2_1342
.LBB2_1353:                             ;   in Loop: Header=BB2_1332 Depth=4
	v_cmp_ne_u16_sdwa s63, v14, v2 src0_sel:BYTE_0 src1_sel:DWORD
	v_mov_b32_e32 v66, 0
	s_andn2_b32 s16, s16, exec_lo
	s_and_b32 s63, s63, exec_lo
	s_or_b32 s16, s16, s63
	s_or_b32 exec_lo, exec_lo, s62
	s_and_saveexec_b32 s62, s16
	s_cbranch_execnz .LBB2_1343
	s_branch .LBB2_1344
.LBB2_1354:                             ;   in Loop: Header=BB2_274 Depth=3
	s_or_b32 exec_lo, exec_lo, s17
	v_cmp_lt_i32_e64 s16, 0, v3
	s_and_saveexec_b32 s17, s6
	s_cbranch_execz .LBB2_1373
.LBB2_1355:                             ;   in Loop: Header=BB2_274 Depth=3
	s_and_saveexec_b32 s61, s29
	s_xor_b32 s61, exec_lo, s61
	s_cbranch_execz .LBB2_1370
; %bb.1356:                             ;   in Loop: Header=BB2_274 Depth=3
	s_and_saveexec_b32 s62, s11
	s_cbranch_execz .LBB2_1369
; %bb.1357:                             ;   in Loop: Header=BB2_274 Depth=3
	s_mov_b32 s72, exec_lo
	s_mov_b32 s63, exec_lo
	v_mbcnt_lo_u32_b32 v3, s72, 0
	s_waitcnt vmcnt(0) lgkmcnt(0)
	s_waitcnt_vscnt null, 0x0
	buffer_gl1_inv
	buffer_gl0_inv
	v_cmpx_eq_u32_e32 0, v3
	s_cbranch_execz .LBB2_1359
; %bb.1358:                             ;   in Loop: Header=BB2_274 Depth=3
	s_bcnt1_i32_b32 s72, s72
	v_mov_b32_e32 v9, v2
	v_mov_b32_e32 v8, s72
	ds_add_u64 v0, v[8:9]
	s_trap 2
.LBB2_1359:                             ;   in Loop: Header=BB2_274 Depth=3
	s_or_b32 exec_lo, exec_lo, s63
	s_trap 2
	ds_read_b64 v[8:9], v0
	s_waitcnt lgkmcnt(0)
	buffer_gl0_inv
	v_add_co_u32 v28, vcc_lo, v28, v87
	v_add_co_ci_u32_e64 v29, null, 0, v29, vcc_lo
	s_mov_b32 s63, exec_lo
	v_cmpx_lt_u64_e64 v[8:9], v[28:29]
	s_cbranch_execz .LBB2_1368
; %bb.1360:                             ;   in Loop: Header=BB2_274 Depth=3
	s_mov_b32 s72, 0
	s_mov_b32 s75, 0
                                        ; implicit-def: $sgpr73
                                        ; implicit-def: $sgpr74
	s_inst_prefetch 0x1
	s_branch .LBB2_1362
	.p2align	6
.LBB2_1361:                             ;   in Loop: Header=BB2_1362 Depth=4
	s_or_b32 exec_lo, exec_lo, s77
	s_and_b32 s76, exec_lo, s78
	s_or_b32 s72, s76, s72
	s_andn2_b32 s73, s73, exec_lo
	s_and_b32 s76, s74, exec_lo
	s_or_b32 s73, s73, s76
	s_andn2_b32 exec_lo, exec_lo, s72
	s_cbranch_execz .LBB2_1366
.LBB2_1362:                             ;   Parent Loop BB2_47 Depth=1
                                        ;     Parent Loop BB2_271 Depth=2
                                        ;       Parent Loop BB2_274 Depth=3
                                        ; =>      This Inner Loop Header: Depth=4
	s_add_i32 s75, s75, 1
	s_cmpk_lg_i32 s75, 0x2710
	s_cselect_b32 s76, -1, 0
	s_and_b32 vcc_lo, exec_lo, s76
	s_cbranch_vccz .LBB2_1364
; %bb.1363:                             ;   in Loop: Header=BB2_1362 Depth=4
	s_mov_b32 s78, -1
	s_or_b32 s74, s74, exec_lo
	s_and_saveexec_b32 s77, s76
	s_cbranch_execz .LBB2_1361
	s_branch .LBB2_1365
	.p2align	6
.LBB2_1364:                             ;   in Loop: Header=BB2_1362 Depth=4
	s_trap 2
	ds_read_b64 v[8:9], v0
	s_andn2_b32 s76, s76, exec_lo
	s_mov_b32 s75, 0
	s_waitcnt lgkmcnt(0)
	flat_load_dword v3, v[8:9] glc dlc
	s_waitcnt vmcnt(0) lgkmcnt(0)
	buffer_gl1_inv
	buffer_gl0_inv
	v_cmp_eq_u32_e32 vcc_lo, 0, v3
	s_and_b32 s77, vcc_lo, exec_lo
	s_or_b32 s76, s76, s77
	s_mov_b32 s78, -1
	s_or_b32 s74, s74, exec_lo
	s_and_saveexec_b32 s77, s76
	s_cbranch_execz .LBB2_1361
.LBB2_1365:                             ;   in Loop: Header=BB2_1362 Depth=4
	s_sleep 1
	s_trap 2
	ds_read_b64 v[8:9], v0
	s_waitcnt lgkmcnt(0)
	buffer_gl0_inv
	s_andn2_b32 s74, s74, exec_lo
	v_cmp_ge_u64_e32 vcc_lo, v[8:9], v[28:29]
	s_orn2_b32 s78, vcc_lo, exec_lo
	s_branch .LBB2_1361
.LBB2_1366:                             ;   in Loop: Header=BB2_274 Depth=3
	s_inst_prefetch 0x2
	s_or_b32 exec_lo, exec_lo, s72
	s_and_saveexec_b32 s72, s73
	s_xor_b32 s72, exec_lo, s72
	s_cbranch_execz .LBB2_1368
; %bb.1367:                             ;   in Loop: Header=BB2_274 Depth=3
	ds_write_b32 v0, v98
	s_trap 2
.LBB2_1368:                             ;   in Loop: Header=BB2_274 Depth=3
	s_or_b32 exec_lo, exec_lo, s63
	;;#ASMSTART
	s_wakeup
	;;#ASMEND
.LBB2_1369:                             ;   in Loop: Header=BB2_274 Depth=3
	s_or_b32 exec_lo, exec_lo, s62
.LBB2_1370:                             ;   in Loop: Header=BB2_274 Depth=3
	s_andn2_saveexec_b32 s61, s61
	s_cbranch_execz .LBB2_1372
; %bb.1371:                             ;   in Loop: Header=BB2_274 Depth=3
	s_waitcnt vmcnt(0) lgkmcnt(0)
	s_waitcnt_vscnt null, 0x0
	buffer_gl1_inv
	buffer_gl0_inv
	s_barrier
.LBB2_1372:                             ;   in Loop: Header=BB2_274 Depth=3
	s_or_b32 exec_lo, exec_lo, s61
.LBB2_1373:                             ;   in Loop: Header=BB2_274 Depth=3
	s_or_b32 exec_lo, exec_lo, s17
	v_and_b32_e32 v3, 16, v84
	s_and_saveexec_b32 s17, s12
	s_xor_b32 s17, exec_lo, s17
	s_cbranch_execz .LBB2_1377
; %bb.1374:                             ;   in Loop: Header=BB2_274 Depth=3
	v_and_b32_e32 v3, 16, v84
	v_cmp_ne_u32_e32 vcc_lo, 0, v3
	v_and_b32_e32 v3, 16, v84
	s_and_b32 s61, vcc_lo, s16
	s_and_saveexec_b32 s16, s61
	s_cbranch_execz .LBB2_1376
; %bb.1375:                             ;   in Loop: Header=BB2_274 Depth=3
	v_mov_b32_e32 v3, 1
	s_waitcnt vmcnt(0) lgkmcnt(0)
	s_waitcnt_vscnt null, 0x0
	buffer_gl1_inv
	buffer_gl0_inv
.LBB2_1376:                             ;   in Loop: Header=BB2_274 Depth=3
	s_or_b32 exec_lo, exec_lo, s16
.LBB2_1377:                             ;   in Loop: Header=BB2_274 Depth=3
	s_andn2_saveexec_b32 s16, s17
	s_cbranch_execz .LBB2_1396
; %bb.1378:                             ;   in Loop: Header=BB2_274 Depth=3
	s_and_saveexec_b32 s17, s29
	s_xor_b32 s17, exec_lo, s17
	s_cbranch_execz .LBB2_1393
; %bb.1379:                             ;   in Loop: Header=BB2_274 Depth=3
	s_and_saveexec_b32 s61, s11
	s_cbranch_execz .LBB2_1392
; %bb.1380:                             ;   in Loop: Header=BB2_274 Depth=3
	s_mov_b32 s63, exec_lo
	s_mov_b32 s62, exec_lo
	v_mbcnt_lo_u32_b32 v8, s63, 0
	;;#ASMSTART
	s_waitcnt lgkmcnt(0) vmcnt(0)
	;;#ASMEND
	v_cmpx_eq_u32_e32 0, v8
	s_cbranch_execz .LBB2_1382
; %bb.1381:                             ;   in Loop: Header=BB2_274 Depth=3
	s_bcnt1_i32_b32 s63, s63
	v_mov_b32_e32 v9, v2
	v_mov_b32_e32 v8, s63
	s_waitcnt vmcnt(0) lgkmcnt(0)
	s_waitcnt_vscnt null, 0x0
	ds_add_u64 v0, v[8:9]
	s_trap 2
.LBB2_1382:                             ;   in Loop: Header=BB2_274 Depth=3
	s_or_b32 exec_lo, exec_lo, s62
	s_trap 2
	ds_read_b64 v[8:9], v0
	s_waitcnt vmcnt(0) lgkmcnt(0)
	buffer_gl0_inv
	v_add_co_u32 v28, vcc_lo, v28, v87
	v_add_co_ci_u32_e64 v29, null, 0, v29, vcc_lo
	s_mov_b32 s62, exec_lo
	v_cmpx_lt_u64_e64 v[8:9], v[28:29]
	s_cbranch_execz .LBB2_1391
; %bb.1383:                             ;   in Loop: Header=BB2_274 Depth=3
	s_mov_b32 s63, 0
	s_mov_b32 s74, 0
                                        ; implicit-def: $sgpr72
                                        ; implicit-def: $sgpr73
	s_inst_prefetch 0x1
	s_branch .LBB2_1385
	.p2align	6
.LBB2_1384:                             ;   in Loop: Header=BB2_1385 Depth=4
	s_or_b32 exec_lo, exec_lo, s76
	s_and_b32 s75, exec_lo, s77
	s_or_b32 s63, s75, s63
	s_andn2_b32 s72, s72, exec_lo
	s_and_b32 s75, s73, exec_lo
	s_or_b32 s72, s72, s75
	s_andn2_b32 exec_lo, exec_lo, s63
	s_cbranch_execz .LBB2_1389
.LBB2_1385:                             ;   Parent Loop BB2_47 Depth=1
                                        ;     Parent Loop BB2_271 Depth=2
                                        ;       Parent Loop BB2_274 Depth=3
                                        ; =>      This Inner Loop Header: Depth=4
	s_add_i32 s74, s74, 1
	s_cmpk_lg_i32 s74, 0x2710
	s_cselect_b32 s75, -1, 0
	s_and_b32 vcc_lo, exec_lo, s75
	s_cbranch_vccz .LBB2_1387
; %bb.1386:                             ;   in Loop: Header=BB2_1385 Depth=4
	s_mov_b32 s77, -1
	s_or_b32 s73, s73, exec_lo
	s_and_saveexec_b32 s76, s75
	s_cbranch_execz .LBB2_1384
	s_branch .LBB2_1388
	.p2align	6
.LBB2_1387:                             ;   in Loop: Header=BB2_1385 Depth=4
	s_trap 2
	ds_read_b64 v[8:9], v0
	s_andn2_b32 s75, s75, exec_lo
	s_mov_b32 s74, 0
	s_waitcnt lgkmcnt(0)
	s_waitcnt_vscnt null, 0x0
	flat_load_dword v8, v[8:9] glc dlc
	s_waitcnt vmcnt(0) lgkmcnt(0)
	buffer_gl1_inv
	buffer_gl0_inv
	v_cmp_eq_u32_e32 vcc_lo, 0, v8
	s_and_b32 s76, vcc_lo, exec_lo
	s_or_b32 s75, s75, s76
	s_mov_b32 s77, -1
	s_or_b32 s73, s73, exec_lo
	s_and_saveexec_b32 s76, s75
	s_cbranch_execz .LBB2_1384
.LBB2_1388:                             ;   in Loop: Header=BB2_1385 Depth=4
	s_sleep 1
	s_trap 2
	ds_read_b64 v[8:9], v0
	s_waitcnt lgkmcnt(0)
	buffer_gl0_inv
	s_andn2_b32 s73, s73, exec_lo
	v_cmp_ge_u64_e32 vcc_lo, v[8:9], v[28:29]
	s_orn2_b32 s77, vcc_lo, exec_lo
	s_branch .LBB2_1384
.LBB2_1389:                             ;   in Loop: Header=BB2_274 Depth=3
	s_inst_prefetch 0x2
	s_or_b32 exec_lo, exec_lo, s63
	s_and_saveexec_b32 s63, s72
	s_xor_b32 s63, exec_lo, s63
	s_cbranch_execz .LBB2_1391
; %bb.1390:                             ;   in Loop: Header=BB2_274 Depth=3
	ds_write_b32 v0, v98
	s_trap 2
.LBB2_1391:                             ;   in Loop: Header=BB2_274 Depth=3
	s_or_b32 exec_lo, exec_lo, s62
	;;#ASMSTART
	s_wakeup
	;;#ASMEND
.LBB2_1392:                             ;   in Loop: Header=BB2_274 Depth=3
	s_or_b32 exec_lo, exec_lo, s61
.LBB2_1393:                             ;   in Loop: Header=BB2_274 Depth=3
	s_andn2_saveexec_b32 s17, s17
	s_cbranch_execz .LBB2_1395
; %bb.1394:                             ;   in Loop: Header=BB2_274 Depth=3
	;;#ASMSTART
	s_waitcnt lgkmcnt(0) vmcnt(0)
	;;#ASMEND
	s_barrier
.LBB2_1395:                             ;   in Loop: Header=BB2_274 Depth=3
	s_or_b32 exec_lo, exec_lo, s17
.LBB2_1396:                             ;   in Loop: Header=BB2_274 Depth=3
	s_or_b32 exec_lo, exec_lo, s16
	v_cmp_ne_u32_e32 vcc_lo, 0, v3
	s_xor_b32 s16, s7, -1
	s_and_b32 s17, vcc_lo, s16
	s_and_saveexec_b32 s16, s17
	s_cbranch_execz .LBB2_1398
; %bb.1397:                             ;   in Loop: Header=BB2_274 Depth=3
	s_waitcnt vmcnt(0) lgkmcnt(0)
	s_waitcnt_vscnt null, 0x0
	flat_store_dword v[26:27], v98
.LBB2_1398:                             ;   in Loop: Header=BB2_274 Depth=3
	s_or_b32 exec_lo, exec_lo, s16
	v_and_b32_e32 v3, 48, v84
	s_mov_b32 s16, exec_lo
	v_cmpx_ne_u32_e32 0, v3
	s_cbranch_execz .LBB2_273
; %bb.1399:                             ;   in Loop: Header=BB2_274 Depth=3
	v_add_co_u32 v50, vcc_lo, v50, 2
	v_add_co_ci_u32_e64 v51, null, 0, v51, vcc_lo
	s_waitcnt vmcnt(0) lgkmcnt(0)
	s_waitcnt_vscnt null, 0x0
	flat_store_dwordx2 v[22:23], v[50:51]
	s_branch .LBB2_273
.LBB2_1400:                             ;   in Loop: Header=BB2_271 Depth=2
	s_or_b32 exec_lo, exec_lo, s21
.LBB2_1401:                             ;   in Loop: Header=BB2_271 Depth=2
	s_or_b32 exec_lo, exec_lo, s19
	s_mov_b32 s17, exec_lo
	v_cmpx_gt_i32_e32 2, v3
	s_cbranch_execz .LBB2_270
; %bb.1402:                             ;   in Loop: Header=BB2_271 Depth=2
	v_cmp_eq_u32_e64 s21, 0, v3
	s_mov_b32 s19, 0
	s_branch .LBB2_1404
.LBB2_1403:                             ;   in Loop: Header=BB2_1404 Depth=3
	s_or_b32 exec_lo, exec_lo, s16
	v_add_nc_u32_e32 v61, v54, v61
	s_mov_b32 s21, 0
	s_andn2_b32 exec_lo, exec_lo, s19
	s_cbranch_execz .LBB2_269
.LBB2_1404:                             ;   Parent Loop BB2_47 Depth=1
                                        ;     Parent Loop BB2_271 Depth=2
                                        ; =>    This Loop Header: Depth=3
                                        ;         Child Loop BB2_1410 Depth 4
                                        ;         Child Loop BB2_1438 Depth 4
	;; [unrolled: 1-line block ×3, first 2 shown]
	v_sub_nc_u32_e32 v3, v60, v61
	v_and_b32_e32 v8, 12, v84
	s_mov_b32 s22, exec_lo
	v_min_i32_e32 v54, v54, v3
	v_cmpx_ne_u32_e32 0, v8
	s_cbranch_execz .LBB2_1430
; %bb.1405:                             ;   in Loop: Header=BB2_1404 Depth=3
	v_and_b32_e32 v3, 8, v84
	s_mov_b32 s23, exec_lo
	s_waitcnt vmcnt(0) lgkmcnt(1)
	v_add_co_u32 v10, vcc_lo, v32, v3
	v_add_co_ci_u32_e64 v11, null, 0, v33, vcc_lo
	v_add_co_u32 v8, vcc_lo, v50, 2
	v_add_co_ci_u32_e64 v9, null, 0, v51, vcc_lo
	v_cmpx_lt_u64_e64 v[10:11], v[8:9]
	s_cbranch_execz .LBB2_1417
; %bb.1406:                             ;   in Loop: Header=BB2_1404 Depth=3
	v_and_b32_e32 v10, 64, v84
	s_mov_b32 s61, 0
	s_mov_b32 s73, 0
                                        ; implicit-def: $sgpr62
                                        ; implicit-def: $sgpr63
                                        ; implicit-def: $sgpr72
	v_cmp_eq_u32_e32 vcc_lo, 0, v10
	s_branch .LBB2_1410
.LBB2_1407:                             ;   in Loop: Header=BB2_1410 Depth=4
	s_waitcnt vmcnt(0) lgkmcnt(0)
	v_add_co_u32 v11, s16, v32, v3
	v_add_co_ci_u32_e64 v12, null, 0, v33, s16
	s_or_b32 s76, s76, exec_lo
	v_cmp_ge_u64_e64 s16, v[11:12], v[8:9]
	s_orn2_b32 s75, s16, exec_lo
.LBB2_1408:                             ;   in Loop: Header=BB2_1410 Depth=4
	s_or_b32 exec_lo, exec_lo, s78
	s_andn2_b32 s16, s72, exec_lo
	s_and_b32 s72, s76, exec_lo
	s_andn2_b32 s63, s63, exec_lo
	s_and_b32 s75, s75, exec_lo
	s_or_b32 s72, s16, s72
	s_or_b32 s63, s63, s75
.LBB2_1409:                             ;   in Loop: Header=BB2_1410 Depth=4
	s_or_b32 exec_lo, exec_lo, s74
	s_and_b32 s16, exec_lo, s63
	s_or_b32 s61, s16, s61
	s_andn2_b32 s16, s62, exec_lo
	s_and_b32 s62, s72, exec_lo
	s_or_b32 s62, s16, s62
	s_andn2_b32 exec_lo, exec_lo, s61
	s_cbranch_execz .LBB2_1414
.LBB2_1410:                             ;   Parent Loop BB2_47 Depth=1
                                        ;     Parent Loop BB2_271 Depth=2
                                        ;       Parent Loop BB2_1404 Depth=3
                                        ; =>      This Inner Loop Header: Depth=4
	s_sleep 1
	s_waitcnt vmcnt(0) lgkmcnt(0)
	flat_load_dwordx2 v[32:33], v[22:23] glc dlc
	s_or_b32 s72, s72, exec_lo
	s_or_b32 s63, s63, exec_lo
                                        ; implicit-def: $vgpr10
	s_and_saveexec_b32 s74, vcc_lo
	s_cbranch_execz .LBB2_1409
; %bb.1411:                             ;   in Loop: Header=BB2_1410 Depth=4
	s_cmpk_lt_i32 s73, 0x270f
	s_mov_b32 s75, -1
	s_cselect_b32 s77, -1, 0
	s_cmpk_gt_i32 s73, 0x270e
	s_cbranch_scc0 .LBB2_1413
; %bb.1412:                             ;   in Loop: Header=BB2_1410 Depth=4
	s_trap 2
	ds_read_b64 v[10:11], v0
	s_andn2_b32 s73, s77, exec_lo
	s_mov_b32 s76, 0
	s_waitcnt vmcnt(0) lgkmcnt(0)
	s_waitcnt_vscnt null, 0x0
	flat_load_dword v10, v[10:11] glc dlc
	s_waitcnt vmcnt(0) lgkmcnt(0)
	buffer_gl1_inv
	buffer_gl0_inv
	v_cmp_eq_u32_e64 s16, 0, v10
	s_and_b32 s16, s16, exec_lo
	s_or_b32 s77, s73, s16
	s_mov_b32 s73, 0
	s_and_saveexec_b32 s78, s77
	s_cbranch_execz .LBB2_1408
	s_branch .LBB2_1407
.LBB2_1413:                             ;   in Loop: Header=BB2_1410 Depth=4
	s_add_i32 s73, s73, 1
	s_mov_b32 s76, -1
                                        ; implicit-def: $vgpr10
	s_and_saveexec_b32 s78, s77
	s_cbranch_execz .LBB2_1408
	s_branch .LBB2_1407
.LBB2_1414:                             ;   in Loop: Header=BB2_1404 Depth=3
	s_or_b32 exec_lo, exec_lo, s61
	s_xor_b32 s16, s62, -1
	s_and_saveexec_b32 s61, s16
	s_xor_b32 s16, exec_lo, s61
	s_cbranch_execz .LBB2_1416
; %bb.1415:                             ;   in Loop: Header=BB2_1404 Depth=3
	v_or_b32_e32 v84, 64, v84
	s_waitcnt vmcnt(0) lgkmcnt(0)
	s_waitcnt_vscnt null, 0x0
	ds_write_b32 v0, v10
	s_trap 2
.LBB2_1416:                             ;   in Loop: Header=BB2_1404 Depth=3
	s_or_b32 exec_lo, exec_lo, s16
.LBB2_1417:                             ;   in Loop: Header=BB2_1404 Depth=3
	s_or_b32 exec_lo, exec_lo, s23
	v_and_b32_e32 v10, 0x108, v84
	;;#ASMSTART
	s_wakeup
	;;#ASMEND
	v_cmp_ne_u32_e32 vcc_lo, 0x108, v10
                                        ; implicit-def: $vgpr10_vgpr11
	s_and_saveexec_b32 s16, vcc_lo
	s_xor_b32 s16, exec_lo, s16
; %bb.1418:                             ;   in Loop: Header=BB2_1404 Depth=3
	v_and_b32_e32 v10, 7, v50
	v_mov_b32_e32 v11, v2
                                        ; implicit-def: $vgpr50_vgpr51
; %bb.1419:                             ;   in Loop: Header=BB2_1404 Depth=3
	s_andn2_saveexec_b32 s16, s16
	s_cbranch_execz .LBB2_1421
; %bb.1420:                             ;   in Loop: Header=BB2_1404 Depth=3
	v_and_b32_e32 v10, 7, v50
	v_ashrrev_i32_e32 v55, 31, v54
	v_mov_b32_e32 v11, v2
	v_mad_u64_u32 v[12:13], null, v10, 24, v[6:7]
	flat_store_dwordx2 v[12:13], v[54:55] offset:8
.LBB2_1421:                             ;   in Loop: Header=BB2_1404 Depth=3
	s_or_b32 exec_lo, exec_lo, s16
	v_and_b32_e32 v12, 0x100, v84
	s_mov_b32 s16, -1
	v_cmp_ne_u32_e32 vcc_lo, 0, v12
                                        ; implicit-def: $vgpr12_vgpr13
	s_and_saveexec_b32 s23, vcc_lo
	s_cbranch_execz .LBB2_1425
; %bb.1422:                             ;   in Loop: Header=BB2_1404 Depth=3
	v_mad_u64_u32 v[14:15], null, v10, 24, v[6:7]
	v_mov_b32_e32 v12, v15
	v_mad_u64_u32 v[12:13], null, v11, 24, v[12:13]
	v_mov_b32_e32 v15, v12
	flat_load_dword v12, v[14:15]
	s_waitcnt vmcnt(0) lgkmcnt(0)
	v_cmp_eq_u32_e64 s16, 1, v12
	v_cmp_ne_u32_e32 vcc_lo, 1, v12
                                        ; implicit-def: $vgpr12_vgpr13
	s_and_saveexec_b32 s61, s16
	s_cbranch_execz .LBB2_1424
; %bb.1423:                             ;   in Loop: Header=BB2_1404 Depth=3
	flat_load_dword v12, v[14:15] offset:4 glc dlc
	s_waitcnt vmcnt(0) lgkmcnt(0)
	v_ashrrev_i32_e32 v13, 31, v12
.LBB2_1424:                             ;   in Loop: Header=BB2_1404 Depth=3
	s_or_b32 exec_lo, exec_lo, s61
	s_orn2_b32 s16, vcc_lo, exec_lo
.LBB2_1425:                             ;   in Loop: Header=BB2_1404 Depth=3
	s_or_b32 exec_lo, exec_lo, s23
	s_and_saveexec_b32 s23, s16
; %bb.1426:                             ;   in Loop: Header=BB2_1404 Depth=3
	v_mul_lo_u32 v11, v11, v85
	v_mul_lo_u32 v14, v10, v86
	v_mad_u64_u32 v[12:13], null, v10, v85, 0
	v_add3_u32 v13, v13, v14, v11
; %bb.1427:                             ;   in Loop: Header=BB2_1404 Depth=3
	s_or_b32 exec_lo, exec_lo, s23
	v_cmp_eq_u32_e32 vcc_lo, 0, v3
	v_and_b32_e32 v14, 0x2000, v84
	s_mov_b32 s16, exec_lo
	v_cndmask_b32_e32 v3, 0xc8, v99, vcc_lo
	v_add_co_u32 v10, vcc_lo, v24, v12
	v_add_co_ci_u32_e64 v11, null, v25, v13, vcc_lo
	v_add_nc_u32_e32 v3, v0, v3
	ds_write_b64 v3, v[10:11] offset:584
	v_cmpx_ne_u32_e32 0, v14
	s_cbranch_execz .LBB2_1429
; %bb.1428:                             ;   in Loop: Header=BB2_1404 Depth=3
	ds_read_b64 v[10:11], v0 offset:872
	s_waitcnt lgkmcnt(0)
	v_add_co_u32 v10, vcc_lo, v10, 1
	v_add_co_ci_u32_e64 v11, null, 0, v11, vcc_lo
	ds_write_b64 v0, v[10:11] offset:872
.LBB2_1429:                             ;   in Loop: Header=BB2_1404 Depth=3
	s_or_b32 exec_lo, exec_lo, s16
	v_mov_b32_e32 v51, v9
	v_mov_b32_e32 v50, v8
.LBB2_1430:                             ;   in Loop: Header=BB2_1404 Depth=3
	s_or_b32 exec_lo, exec_lo, s22
	s_xor_b32 s16, s21, -1
	s_and_b32 s16, exec_lo, s16
	s_or_b32 s19, s16, s19
	s_and_saveexec_b32 s16, s6
	s_cbranch_execz .LBB2_1449
; %bb.1431:                             ;   in Loop: Header=BB2_1404 Depth=3
	s_and_saveexec_b32 s21, s29
	s_xor_b32 s21, exec_lo, s21
	s_cbranch_execz .LBB2_1446
; %bb.1432:                             ;   in Loop: Header=BB2_1404 Depth=3
	s_and_saveexec_b32 s22, s11
	s_cbranch_execz .LBB2_1445
; %bb.1433:                             ;   in Loop: Header=BB2_1404 Depth=3
	s_mov_b32 s61, exec_lo
	s_mov_b32 s23, exec_lo
	v_mbcnt_lo_u32_b32 v3, s61, 0
	s_waitcnt vmcnt(0) lgkmcnt(0)
	s_waitcnt_vscnt null, 0x0
	buffer_gl1_inv
	buffer_gl0_inv
	v_cmpx_eq_u32_e32 0, v3
	s_cbranch_execz .LBB2_1435
; %bb.1434:                             ;   in Loop: Header=BB2_1404 Depth=3
	s_bcnt1_i32_b32 s61, s61
	v_mov_b32_e32 v9, v2
	v_mov_b32_e32 v8, s61
	ds_add_u64 v0, v[8:9]
	s_trap 2
.LBB2_1435:                             ;   in Loop: Header=BB2_1404 Depth=3
	s_or_b32 exec_lo, exec_lo, s23
	s_trap 2
	ds_read_b64 v[8:9], v0
	s_waitcnt lgkmcnt(0)
	buffer_gl0_inv
	v_add_co_u32 v28, vcc_lo, v28, v87
	v_add_co_ci_u32_e64 v29, null, 0, v29, vcc_lo
	s_mov_b32 s23, exec_lo
	v_cmpx_lt_u64_e64 v[8:9], v[28:29]
	s_cbranch_execz .LBB2_1444
; %bb.1436:                             ;   in Loop: Header=BB2_1404 Depth=3
	s_mov_b32 s61, 0
	s_mov_b32 s72, 0
                                        ; implicit-def: $sgpr62
                                        ; implicit-def: $sgpr63
	s_inst_prefetch 0x1
	s_branch .LBB2_1438
	.p2align	6
.LBB2_1437:                             ;   in Loop: Header=BB2_1438 Depth=4
	s_or_b32 exec_lo, exec_lo, s74
	s_and_b32 s73, exec_lo, s75
	s_or_b32 s61, s73, s61
	s_andn2_b32 s62, s62, exec_lo
	s_and_b32 s73, s63, exec_lo
	s_or_b32 s62, s62, s73
	s_andn2_b32 exec_lo, exec_lo, s61
	s_cbranch_execz .LBB2_1442
.LBB2_1438:                             ;   Parent Loop BB2_47 Depth=1
                                        ;     Parent Loop BB2_271 Depth=2
                                        ;       Parent Loop BB2_1404 Depth=3
                                        ; =>      This Inner Loop Header: Depth=4
	s_add_i32 s72, s72, 1
	s_cmpk_lg_i32 s72, 0x2710
	s_cselect_b32 s73, -1, 0
	s_and_b32 vcc_lo, exec_lo, s73
	s_cbranch_vccz .LBB2_1440
; %bb.1439:                             ;   in Loop: Header=BB2_1438 Depth=4
	s_mov_b32 s75, -1
	s_or_b32 s63, s63, exec_lo
	s_and_saveexec_b32 s74, s73
	s_cbranch_execz .LBB2_1437
	s_branch .LBB2_1441
	.p2align	6
.LBB2_1440:                             ;   in Loop: Header=BB2_1438 Depth=4
	s_trap 2
	ds_read_b64 v[8:9], v0
	s_andn2_b32 s73, s73, exec_lo
	s_mov_b32 s72, 0
	s_waitcnt lgkmcnt(0)
	flat_load_dword v3, v[8:9] glc dlc
	s_waitcnt vmcnt(0) lgkmcnt(0)
	buffer_gl1_inv
	buffer_gl0_inv
	v_cmp_eq_u32_e32 vcc_lo, 0, v3
	s_and_b32 s74, vcc_lo, exec_lo
	s_or_b32 s73, s73, s74
	s_mov_b32 s75, -1
	s_or_b32 s63, s63, exec_lo
	s_and_saveexec_b32 s74, s73
	s_cbranch_execz .LBB2_1437
.LBB2_1441:                             ;   in Loop: Header=BB2_1438 Depth=4
	s_sleep 1
	s_trap 2
	ds_read_b64 v[8:9], v0
	s_waitcnt lgkmcnt(0)
	buffer_gl0_inv
	s_andn2_b32 s63, s63, exec_lo
	v_cmp_ge_u64_e32 vcc_lo, v[8:9], v[28:29]
	s_orn2_b32 s75, vcc_lo, exec_lo
	s_branch .LBB2_1437
.LBB2_1442:                             ;   in Loop: Header=BB2_1404 Depth=3
	s_inst_prefetch 0x2
	s_or_b32 exec_lo, exec_lo, s61
	s_and_saveexec_b32 s61, s62
	s_xor_b32 s61, exec_lo, s61
	s_cbranch_execz .LBB2_1444
; %bb.1443:                             ;   in Loop: Header=BB2_1404 Depth=3
	ds_write_b32 v0, v98
	s_trap 2
.LBB2_1444:                             ;   in Loop: Header=BB2_1404 Depth=3
	s_or_b32 exec_lo, exec_lo, s23
	;;#ASMSTART
	s_wakeup
	;;#ASMEND
.LBB2_1445:                             ;   in Loop: Header=BB2_1404 Depth=3
	s_or_b32 exec_lo, exec_lo, s22
.LBB2_1446:                             ;   in Loop: Header=BB2_1404 Depth=3
	s_andn2_saveexec_b32 s21, s21
	s_cbranch_execz .LBB2_1448
; %bb.1447:                             ;   in Loop: Header=BB2_1404 Depth=3
	s_waitcnt vmcnt(0) lgkmcnt(0)
	s_waitcnt_vscnt null, 0x0
	buffer_gl1_inv
	buffer_gl0_inv
	s_barrier
.LBB2_1448:                             ;   in Loop: Header=BB2_1404 Depth=3
	s_or_b32 exec_lo, exec_lo, s21
.LBB2_1449:                             ;   in Loop: Header=BB2_1404 Depth=3
	s_or_b32 exec_lo, exec_lo, s16
                                        ; implicit-def: $vgpr3
	s_and_saveexec_b32 s16, s47
	s_xor_b32 s16, exec_lo, s16
	s_cbranch_execz .LBB2_1461
; %bb.1450:                             ;   in Loop: Header=BB2_1404 Depth=3
	s_and_saveexec_b32 s21, s29
	s_xor_b32 s21, exec_lo, s21
	s_cbranch_execz .LBB2_1466
; %bb.1451:                             ;   in Loop: Header=BB2_1404 Depth=3
	s_and_saveexec_b32 s22, s11
	s_cbranch_execz .LBB2_1465
; %bb.1452:                             ;   in Loop: Header=BB2_1404 Depth=3
	s_mov_b32 s61, exec_lo
	s_mov_b32 s23, exec_lo
	v_mbcnt_lo_u32_b32 v3, s61, 0
	;;#ASMSTART
	s_waitcnt lgkmcnt(0) vmcnt(0)
	;;#ASMEND
	v_cmpx_eq_u32_e32 0, v3
	s_cbranch_execz .LBB2_1454
; %bb.1453:                             ;   in Loop: Header=BB2_1404 Depth=3
	s_bcnt1_i32_b32 s61, s61
	v_mov_b32_e32 v9, v2
	v_mov_b32_e32 v8, s61
	s_waitcnt vmcnt(0) lgkmcnt(0)
	s_waitcnt_vscnt null, 0x0
	ds_add_u64 v0, v[8:9]
	s_trap 2
.LBB2_1454:                             ;   in Loop: Header=BB2_1404 Depth=3
	s_or_b32 exec_lo, exec_lo, s23
	s_trap 2
	ds_read_b64 v[8:9], v0
	s_waitcnt vmcnt(0) lgkmcnt(0)
	buffer_gl0_inv
	v_add_co_u32 v28, vcc_lo, v28, v87
	v_add_co_ci_u32_e64 v29, null, 0, v29, vcc_lo
	s_mov_b32 s23, exec_lo
	v_cmpx_lt_u64_e64 v[8:9], v[28:29]
	s_cbranch_execz .LBB2_1464
; %bb.1455:                             ;   in Loop: Header=BB2_1404 Depth=3
	s_mov_b32 s61, 0
	s_mov_b32 s72, 0
                                        ; implicit-def: $sgpr62
                                        ; implicit-def: $sgpr63
	s_inst_prefetch 0x1
	s_branch .LBB2_1457
	.p2align	6
.LBB2_1456:                             ;   in Loop: Header=BB2_1457 Depth=4
	s_or_b32 exec_lo, exec_lo, s74
	s_and_b32 s73, exec_lo, s75
	s_or_b32 s61, s73, s61
	s_andn2_b32 s62, s62, exec_lo
	s_and_b32 s73, s63, exec_lo
	s_or_b32 s62, s62, s73
	s_andn2_b32 exec_lo, exec_lo, s61
	s_cbranch_execz .LBB2_1462
.LBB2_1457:                             ;   Parent Loop BB2_47 Depth=1
                                        ;     Parent Loop BB2_271 Depth=2
                                        ;       Parent Loop BB2_1404 Depth=3
                                        ; =>      This Inner Loop Header: Depth=4
	s_add_i32 s72, s72, 1
	s_cmpk_lg_i32 s72, 0x2710
	s_cselect_b32 s73, -1, 0
	s_and_b32 vcc_lo, exec_lo, s73
	s_cbranch_vccz .LBB2_1459
; %bb.1458:                             ;   in Loop: Header=BB2_1457 Depth=4
	s_mov_b32 s75, -1
	s_or_b32 s63, s63, exec_lo
	s_and_saveexec_b32 s74, s73
	s_cbranch_execz .LBB2_1456
	s_branch .LBB2_1460
	.p2align	6
.LBB2_1459:                             ;   in Loop: Header=BB2_1457 Depth=4
	s_trap 2
	ds_read_b64 v[8:9], v0
	s_andn2_b32 s73, s73, exec_lo
	s_mov_b32 s72, 0
	s_waitcnt lgkmcnt(0)
	s_waitcnt_vscnt null, 0x0
	flat_load_dword v3, v[8:9] glc dlc
	s_waitcnt vmcnt(0) lgkmcnt(0)
	buffer_gl1_inv
	buffer_gl0_inv
	v_cmp_eq_u32_e32 vcc_lo, 0, v3
	s_and_b32 s74, vcc_lo, exec_lo
	s_or_b32 s73, s73, s74
	s_mov_b32 s75, -1
	s_or_b32 s63, s63, exec_lo
	s_and_saveexec_b32 s74, s73
	s_cbranch_execz .LBB2_1456
.LBB2_1460:                             ;   in Loop: Header=BB2_1457 Depth=4
	s_sleep 1
	s_trap 2
	ds_read_b64 v[8:9], v0
	s_waitcnt lgkmcnt(0)
	buffer_gl0_inv
	s_andn2_b32 s63, s63, exec_lo
	v_cmp_ge_u64_e32 vcc_lo, v[8:9], v[28:29]
	s_orn2_b32 s75, vcc_lo, exec_lo
	s_branch .LBB2_1456
.LBB2_1461:                             ;   in Loop: Header=BB2_1404 Depth=3
	s_andn2_saveexec_b32 s21, s16
	s_cbranch_execnz .LBB2_1469
	s_branch .LBB2_1472
.LBB2_1462:                             ;   in Loop: Header=BB2_1404 Depth=3
	s_inst_prefetch 0x2
	s_or_b32 exec_lo, exec_lo, s61
	s_and_saveexec_b32 s61, s62
	s_xor_b32 s61, exec_lo, s61
	s_cbranch_execz .LBB2_1464
; %bb.1463:                             ;   in Loop: Header=BB2_1404 Depth=3
	ds_write_b32 v0, v98
	s_trap 2
.LBB2_1464:                             ;   in Loop: Header=BB2_1404 Depth=3
	s_or_b32 exec_lo, exec_lo, s23
	;;#ASMSTART
	s_wakeup
	;;#ASMEND
.LBB2_1465:                             ;   in Loop: Header=BB2_1404 Depth=3
	s_or_b32 exec_lo, exec_lo, s22
.LBB2_1466:                             ;   in Loop: Header=BB2_1404 Depth=3
	s_andn2_saveexec_b32 s21, s21
	s_cbranch_execz .LBB2_1468
; %bb.1467:                             ;   in Loop: Header=BB2_1404 Depth=3
	;;#ASMSTART
	s_waitcnt lgkmcnt(0) vmcnt(0)
	;;#ASMEND
	s_barrier
.LBB2_1468:                             ;   in Loop: Header=BB2_1404 Depth=3
	s_or_b32 exec_lo, exec_lo, s21
	v_and_b32_e32 v3, 16, v84
	s_andn2_saveexec_b32 s21, s16
	s_cbranch_execz .LBB2_1472
.LBB2_1469:                             ;   in Loop: Header=BB2_1404 Depth=3
	s_trap 2
	ds_read_b32 v3, v0
	v_cmp_lt_i32_e32 vcc_lo, 0, v54
	s_waitcnt lgkmcnt(0)
	v_readfirstlane_b32 s16, v3
	v_and_b32_e32 v3, 16, v84
	s_cmp_eq_u32 s16, 0
	v_cmp_ne_u32_e64 s16, 0, v3
	s_cselect_b32 s22, -1, 0
	v_and_b32_e32 v3, 16, v84
	s_and_b32 s22, vcc_lo, s22
	s_and_b32 s22, s16, s22
	s_and_saveexec_b32 s16, s22
	s_cbranch_execz .LBB2_1471
; %bb.1470:                             ;   in Loop: Header=BB2_1404 Depth=3
	v_mov_b32_e32 v3, 1
	s_waitcnt vmcnt(0)
	s_waitcnt_vscnt null, 0x0
	buffer_gl1_inv
	buffer_gl0_inv
.LBB2_1471:                             ;   in Loop: Header=BB2_1404 Depth=3
	s_or_b32 exec_lo, exec_lo, s16
.LBB2_1472:                             ;   in Loop: Header=BB2_1404 Depth=3
	s_or_b32 exec_lo, exec_lo, s21
	v_cmp_ne_u32_e32 vcc_lo, 0, v3
	s_xor_b32 s16, s7, -1
	s_and_b32 s21, vcc_lo, s16
	s_and_saveexec_b32 s16, s21
	s_cbranch_execz .LBB2_1474
; %bb.1473:                             ;   in Loop: Header=BB2_1404 Depth=3
	s_waitcnt vmcnt(0) lgkmcnt(0)
	s_waitcnt_vscnt null, 0x0
	flat_store_dword v[26:27], v98
.LBB2_1474:                             ;   in Loop: Header=BB2_1404 Depth=3
	s_or_b32 exec_lo, exec_lo, s16
	v_and_b32_e32 v3, 48, v84
	s_mov_b32 s16, exec_lo
	v_cmpx_ne_u32_e32 0, v3
	s_cbranch_execz .LBB2_1403
; %bb.1475:                             ;   in Loop: Header=BB2_1404 Depth=3
	v_add_co_u32 v50, vcc_lo, v50, 2
	v_add_co_ci_u32_e64 v51, null, 0, v51, vcc_lo
	s_waitcnt vmcnt(0) lgkmcnt(0)
	s_waitcnt_vscnt null, 0x0
	flat_store_dwordx2 v[22:23], v[50:51]
	s_branch .LBB2_1403
.LBB2_1476:                             ;   in Loop: Header=BB2_47 Depth=1
	v_mul_lo_u32 v3, v49, s25
	v_mul_lo_u32 v10, v48, s28
	v_mad_u64_u32 v[8:9], null, v48, s25, 0
	v_mov_b32_e32 v82, 0
	v_add3_u32 v9, v9, v10, v3
	v_sub_co_u32 v10, vcc_lo, v52, v8
	v_sub_co_ci_u32_e64 v11, null, v53, v9, vcc_lo
	v_cmp_lt_i64_e32 vcc_lo, v[48:49], v[10:11]
	v_cndmask_b32_e32 v11, v10, v48, vcc_lo
	v_max_i32_e32 v3, 0, v11
	v_cmp_lt_i32_e32 vcc_lo, 0, v11
	v_add_nc_u32_e32 v10, 31, v3
	s_and_b32 s16, s57, vcc_lo
	v_lshrrev_b32_e32 v10, 1, v10
	v_and_b32_e32 v12, 0x3ffffff0, v10
	v_mov_b32_e32 v10, 0
	v_max_i32_e32 v54, s45, v12
	s_and_saveexec_b32 s21, s16
	s_cbranch_execz .LBB2_3627
; %bb.1477:                             ;   in Loop: Header=BB2_47 Depth=1
	v_add_co_u32 v83, vcc_lo, v8, v58
	v_add_co_ci_u32_e64 v60, null, v9, v59, vcc_lo
	v_mov_b32_e32 v82, 0
	s_mov_b32 s63, 1
	s_mov_b32 s62, -1
	s_mov_b32 s61, 0
	s_branch .LBB2_1479
.LBB2_1478:                             ;   in Loop: Header=BB2_1479 Depth=2
	s_or_b32 exec_lo, exec_lo, s16
	v_add_nc_u32_e32 v82, v54, v82
	s_xor_b32 s16, s62, -1
	v_mov_b32_e32 v10, s63
	s_mov_b32 s62, 0
	s_mov_b32 s63, 2
	v_cmp_ge_i32_e32 vcc_lo, v82, v3
	s_or_b32 s16, s16, vcc_lo
	s_and_b32 s16, exec_lo, s16
	s_or_b32 s61, s16, s61
	s_andn2_b32 exec_lo, exec_lo, s61
	s_cbranch_execz .LBB2_3626
.LBB2_1479:                             ;   Parent Loop BB2_47 Depth=1
                                        ; =>  This Loop Header: Depth=2
                                        ;       Child Loop BB2_1487 Depth 3
                                        ;       Child Loop BB2_1515 Depth 3
	;; [unrolled: 1-line block ×4, first 2 shown]
                                        ;         Child Loop BB2_1878 Depth 4
                                        ;       Child Loop BB2_1948 Depth 3
                                        ;         Child Loop BB2_2269 Depth 4
                                        ;       Child Loop BB2_2345 Depth 3
                                        ;       Child Loop BB2_2539 Depth 3
                                        ;         Child Loop BB2_2560 Depth 4
                                        ;       Child Loop BB2_2579 Depth 3
                                        ;       Child Loop BB2_2968 Depth 3
	;; [unrolled: 1-line block ×6, first 2 shown]
	s_and_saveexec_b32 s17, s4
	s_cbranch_execz .LBB2_1481
; %bb.1480:                             ;   in Loop: Header=BB2_1479 Depth=2
	s_trap 2
	ds_read2_b64 v[8:11], v0 offset1:1
	ds_read_b64 v[12:13], v0
	v_ashrrev_i32_e32 v14, 31, v82
	s_waitcnt lgkmcnt(1)
	v_add_co_u32 v8, vcc_lo, v8, v83
	v_add_co_ci_u32_e64 v9, null, v9, v60, vcc_lo
	v_add_co_u32 v10, vcc_lo, v10, v83
	v_add_co_ci_u32_e64 v11, null, v11, v60, vcc_lo
	s_waitcnt lgkmcnt(0)
	v_add_co_u32 v15, vcc_lo, v12, v83
	v_add_co_ci_u32_e64 v55, null, v13, v60, vcc_lo
	v_add_co_u32 v8, vcc_lo, v8, v82
	v_add_co_ci_u32_e64 v9, null, v9, v14, vcc_lo
	;; [unrolled: 2-line block ×3, first 2 shown]
	v_cmp_ne_u64_e32 vcc_lo, 0, v[12:13]
	v_add_co_u32 v10, s16, v10, v82
	v_add_co_ci_u32_e64 v11, null, v11, v14, s16
	v_cndmask_b32_e32 v13, 0, v55, vcc_lo
	v_cndmask_b32_e32 v12, 0, v15, vcc_lo
	ds_write_b64 v0, v[8:9]
	ds_write_b64 v0, v[10:11]
	;; [unrolled: 1-line block ×3, first 2 shown]
.LBB2_1481:                             ;   in Loop: Header=BB2_1479 Depth=2
	s_or_b32 exec_lo, exec_lo, s17
	v_sub_nc_u32_e32 v8, v3, v82
	v_and_b32_e32 v9, 12, v84
	s_mov_b32 s17, exec_lo
	v_min_i32_e32 v54, v54, v8
	v_cmpx_ne_u32_e32 0, v9
	s_cbranch_execz .LBB2_1507
; %bb.1482:                             ;   in Loop: Header=BB2_1479 Depth=2
	v_and_b32_e32 v64, 8, v84
	s_mov_b32 s18, exec_lo
	s_waitcnt vmcnt(0) lgkmcnt(1)
	v_add_co_u32 v10, vcc_lo, v32, v64
	v_add_co_ci_u32_e64 v11, null, 0, v33, vcc_lo
	v_add_co_u32 v8, vcc_lo, v50, 2
	v_add_co_ci_u32_e64 v9, null, 0, v51, vcc_lo
	v_cmpx_lt_u64_e64 v[10:11], v[8:9]
	s_cbranch_execz .LBB2_1494
; %bb.1483:                             ;   in Loop: Header=BB2_1479 Depth=2
	v_and_b32_e32 v10, 64, v84
	s_mov_b32 s19, 0
	s_mov_b32 s73, 0
                                        ; implicit-def: $sgpr22
                                        ; implicit-def: $sgpr23
                                        ; implicit-def: $sgpr72
	v_cmp_eq_u32_e32 vcc_lo, 0, v10
	s_branch .LBB2_1487
.LBB2_1484:                             ;   in Loop: Header=BB2_1487 Depth=3
	s_waitcnt vmcnt(0) lgkmcnt(0)
	v_add_co_u32 v11, s16, v32, v64
	v_add_co_ci_u32_e64 v12, null, 0, v33, s16
	s_or_b32 s76, s76, exec_lo
	v_cmp_ge_u64_e64 s16, v[11:12], v[8:9]
	s_orn2_b32 s75, s16, exec_lo
.LBB2_1485:                             ;   in Loop: Header=BB2_1487 Depth=3
	s_or_b32 exec_lo, exec_lo, s78
	s_andn2_b32 s16, s72, exec_lo
	s_and_b32 s72, s76, exec_lo
	s_andn2_b32 s23, s23, exec_lo
	s_and_b32 s75, s75, exec_lo
	s_or_b32 s72, s16, s72
	s_or_b32 s23, s23, s75
.LBB2_1486:                             ;   in Loop: Header=BB2_1487 Depth=3
	s_or_b32 exec_lo, exec_lo, s74
	s_and_b32 s16, exec_lo, s23
	s_or_b32 s19, s16, s19
	s_andn2_b32 s16, s22, exec_lo
	s_and_b32 s22, s72, exec_lo
	s_or_b32 s22, s16, s22
	s_andn2_b32 exec_lo, exec_lo, s19
	s_cbranch_execz .LBB2_1491
.LBB2_1487:                             ;   Parent Loop BB2_47 Depth=1
                                        ;     Parent Loop BB2_1479 Depth=2
                                        ; =>    This Inner Loop Header: Depth=3
	s_sleep 1
	s_waitcnt vmcnt(0) lgkmcnt(0)
	flat_load_dwordx2 v[32:33], v[22:23] glc dlc
	s_or_b32 s72, s72, exec_lo
	s_or_b32 s23, s23, exec_lo
                                        ; implicit-def: $vgpr10
	s_and_saveexec_b32 s74, vcc_lo
	s_cbranch_execz .LBB2_1486
; %bb.1488:                             ;   in Loop: Header=BB2_1487 Depth=3
	s_cmpk_lt_i32 s73, 0x270f
	s_mov_b32 s75, -1
	s_cselect_b32 s77, -1, 0
	s_cmpk_gt_i32 s73, 0x270e
	s_cbranch_scc0 .LBB2_1490
; %bb.1489:                             ;   in Loop: Header=BB2_1487 Depth=3
	s_trap 2
	ds_read_b64 v[10:11], v0
	s_andn2_b32 s73, s77, exec_lo
	s_mov_b32 s76, 0
	s_waitcnt vmcnt(0) lgkmcnt(0)
	s_waitcnt_vscnt null, 0x0
	flat_load_dword v10, v[10:11] glc dlc
	s_waitcnt vmcnt(0) lgkmcnt(0)
	buffer_gl1_inv
	buffer_gl0_inv
	v_cmp_eq_u32_e64 s16, 0, v10
	s_and_b32 s16, s16, exec_lo
	s_or_b32 s77, s73, s16
	s_mov_b32 s73, 0
	s_and_saveexec_b32 s78, s77
	s_cbranch_execz .LBB2_1485
	s_branch .LBB2_1484
.LBB2_1490:                             ;   in Loop: Header=BB2_1487 Depth=3
	s_add_i32 s73, s73, 1
	s_mov_b32 s76, -1
                                        ; implicit-def: $vgpr10
	s_and_saveexec_b32 s78, s77
	s_cbranch_execz .LBB2_1485
	s_branch .LBB2_1484
.LBB2_1491:                             ;   in Loop: Header=BB2_1479 Depth=2
	s_or_b32 exec_lo, exec_lo, s19
	s_xor_b32 s16, s22, -1
	s_and_saveexec_b32 s19, s16
	s_xor_b32 s16, exec_lo, s19
	s_cbranch_execz .LBB2_1493
; %bb.1492:                             ;   in Loop: Header=BB2_1479 Depth=2
	v_or_b32_e32 v84, 64, v84
	s_waitcnt vmcnt(0) lgkmcnt(0)
	s_waitcnt_vscnt null, 0x0
	ds_write_b32 v0, v10
	s_trap 2
.LBB2_1493:                             ;   in Loop: Header=BB2_1479 Depth=2
	s_or_b32 exec_lo, exec_lo, s16
.LBB2_1494:                             ;   in Loop: Header=BB2_1479 Depth=2
	s_or_b32 exec_lo, exec_lo, s18
	v_and_b32_e32 v10, 0x108, v84
	;;#ASMSTART
	s_wakeup
	;;#ASMEND
	v_cmp_ne_u32_e32 vcc_lo, 0x108, v10
                                        ; implicit-def: $vgpr10_vgpr11
	s_and_saveexec_b32 s16, vcc_lo
	s_xor_b32 s16, exec_lo, s16
; %bb.1495:                             ;   in Loop: Header=BB2_1479 Depth=2
	v_and_b32_e32 v10, 7, v50
	v_mov_b32_e32 v11, v2
                                        ; implicit-def: $vgpr50_vgpr51
; %bb.1496:                             ;   in Loop: Header=BB2_1479 Depth=2
	s_andn2_saveexec_b32 s16, s16
	s_cbranch_execz .LBB2_1498
; %bb.1497:                             ;   in Loop: Header=BB2_1479 Depth=2
	v_and_b32_e32 v10, 7, v50
	v_ashrrev_i32_e32 v55, 31, v54
	v_mov_b32_e32 v11, v2
	v_mad_u64_u32 v[12:13], null, v10, 24, v[6:7]
	flat_store_dwordx2 v[12:13], v[54:55] offset:8
.LBB2_1498:                             ;   in Loop: Header=BB2_1479 Depth=2
	s_or_b32 exec_lo, exec_lo, s16
	v_and_b32_e32 v12, 0x100, v84
	s_mov_b32 s16, -1
	v_cmp_ne_u32_e32 vcc_lo, 0, v12
                                        ; implicit-def: $vgpr12_vgpr13
	s_and_saveexec_b32 s18, vcc_lo
	s_cbranch_execz .LBB2_1502
; %bb.1499:                             ;   in Loop: Header=BB2_1479 Depth=2
	v_mad_u64_u32 v[14:15], null, v10, 24, v[6:7]
	v_mov_b32_e32 v12, v15
	v_mad_u64_u32 v[12:13], null, v11, 24, v[12:13]
	v_mov_b32_e32 v15, v12
	flat_load_dword v12, v[14:15]
	s_waitcnt vmcnt(0) lgkmcnt(0)
	v_cmp_eq_u32_e64 s16, 1, v12
	v_cmp_ne_u32_e32 vcc_lo, 1, v12
                                        ; implicit-def: $vgpr12_vgpr13
	s_and_saveexec_b32 s19, s16
	s_cbranch_execz .LBB2_1501
; %bb.1500:                             ;   in Loop: Header=BB2_1479 Depth=2
	flat_load_dword v12, v[14:15] offset:4 glc dlc
	s_waitcnt vmcnt(0) lgkmcnt(0)
	v_ashrrev_i32_e32 v13, 31, v12
.LBB2_1501:                             ;   in Loop: Header=BB2_1479 Depth=2
	s_or_b32 exec_lo, exec_lo, s19
	s_orn2_b32 s16, vcc_lo, exec_lo
.LBB2_1502:                             ;   in Loop: Header=BB2_1479 Depth=2
	s_or_b32 exec_lo, exec_lo, s18
	s_and_saveexec_b32 s18, s16
; %bb.1503:                             ;   in Loop: Header=BB2_1479 Depth=2
	v_mul_lo_u32 v11, v11, v85
	v_mul_lo_u32 v14, v10, v86
	v_mad_u64_u32 v[12:13], null, v10, v85, 0
	v_add3_u32 v13, v13, v14, v11
; %bb.1504:                             ;   in Loop: Header=BB2_1479 Depth=2
	s_or_b32 exec_lo, exec_lo, s18
	v_cmp_eq_u32_e32 vcc_lo, 0, v64
	v_and_b32_e32 v15, 0x2000, v84
	s_mov_b32 s16, exec_lo
	v_cndmask_b32_e32 v14, 0xd0, v99, vcc_lo
	v_add_co_u32 v10, vcc_lo, v24, v12
	v_add_co_ci_u32_e64 v11, null, v25, v13, vcc_lo
	v_add_nc_u32_e32 v12, v0, v14
	ds_write_b64 v12, v[10:11] offset:584
	v_cmpx_ne_u32_e32 0, v15
	s_cbranch_execz .LBB2_1506
; %bb.1505:                             ;   in Loop: Header=BB2_1479 Depth=2
	ds_read_b64 v[10:11], v0 offset:872
	s_waitcnt lgkmcnt(0)
	v_add_co_u32 v10, vcc_lo, v10, 1
	v_add_co_ci_u32_e64 v11, null, 0, v11, vcc_lo
	ds_write_b64 v0, v[10:11] offset:872
.LBB2_1506:                             ;   in Loop: Header=BB2_1479 Depth=2
	s_or_b32 exec_lo, exec_lo, s16
	v_mov_b32_e32 v51, v9
	v_mov_b32_e32 v50, v8
.LBB2_1507:                             ;   in Loop: Header=BB2_1479 Depth=2
	s_or_b32 exec_lo, exec_lo, s17
	s_and_saveexec_b32 s16, s6
	s_cbranch_execz .LBB2_1526
; %bb.1508:                             ;   in Loop: Header=BB2_1479 Depth=2
	s_and_saveexec_b32 s17, s29
	s_xor_b32 s17, exec_lo, s17
	s_cbranch_execz .LBB2_1523
; %bb.1509:                             ;   in Loop: Header=BB2_1479 Depth=2
	s_and_saveexec_b32 s18, s11
	s_cbranch_execz .LBB2_1522
; %bb.1510:                             ;   in Loop: Header=BB2_1479 Depth=2
	s_mov_b32 s22, exec_lo
	s_mov_b32 s19, exec_lo
	v_mbcnt_lo_u32_b32 v8, s22, 0
	s_waitcnt vmcnt(0) lgkmcnt(0)
	s_waitcnt_vscnt null, 0x0
	buffer_gl1_inv
	buffer_gl0_inv
	v_cmpx_eq_u32_e32 0, v8
	s_cbranch_execz .LBB2_1512
; %bb.1511:                             ;   in Loop: Header=BB2_1479 Depth=2
	s_bcnt1_i32_b32 s22, s22
	v_mov_b32_e32 v9, v2
	v_mov_b32_e32 v8, s22
	ds_add_u64 v0, v[8:9]
	s_trap 2
.LBB2_1512:                             ;   in Loop: Header=BB2_1479 Depth=2
	s_or_b32 exec_lo, exec_lo, s19
	s_trap 2
	ds_read_b64 v[8:9], v0
	s_waitcnt lgkmcnt(0)
	buffer_gl0_inv
	v_add_co_u32 v28, vcc_lo, v28, v87
	v_add_co_ci_u32_e64 v29, null, 0, v29, vcc_lo
	s_mov_b32 s19, exec_lo
	v_cmpx_lt_u64_e64 v[8:9], v[28:29]
	s_cbranch_execz .LBB2_1521
; %bb.1513:                             ;   in Loop: Header=BB2_1479 Depth=2
	s_mov_b32 s22, 0
	s_mov_b32 s73, 0
                                        ; implicit-def: $sgpr23
                                        ; implicit-def: $sgpr72
	s_inst_prefetch 0x1
	s_branch .LBB2_1515
	.p2align	6
.LBB2_1514:                             ;   in Loop: Header=BB2_1515 Depth=3
	s_or_b32 exec_lo, exec_lo, s75
	s_and_b32 s74, exec_lo, s76
	s_or_b32 s22, s74, s22
	s_andn2_b32 s23, s23, exec_lo
	s_and_b32 s74, s72, exec_lo
	s_or_b32 s23, s23, s74
	s_andn2_b32 exec_lo, exec_lo, s22
	s_cbranch_execz .LBB2_1519
.LBB2_1515:                             ;   Parent Loop BB2_47 Depth=1
                                        ;     Parent Loop BB2_1479 Depth=2
                                        ; =>    This Inner Loop Header: Depth=3
	s_add_i32 s73, s73, 1
	s_cmpk_lg_i32 s73, 0x2710
	s_cselect_b32 s74, -1, 0
	s_and_b32 vcc_lo, exec_lo, s74
	s_cbranch_vccz .LBB2_1517
; %bb.1516:                             ;   in Loop: Header=BB2_1515 Depth=3
	s_mov_b32 s76, -1
	s_or_b32 s72, s72, exec_lo
	s_and_saveexec_b32 s75, s74
	s_cbranch_execz .LBB2_1514
	s_branch .LBB2_1518
	.p2align	6
.LBB2_1517:                             ;   in Loop: Header=BB2_1515 Depth=3
	s_trap 2
	ds_read_b64 v[8:9], v0
	s_andn2_b32 s74, s74, exec_lo
	s_mov_b32 s73, 0
	s_waitcnt lgkmcnt(0)
	flat_load_dword v8, v[8:9] glc dlc
	s_waitcnt vmcnt(0) lgkmcnt(0)
	buffer_gl1_inv
	buffer_gl0_inv
	v_cmp_eq_u32_e32 vcc_lo, 0, v8
	s_and_b32 s75, vcc_lo, exec_lo
	s_or_b32 s74, s74, s75
	s_mov_b32 s76, -1
	s_or_b32 s72, s72, exec_lo
	s_and_saveexec_b32 s75, s74
	s_cbranch_execz .LBB2_1514
.LBB2_1518:                             ;   in Loop: Header=BB2_1515 Depth=3
	s_sleep 1
	s_trap 2
	ds_read_b64 v[8:9], v0
	s_waitcnt lgkmcnt(0)
	buffer_gl0_inv
	s_andn2_b32 s72, s72, exec_lo
	v_cmp_ge_u64_e32 vcc_lo, v[8:9], v[28:29]
	s_orn2_b32 s76, vcc_lo, exec_lo
	s_branch .LBB2_1514
.LBB2_1519:                             ;   in Loop: Header=BB2_1479 Depth=2
	s_inst_prefetch 0x2
	s_or_b32 exec_lo, exec_lo, s22
	s_and_saveexec_b32 s22, s23
	s_xor_b32 s22, exec_lo, s22
	s_cbranch_execz .LBB2_1521
; %bb.1520:                             ;   in Loop: Header=BB2_1479 Depth=2
	ds_write_b32 v0, v98
	s_trap 2
.LBB2_1521:                             ;   in Loop: Header=BB2_1479 Depth=2
	s_or_b32 exec_lo, exec_lo, s19
	;;#ASMSTART
	s_wakeup
	;;#ASMEND
.LBB2_1522:                             ;   in Loop: Header=BB2_1479 Depth=2
	s_or_b32 exec_lo, exec_lo, s18
.LBB2_1523:                             ;   in Loop: Header=BB2_1479 Depth=2
	s_andn2_saveexec_b32 s17, s17
	s_cbranch_execz .LBB2_1525
; %bb.1524:                             ;   in Loop: Header=BB2_1479 Depth=2
	s_waitcnt vmcnt(0) lgkmcnt(0)
	s_waitcnt_vscnt null, 0x0
	buffer_gl1_inv
	buffer_gl0_inv
	s_barrier
.LBB2_1525:                             ;   in Loop: Header=BB2_1479 Depth=2
	s_or_b32 exec_lo, exec_lo, s17
.LBB2_1526:                             ;   in Loop: Header=BB2_1479 Depth=2
	s_or_b32 exec_lo, exec_lo, s16
	s_trap 2
	ds_read_b32 v8, v0
	v_and_b32_e32 v9, 0x4000, v84
	s_xor_b32 s16, s5, -1
	v_cmp_ne_u32_e32 vcc_lo, 0, v9
	s_and_b32 s17, s16, vcc_lo
	s_and_saveexec_b32 s16, s17
	s_cbranch_execz .LBB2_1545
; %bb.1527:                             ;   in Loop: Header=BB2_1479 Depth=2
	s_and_saveexec_b32 s17, s29
	s_xor_b32 s17, exec_lo, s17
	s_cbranch_execz .LBB2_1542
; %bb.1528:                             ;   in Loop: Header=BB2_1479 Depth=2
	s_and_saveexec_b32 s18, s11
	s_cbranch_execz .LBB2_1541
; %bb.1529:                             ;   in Loop: Header=BB2_1479 Depth=2
	s_mov_b32 s22, exec_lo
	s_mov_b32 s19, exec_lo
	v_mbcnt_lo_u32_b32 v9, s22, 0
	s_waitcnt vmcnt(0) lgkmcnt(0)
	s_waitcnt_vscnt null, 0x0
	buffer_gl1_inv
	buffer_gl0_inv
	v_cmpx_eq_u32_e32 0, v9
	s_cbranch_execz .LBB2_1531
; %bb.1530:                             ;   in Loop: Header=BB2_1479 Depth=2
	s_bcnt1_i32_b32 s22, s22
	v_mov_b32_e32 v10, v2
	v_mov_b32_e32 v9, s22
	ds_add_u64 v0, v[9:10]
	s_trap 2
.LBB2_1531:                             ;   in Loop: Header=BB2_1479 Depth=2
	s_or_b32 exec_lo, exec_lo, s19
	s_trap 2
	ds_read_b64 v[9:10], v0
	s_waitcnt lgkmcnt(0)
	buffer_gl0_inv
	v_add_co_u32 v28, vcc_lo, v28, v87
	v_add_co_ci_u32_e64 v29, null, 0, v29, vcc_lo
	s_mov_b32 s19, exec_lo
	v_cmpx_lt_u64_e64 v[9:10], v[28:29]
	s_cbranch_execz .LBB2_1540
; %bb.1532:                             ;   in Loop: Header=BB2_1479 Depth=2
	s_mov_b32 s22, 0
	s_mov_b32 s73, 0
                                        ; implicit-def: $sgpr23
                                        ; implicit-def: $sgpr72
	s_inst_prefetch 0x1
	s_branch .LBB2_1534
	.p2align	6
.LBB2_1533:                             ;   in Loop: Header=BB2_1534 Depth=3
	s_or_b32 exec_lo, exec_lo, s75
	s_and_b32 s74, exec_lo, s76
	s_or_b32 s22, s74, s22
	s_andn2_b32 s23, s23, exec_lo
	s_and_b32 s74, s72, exec_lo
	s_or_b32 s23, s23, s74
	s_andn2_b32 exec_lo, exec_lo, s22
	s_cbranch_execz .LBB2_1538
.LBB2_1534:                             ;   Parent Loop BB2_47 Depth=1
                                        ;     Parent Loop BB2_1479 Depth=2
                                        ; =>    This Inner Loop Header: Depth=3
	s_add_i32 s73, s73, 1
	s_cmpk_lg_i32 s73, 0x2710
	s_cselect_b32 s74, -1, 0
	s_and_b32 vcc_lo, exec_lo, s74
	s_cbranch_vccz .LBB2_1536
; %bb.1535:                             ;   in Loop: Header=BB2_1534 Depth=3
	s_mov_b32 s76, -1
	s_or_b32 s72, s72, exec_lo
	s_and_saveexec_b32 s75, s74
	s_cbranch_execz .LBB2_1533
	s_branch .LBB2_1537
	.p2align	6
.LBB2_1536:                             ;   in Loop: Header=BB2_1534 Depth=3
	s_trap 2
	ds_read_b64 v[9:10], v0
	s_andn2_b32 s74, s74, exec_lo
	s_mov_b32 s73, 0
	s_waitcnt lgkmcnt(0)
	flat_load_dword v9, v[9:10] glc dlc
	s_waitcnt vmcnt(0) lgkmcnt(0)
	buffer_gl1_inv
	buffer_gl0_inv
	v_cmp_eq_u32_e32 vcc_lo, 0, v9
	s_and_b32 s75, vcc_lo, exec_lo
	s_or_b32 s74, s74, s75
	s_mov_b32 s76, -1
	s_or_b32 s72, s72, exec_lo
	s_and_saveexec_b32 s75, s74
	s_cbranch_execz .LBB2_1533
.LBB2_1537:                             ;   in Loop: Header=BB2_1534 Depth=3
	s_sleep 1
	s_trap 2
	ds_read_b64 v[9:10], v0
	s_waitcnt lgkmcnt(0)
	buffer_gl0_inv
	s_andn2_b32 s72, s72, exec_lo
	v_cmp_ge_u64_e32 vcc_lo, v[9:10], v[28:29]
	s_orn2_b32 s76, vcc_lo, exec_lo
	s_branch .LBB2_1533
.LBB2_1538:                             ;   in Loop: Header=BB2_1479 Depth=2
	s_inst_prefetch 0x2
	s_or_b32 exec_lo, exec_lo, s22
	s_and_saveexec_b32 s22, s23
	s_xor_b32 s22, exec_lo, s22
	s_cbranch_execz .LBB2_1540
; %bb.1539:                             ;   in Loop: Header=BB2_1479 Depth=2
	ds_write_b32 v0, v98
	s_trap 2
.LBB2_1540:                             ;   in Loop: Header=BB2_1479 Depth=2
	s_or_b32 exec_lo, exec_lo, s19
	;;#ASMSTART
	s_wakeup
	;;#ASMEND
.LBB2_1541:                             ;   in Loop: Header=BB2_1479 Depth=2
	s_or_b32 exec_lo, exec_lo, s18
.LBB2_1542:                             ;   in Loop: Header=BB2_1479 Depth=2
	s_andn2_saveexec_b32 s17, s17
	s_cbranch_execz .LBB2_1544
; %bb.1543:                             ;   in Loop: Header=BB2_1479 Depth=2
	s_waitcnt vmcnt(0) lgkmcnt(0)
	s_waitcnt_vscnt null, 0x0
	buffer_gl1_inv
	buffer_gl0_inv
	s_barrier
.LBB2_1544:                             ;   in Loop: Header=BB2_1479 Depth=2
	s_or_b32 exec_lo, exec_lo, s17
.LBB2_1545:                             ;   in Loop: Header=BB2_1479 Depth=2
	s_or_b32 exec_lo, exec_lo, s16
	s_trap 2
	ds_read_b64 v[64:65], v0
	s_waitcnt lgkmcnt(0)
	v_cmp_eq_u64_e32 vcc_lo, 0, v[64:65]
	s_cbranch_vccnz .LBB2_1554
; %bb.1546:                             ;   in Loop: Header=BB2_1479 Depth=2
	s_trap 2
	ds_read_b64 v[66:67], v0
	s_waitcnt lgkmcnt(0)
	v_cmp_eq_u64_e32 vcc_lo, 0, v[66:67]
	s_cbranch_vccnz .LBB2_1554
; %bb.1547:                             ;   in Loop: Header=BB2_1479 Depth=2
	s_trap 2
	ds_read_b64 v[68:69], v0
	v_cmp_eq_u32_e64 s16, 0, v8
	v_cndmask_b32_e64 v55, 0, v54, s16
	s_mov_b32 s16, -1
	s_waitcnt lgkmcnt(0)
	v_cmp_ne_u64_e32 vcc_lo, 0, v[68:69]
	s_cbranch_vccz .LBB2_2567
; %bb.1548:                             ;   in Loop: Header=BB2_1479 Depth=2
	s_and_saveexec_b32 s17, s15
	s_cbranch_execz .LBB2_1550
; %bb.1549:                             ;   in Loop: Header=BB2_1479 Depth=2
	ds_read_b32 v8, v0 offset:720
	s_waitcnt lgkmcnt(0)
	v_and_b32_e32 v8, 15, v8
	v_cmp_eq_u32_e32 vcc_lo, 0, v8
	s_orn2_b32 s16, vcc_lo, exec_lo
.LBB2_1550:                             ;   in Loop: Header=BB2_1479 Depth=2
	s_or_b32 exec_lo, exec_lo, s17
	s_and_saveexec_b32 s17, s15
	s_cbranch_execz .LBB2_1552
; %bb.1551:                             ;   in Loop: Header=BB2_1479 Depth=2
	ds_read_b32 v8, v0 offset:784
	s_waitcnt lgkmcnt(0)
	v_and_b32_e32 v8, 15, v8
	v_cmp_eq_u32_e32 vcc_lo, 0, v8
	s_and_b32 s18, s16, vcc_lo
	s_andn2_b32 s16, s16, exec_lo
	s_and_b32 s18, s18, exec_lo
	s_or_b32 s16, s16, s18
.LBB2_1552:                             ;   in Loop: Header=BB2_1479 Depth=2
	s_or_b32 exec_lo, exec_lo, s17
	s_xor_b32 s16, s16, -1
	v_mov_b32_e32 v70, 0
	v_cndmask_b32_e64 v8, 0, 1, s16
	v_mov_b32_e32 v71, v55
	v_mov_b32_e32 v80, v0
	s_mov_b32 s17, -1
	v_cmp_ne_u32_e32 vcc_lo, 0, v8
	v_mov_b32_e32 v8, v42
	s_cbranch_vccz .LBB2_1555
; %bb.1553:                             ;   in Loop: Header=BB2_1479 Depth=2
	s_and_saveexec_b32 s22, s17
	s_cbranch_execz .LBB2_2566
	s_branch .LBB2_2340
.LBB2_1554:                             ;   in Loop: Header=BB2_1479 Depth=2
	s_mov_b32 s16, 0
	s_and_saveexec_b32 s17, s6
	s_cbranch_execnz .LBB2_3581
	s_branch .LBB2_3599
.LBB2_1555:                             ;   in Loop: Header=BB2_1479 Depth=2
	v_ashrrev_i32_e32 v8, 31, v55
	v_sub_nc_u32_e32 v62, v55, v97
	s_mov_b32 s19, exec_lo
	v_lshrrev_b32_e32 v8, 23, v8
	v_add_nc_u32_e32 v8, v55, v8
	v_and_b32_e32 v61, 0xfffffe00, v8
	v_ashrrev_i32_e32 v8, 9, v8
	v_sub_nc_u32_e32 v63, v55, v61
	v_cmp_lt_i32_e64 s16, 15, v63
	v_add_co_ci_u32_e64 v72, null, v8, v47, s16
	v_cmpx_lt_i32_e32 15, v62
	s_cbranch_execz .LBB2_1945
; %bb.1556:                             ;   in Loop: Header=BB2_1479 Depth=2
	s_trap 2
	ds_read_b64 v[8:9], v0
	v_add_co_u32 v73, vcc_lo, v66, v97
	v_add_co_ci_u32_e64 v74, null, v67, v118, vcc_lo
	v_add_co_u32 v75, vcc_lo, v68, v97
	v_add_co_ci_u32_e64 v76, null, v69, v118, vcc_lo
	;; [unrolled: 2-line block ×3, first 2 shown]
	s_mov_b32 s72, 0
	s_waitcnt lgkmcnt(0)
	v_add_co_u32 v80, vcc_lo, v8, v97
	v_add_co_ci_u32_e64 v81, null, v9, v118, vcc_lo
.LBB2_1557:                             ;   Parent Loop BB2_47 Depth=1
                                        ;     Parent Loop BB2_1479 Depth=2
                                        ; =>    This Loop Header: Depth=3
                                        ;         Child Loop BB2_1878 Depth 4
	global_load_dwordx4 v[12:15], v[70:71], off slc
	global_load_dwordx4 v[8:11], v[80:81], off slc
	s_mov_b32 s17, 0
	s_waitcnt vmcnt(1)
	v_cmp_gt_i16_sdwa s18, v12, v100 src0_sel:BYTE_0 src1_sel:DWORD
	s_and_saveexec_b32 s22, s18
	s_xor_b32 s18, exec_lo, s22
	s_cbranch_execz .LBB2_1880
; %bb.1558:                             ;   in Loop: Header=BB2_1557 Depth=3
	v_cmp_eq_u16_sdwa s23, v12, v101 src0_sel:BYTE_0 src1_sel:DWORD
	s_mov_b32 s17, -1
	s_and_saveexec_b32 s22, s23
; %bb.1559:                             ;   in Loop: Header=BB2_1557 Depth=3
	s_xor_b32 s17, exec_lo, -1
; %bb.1560:                             ;   in Loop: Header=BB2_1557 Depth=3
	s_or_b32 exec_lo, exec_lo, s22
	s_and_b32 s17, s17, exec_lo
	s_or_saveexec_b32 s18, s18
	v_mov_b32_e32 v77, 0x7f800001
	s_xor_b32 exec_lo, exec_lo, s18
	s_cbranch_execnz .LBB2_1881
.LBB2_1561:                             ;   in Loop: Header=BB2_1557 Depth=3
	s_or_b32 exec_lo, exec_lo, s18
	s_and_saveexec_b32 s18, s17
	s_cbranch_execz .LBB2_1563
.LBB2_1562:                             ;   in Loop: Header=BB2_1557 Depth=3
	v_and_b32_e32 v77, 3, v12
	v_bfe_u32 v88, v12, 2, 5
	v_lshlrev_b32_e32 v89, 24, v12
	v_ffbh_u32_e32 v78, v77
	v_cmp_eq_u32_e32 vcc_lo, 0, v88
	v_min_u32_e32 v78, 32, v78
	v_subrev_nc_u32_e32 v79, 29, v78
	v_sub_nc_u32_e32 v78, 30, v78
	v_lshlrev_b32_e32 v79, v79, v12
	v_cndmask_b32_e32 v78, v88, v78, vcc_lo
	v_and_b32_e32 v79, 3, v79
	v_lshl_add_u32 v78, v78, 23, 0x37800000
	v_cndmask_b32_e32 v77, v77, v79, vcc_lo
	v_and_b32_e32 v79, 0x80000000, v89
	v_lshlrev_b32_e32 v77, 21, v77
	v_or3_b32 v77, v79, v78, v77
.LBB2_1563:                             ;   in Loop: Header=BB2_1557 Depth=3
	s_or_b32 exec_lo, exec_lo, s18
	s_waitcnt vmcnt(0)
	v_cmp_gt_i16_sdwa s18, v8, v100 src0_sel:BYTE_0 src1_sel:DWORD
	s_mov_b32 s17, 0
	s_and_saveexec_b32 s22, s18
	s_xor_b32 s18, exec_lo, s22
	s_cbranch_execz .LBB2_1882
; %bb.1564:                             ;   in Loop: Header=BB2_1557 Depth=3
	v_cmp_eq_u16_sdwa s23, v8, v101 src0_sel:BYTE_0 src1_sel:DWORD
	s_mov_b32 s17, -1
	s_and_saveexec_b32 s22, s23
; %bb.1565:                             ;   in Loop: Header=BB2_1557 Depth=3
	s_xor_b32 s17, exec_lo, -1
; %bb.1566:                             ;   in Loop: Header=BB2_1557 Depth=3
	s_or_b32 exec_lo, exec_lo, s22
	s_and_b32 s17, s17, exec_lo
	s_or_saveexec_b32 s18, s18
	v_mov_b32_e32 v78, 0x7f800001
	s_xor_b32 exec_lo, exec_lo, s18
	s_cbranch_execnz .LBB2_1883
.LBB2_1567:                             ;   in Loop: Header=BB2_1557 Depth=3
	s_or_b32 exec_lo, exec_lo, s18
	s_and_saveexec_b32 s18, s17
	s_cbranch_execz .LBB2_1569
.LBB2_1568:                             ;   in Loop: Header=BB2_1557 Depth=3
	v_and_b32_e32 v78, 3, v8
	v_bfe_u32 v89, v8, 2, 5
	v_lshlrev_b32_e32 v90, 24, v8
	v_ffbh_u32_e32 v79, v78
	v_cmp_eq_u32_e32 vcc_lo, 0, v89
	v_min_u32_e32 v79, 32, v79
	v_subrev_nc_u32_e32 v88, 29, v79
	v_sub_nc_u32_e32 v79, 30, v79
	v_lshlrev_b32_e32 v88, v88, v8
	v_cndmask_b32_e32 v79, v89, v79, vcc_lo
	v_and_b32_e32 v88, 3, v88
	v_lshl_add_u32 v79, v79, 23, 0x37800000
	v_cndmask_b32_e32 v78, v78, v88, vcc_lo
	v_and_b32_e32 v88, 0x80000000, v90
	v_lshlrev_b32_e32 v78, 21, v78
	v_or3_b32 v78, v88, v79, v78
.LBB2_1569:                             ;   in Loop: Header=BB2_1557 Depth=3
	s_or_b32 exec_lo, exec_lo, s18
	v_mul_f32_e32 v78, v77, v78
	v_and_b32_e32 v77, 0x7f800000, v78
	v_cmp_ne_u32_e32 vcc_lo, 0x7f800000, v77
	v_mov_b32_e32 v77, 0x80
	s_and_saveexec_b32 s18, vcc_lo
	s_cbranch_execz .LBB2_1577
; %bb.1570:                             ;   in Loop: Header=BB2_1557 Depth=3
	v_mov_b32_e32 v77, 0
	s_mov_b32 s22, exec_lo
	v_cmpx_ne_u32_e32 0, v78
	s_cbranch_execz .LBB2_1576
; %bb.1571:                             ;   in Loop: Header=BB2_1557 Depth=3
	v_bfe_u32 v77, v78, 23, 8
	v_and_b32_e32 v79, 0x7fffff, v78
	v_sub_nc_u32_e32 v88, 0x70, v77
	v_cmp_gt_u32_e32 vcc_lo, 0x71, v77
	v_or_b32_e32 v89, 0x800000, v79
	v_cndmask_b32_e32 v88, 0, v88, vcc_lo
	v_cmp_eq_u32_e32 vcc_lo, 0, v77
	v_add_nc_u32_e32 v77, 0xffffff91, v77
	v_cndmask_b32_e64 v88, v88, 0x6f, vcc_lo
	v_cndmask_b32_e32 v79, v89, v79, vcc_lo
	v_cndmask_b32_e64 v77, v77, 0xffffff92, vcc_lo
	v_lshl_add_u32 v89, 0x200000, v88, -1
	v_lshrrev_b32_e32 v90, v88, v79
	v_lshlrev_b32_e64 v92, v88, 0x100000
	v_add_nc_u32_e32 v88, v88, v77
	v_and_b32_e32 v79, v89, v79
	v_bfe_u32 v91, v90, 21, 1
	v_cmp_eq_u32_e64 s17, v79, v92
	v_add_nc_u32_e32 v89, -1, v91
	v_cndmask_b32_e64 v79, 0, v89, s17
	v_lshrrev_b32_e32 v89, 23, v90
	s_mov_b32 s17, exec_lo
	v_add_nc_u32_e32 v79, v79, v90
	v_xor_b32_e32 v89, 1, v89
	v_and_b32_e32 v77, 0x1fffff, v79
	v_add_nc_u32_e32 v79, v77, v90
                                        ; implicit-def: $vgpr77
	v_cmpx_ne_u32_e64 v88, v89
	s_xor_b32 s17, exec_lo, s17
; %bb.1572:                             ;   in Loop: Header=BB2_1557 Depth=3
	v_cmp_lt_u32_e32 vcc_lo, 0xffffff, v79
	v_sub_nc_u32_e32 v77, v88, v89
	v_cndmask_b32_e64 v88, 0, 1, vcc_lo
	v_add_co_ci_u32_e64 v77, null, 0, v77, vcc_lo
	v_lshrrev_b32_e32 v79, v88, v79
; %bb.1573:                             ;   in Loop: Header=BB2_1557 Depth=3
	s_andn2_saveexec_b32 s17, s17
; %bb.1574:                             ;   in Loop: Header=BB2_1557 Depth=3
	v_bfe_u32 v77, v79, 23, 1
; %bb.1575:                             ;   in Loop: Header=BB2_1557 Depth=3
	s_or_b32 exec_lo, exec_lo, s17
	v_lshrrev_b32_e32 v79, 21, v79
	v_min_i32_e32 v88, 31, v77
	v_cmp_gt_i32_e32 vcc_lo, 32, v77
	v_and_b32_sdwa v78, v78, v101 dst_sel:DWORD dst_unused:UNUSED_PAD src0_sel:BYTE_3 src1_sel:DWORD
	v_lshlrev_b32_e32 v88, 2, v88
	v_cndmask_b32_e32 v79, 3, v79, vcc_lo
	v_and_b32_e32 v88, 0xfc, v88
	v_and_b32_e32 v89, 3, v79
	v_or_b32_e32 v77, v77, v79
	v_or3_b32 v78, v88, v78, v89
	v_cmp_ne_u32_e32 vcc_lo, 0, v77
	v_cndmask_b32_e32 v77, 0, v78, vcc_lo
.LBB2_1576:                             ;   in Loop: Header=BB2_1557 Depth=3
	s_or_b32 exec_lo, exec_lo, s22
.LBB2_1577:                             ;   in Loop: Header=BB2_1557 Depth=3
	s_or_b32 exec_lo, exec_lo, s18
	v_cmp_gt_i16_sdwa s18, v12, v100 src0_sel:BYTE_1 src1_sel:DWORD
	s_mov_b32 s17, 0
	s_and_saveexec_b32 s22, s18
	s_xor_b32 s18, exec_lo, s22
	s_cbranch_execz .LBB2_1884
; %bb.1578:                             ;   in Loop: Header=BB2_1557 Depth=3
	v_cmp_eq_u16_sdwa s23, v12, v101 src0_sel:BYTE_1 src1_sel:DWORD
	s_mov_b32 s17, -1
	s_and_saveexec_b32 s22, s23
; %bb.1579:                             ;   in Loop: Header=BB2_1557 Depth=3
	s_xor_b32 s17, exec_lo, -1
; %bb.1580:                             ;   in Loop: Header=BB2_1557 Depth=3
	s_or_b32 exec_lo, exec_lo, s22
	s_and_b32 s17, s17, exec_lo
	s_or_saveexec_b32 s18, s18
	v_mov_b32_e32 v78, 0x7f800001
	s_xor_b32 exec_lo, exec_lo, s18
	s_cbranch_execnz .LBB2_1885
.LBB2_1581:                             ;   in Loop: Header=BB2_1557 Depth=3
	s_or_b32 exec_lo, exec_lo, s18
	s_and_saveexec_b32 s18, s17
	s_cbranch_execz .LBB2_1583
.LBB2_1582:                             ;   in Loop: Header=BB2_1557 Depth=3
	v_and_b32_sdwa v78, v102, v12 dst_sel:DWORD dst_unused:UNUSED_PAD src0_sel:DWORD src1_sel:BYTE_1
	v_and_b32_e32 v79, 3, v78
	v_bfe_u32 v90, v78, 2, 5
	v_ffbh_u32_e32 v88, v79
	v_cmp_eq_u32_e32 vcc_lo, 0, v90
	v_min_u32_e32 v88, 32, v88
	v_subrev_nc_u32_e32 v89, 29, v88
	v_sub_nc_u32_e32 v88, 30, v88
	v_lshlrev_b32_e32 v78, v89, v78
	v_lshlrev_b32_sdwa v89, v103, v12 dst_sel:DWORD dst_unused:UNUSED_PAD src0_sel:DWORD src1_sel:BYTE_1
	v_cndmask_b32_e32 v88, v90, v88, vcc_lo
	v_and_b32_e32 v78, 3, v78
	v_lshl_add_u32 v88, v88, 23, 0x37800000
	v_cndmask_b32_e32 v78, v79, v78, vcc_lo
	v_and_b32_e32 v79, 0x80000000, v89
	v_lshlrev_b32_e32 v78, 21, v78
	v_or3_b32 v78, v79, v88, v78
.LBB2_1583:                             ;   in Loop: Header=BB2_1557 Depth=3
	s_or_b32 exec_lo, exec_lo, s18
	v_cmp_gt_i16_sdwa s18, v8, v100 src0_sel:BYTE_1 src1_sel:DWORD
	s_mov_b32 s17, 0
	s_and_saveexec_b32 s22, s18
	s_xor_b32 s18, exec_lo, s22
	s_cbranch_execz .LBB2_1886
; %bb.1584:                             ;   in Loop: Header=BB2_1557 Depth=3
	v_cmp_eq_u16_sdwa s23, v8, v101 src0_sel:BYTE_1 src1_sel:DWORD
	s_mov_b32 s17, -1
	s_and_saveexec_b32 s22, s23
; %bb.1585:                             ;   in Loop: Header=BB2_1557 Depth=3
	s_xor_b32 s17, exec_lo, -1
; %bb.1586:                             ;   in Loop: Header=BB2_1557 Depth=3
	s_or_b32 exec_lo, exec_lo, s22
	s_and_b32 s17, s17, exec_lo
	s_or_saveexec_b32 s18, s18
	v_mov_b32_e32 v79, 0x7f800001
	s_xor_b32 exec_lo, exec_lo, s18
	s_cbranch_execnz .LBB2_1887
.LBB2_1587:                             ;   in Loop: Header=BB2_1557 Depth=3
	s_or_b32 exec_lo, exec_lo, s18
	s_and_saveexec_b32 s18, s17
	s_cbranch_execz .LBB2_1589
.LBB2_1588:                             ;   in Loop: Header=BB2_1557 Depth=3
	v_and_b32_sdwa v79, v102, v8 dst_sel:DWORD dst_unused:UNUSED_PAD src0_sel:DWORD src1_sel:BYTE_1
	v_and_b32_e32 v88, 3, v79
	v_bfe_u32 v91, v79, 2, 5
	v_ffbh_u32_e32 v89, v88
	v_cmp_eq_u32_e32 vcc_lo, 0, v91
	v_min_u32_e32 v89, 32, v89
	v_subrev_nc_u32_e32 v90, 29, v89
	v_sub_nc_u32_e32 v89, 30, v89
	v_lshlrev_b32_e32 v79, v90, v79
	v_lshlrev_b32_sdwa v90, v103, v8 dst_sel:DWORD dst_unused:UNUSED_PAD src0_sel:DWORD src1_sel:BYTE_1
	v_cndmask_b32_e32 v89, v91, v89, vcc_lo
	v_and_b32_e32 v79, 3, v79
	v_lshl_add_u32 v89, v89, 23, 0x37800000
	v_cndmask_b32_e32 v79, v88, v79, vcc_lo
	v_and_b32_e32 v88, 0x80000000, v90
	v_lshlrev_b32_e32 v79, 21, v79
	v_or3_b32 v79, v88, v89, v79
.LBB2_1589:                             ;   in Loop: Header=BB2_1557 Depth=3
	s_or_b32 exec_lo, exec_lo, s18
	v_mul_f32_e32 v79, v78, v79
	v_and_b32_e32 v78, 0x7f800000, v79
	v_cmp_ne_u32_e32 vcc_lo, 0x7f800000, v78
	v_mov_b32_e32 v78, 0x8000
	s_and_saveexec_b32 s18, vcc_lo
	s_cbranch_execz .LBB2_1597
; %bb.1590:                             ;   in Loop: Header=BB2_1557 Depth=3
	v_mov_b32_e32 v78, 0
	s_mov_b32 s22, exec_lo
	v_cmpx_ne_u32_e32 0, v79
	s_cbranch_execz .LBB2_1596
; %bb.1591:                             ;   in Loop: Header=BB2_1557 Depth=3
	v_bfe_u32 v78, v79, 23, 8
	v_and_b32_e32 v88, 0x7fffff, v79
	v_sub_nc_u32_e32 v89, 0x70, v78
	v_cmp_gt_u32_e32 vcc_lo, 0x71, v78
	v_or_b32_e32 v90, 0x800000, v88
	v_cndmask_b32_e32 v89, 0, v89, vcc_lo
	v_cmp_eq_u32_e32 vcc_lo, 0, v78
	v_add_nc_u32_e32 v78, 0xffffff91, v78
	v_cndmask_b32_e64 v89, v89, 0x6f, vcc_lo
	v_cndmask_b32_e32 v88, v90, v88, vcc_lo
	v_cndmask_b32_e64 v78, v78, 0xffffff92, vcc_lo
	v_lshl_add_u32 v90, 0x200000, v89, -1
	v_lshrrev_b32_e32 v91, v89, v88
	v_lshlrev_b32_e64 v93, v89, 0x100000
	v_add_nc_u32_e32 v89, v89, v78
	v_and_b32_e32 v88, v90, v88
	v_bfe_u32 v92, v91, 21, 1
	v_cmp_eq_u32_e64 s17, v88, v93
	v_add_nc_u32_e32 v90, -1, v92
	v_cndmask_b32_e64 v88, 0, v90, s17
	v_lshrrev_b32_e32 v90, 23, v91
	s_mov_b32 s17, exec_lo
	v_add_nc_u32_e32 v88, v88, v91
	v_xor_b32_e32 v90, 1, v90
	v_and_b32_e32 v78, 0x1fffff, v88
	v_add_nc_u32_e32 v88, v78, v91
                                        ; implicit-def: $vgpr78
	v_cmpx_ne_u32_e64 v89, v90
	s_xor_b32 s17, exec_lo, s17
; %bb.1592:                             ;   in Loop: Header=BB2_1557 Depth=3
	v_cmp_lt_u32_e32 vcc_lo, 0xffffff, v88
	v_sub_nc_u32_e32 v78, v89, v90
	v_cndmask_b32_e64 v89, 0, 1, vcc_lo
	v_add_co_ci_u32_e64 v78, null, 0, v78, vcc_lo
	v_lshrrev_b32_e32 v88, v89, v88
; %bb.1593:                             ;   in Loop: Header=BB2_1557 Depth=3
	s_andn2_saveexec_b32 s17, s17
; %bb.1594:                             ;   in Loop: Header=BB2_1557 Depth=3
	v_bfe_u32 v78, v88, 23, 1
; %bb.1595:                             ;   in Loop: Header=BB2_1557 Depth=3
	s_or_b32 exec_lo, exec_lo, s17
	v_lshrrev_b32_e32 v88, 21, v88
	v_min_i32_e32 v89, 31, v78
	v_cmp_gt_i32_e32 vcc_lo, 32, v78
	v_and_b32_sdwa v79, v79, v101 dst_sel:DWORD dst_unused:UNUSED_PAD src0_sel:BYTE_3 src1_sel:DWORD
	v_lshlrev_b32_e32 v89, 2, v89
	v_cndmask_b32_e32 v88, 3, v88, vcc_lo
	v_and_b32_e32 v89, 0xfc, v89
	v_and_b32_e32 v90, 3, v88
	v_or_b32_e32 v78, v78, v88
	v_or3_b32 v79, v79, v89, v90
	v_cmp_ne_u32_e32 vcc_lo, 0, v78
	v_lshlrev_b32_e32 v79, 8, v79
	v_cndmask_b32_e32 v78, 0, v79, vcc_lo
.LBB2_1596:                             ;   in Loop: Header=BB2_1557 Depth=3
	s_or_b32 exec_lo, exec_lo, s22
.LBB2_1597:                             ;   in Loop: Header=BB2_1557 Depth=3
	s_or_b32 exec_lo, exec_lo, s18
	v_and_b32_sdwa v88, v12, v112 dst_sel:DWORD dst_unused:UNUSED_PAD src0_sel:WORD_1 src1_sel:DWORD
	s_mov_b32 s17, 0
	s_mov_b32 s18, exec_lo
	v_cmpx_lt_i16_e32 0x7f, v88
	s_xor_b32 s18, exec_lo, s18
	s_cbranch_execz .LBB2_1888
; %bb.1598:                             ;   in Loop: Header=BB2_1557 Depth=3
	s_mov_b32 s17, -1
	s_mov_b32 s22, exec_lo
	v_cmpx_eq_u16_e32 0x80, v88
; %bb.1599:                             ;   in Loop: Header=BB2_1557 Depth=3
	s_xor_b32 s17, exec_lo, -1
; %bb.1600:                             ;   in Loop: Header=BB2_1557 Depth=3
	s_or_b32 exec_lo, exec_lo, s22
	s_and_b32 s17, s17, exec_lo
                                        ; implicit-def: $vgpr88
	s_or_saveexec_b32 s18, s18
	v_mov_b32_e32 v79, 0x7f800001
	s_xor_b32 exec_lo, exec_lo, s18
	s_cbranch_execnz .LBB2_1889
.LBB2_1601:                             ;   in Loop: Header=BB2_1557 Depth=3
	s_or_b32 exec_lo, exec_lo, s18
	s_and_saveexec_b32 s18, s17
	s_cbranch_execz .LBB2_1603
.LBB2_1602:                             ;   in Loop: Header=BB2_1557 Depth=3
	v_bfe_u32 v79, v12, 16, 2
	v_bfe_u32 v90, v12, 18, 5
	v_lshlrev_b32_e32 v91, 8, v12
	v_ffbh_u32_e32 v88, v79
	v_cmp_eq_u32_e32 vcc_lo, 0, v90
	v_min_u32_e32 v88, 32, v88
	v_subrev_nc_u32_e32 v89, 29, v88
	v_sub_nc_u32_e32 v88, 30, v88
	v_lshlrev_b32_sdwa v89, v89, v12 dst_sel:DWORD dst_unused:UNUSED_PAD src0_sel:DWORD src1_sel:WORD_1
	v_cndmask_b32_e32 v88, v90, v88, vcc_lo
	v_and_b32_e32 v89, 3, v89
	v_lshl_add_u32 v88, v88, 23, 0x37800000
	v_cndmask_b32_e32 v79, v79, v89, vcc_lo
	v_and_b32_e32 v89, 0x80000000, v91
	v_lshlrev_b32_e32 v79, 21, v79
	v_or3_b32 v79, v89, v88, v79
.LBB2_1603:                             ;   in Loop: Header=BB2_1557 Depth=3
	s_or_b32 exec_lo, exec_lo, s18
	v_and_b32_sdwa v89, v8, v112 dst_sel:DWORD dst_unused:UNUSED_PAD src0_sel:WORD_1 src1_sel:DWORD
	s_mov_b32 s17, 0
	s_mov_b32 s18, exec_lo
	v_cmpx_lt_i16_e32 0x7f, v89
	s_xor_b32 s18, exec_lo, s18
	s_cbranch_execz .LBB2_1890
; %bb.1604:                             ;   in Loop: Header=BB2_1557 Depth=3
	s_mov_b32 s17, -1
	s_mov_b32 s22, exec_lo
	v_cmpx_eq_u16_e32 0x80, v89
; %bb.1605:                             ;   in Loop: Header=BB2_1557 Depth=3
	s_xor_b32 s17, exec_lo, -1
; %bb.1606:                             ;   in Loop: Header=BB2_1557 Depth=3
	s_or_b32 exec_lo, exec_lo, s22
	s_and_b32 s17, s17, exec_lo
                                        ; implicit-def: $vgpr89
	s_or_saveexec_b32 s18, s18
	v_mov_b32_e32 v88, 0x7f800001
	s_xor_b32 exec_lo, exec_lo, s18
	s_cbranch_execnz .LBB2_1891
.LBB2_1607:                             ;   in Loop: Header=BB2_1557 Depth=3
	s_or_b32 exec_lo, exec_lo, s18
	s_and_saveexec_b32 s18, s17
	s_cbranch_execz .LBB2_1609
.LBB2_1608:                             ;   in Loop: Header=BB2_1557 Depth=3
	v_and_b32_sdwa v88, v8, v113 dst_sel:DWORD dst_unused:UNUSED_PAD src0_sel:WORD_1 src1_sel:DWORD
	v_bfe_u32 v91, v8, 18, 5
	v_lshlrev_b32_sdwa v92, v103, v8 dst_sel:DWORD dst_unused:UNUSED_PAD src0_sel:DWORD src1_sel:WORD_1
	v_ffbh_u32_e32 v89, v88
	v_cmp_eq_u32_e32 vcc_lo, 0, v91
	v_min_u32_e32 v89, 32, v89
	v_subrev_nc_u32_e32 v90, 29, v89
	v_sub_nc_u32_e32 v89, 30, v89
	v_lshlrev_b32_sdwa v90, v90, v8 dst_sel:DWORD dst_unused:UNUSED_PAD src0_sel:DWORD src1_sel:WORD_1
	v_cndmask_b32_e32 v89, v91, v89, vcc_lo
	v_and_b32_e32 v90, 3, v90
	v_lshl_add_u32 v89, v89, 23, 0x37800000
	v_cndmask_b32_e32 v88, v88, v90, vcc_lo
	v_and_b32_e32 v90, 0x80000000, v92
	v_lshlrev_b32_e32 v88, 21, v88
	v_or3_b32 v88, v90, v89, v88
.LBB2_1609:                             ;   in Loop: Header=BB2_1557 Depth=3
	s_or_b32 exec_lo, exec_lo, s18
	v_mul_f32_e32 v88, v79, v88
	v_and_b32_e32 v79, 0x7f800000, v88
	v_cmp_ne_u32_e32 vcc_lo, 0x7f800000, v79
	v_mov_b32_e32 v79, 0x80
	s_and_saveexec_b32 s18, vcc_lo
	s_cbranch_execz .LBB2_1617
; %bb.1610:                             ;   in Loop: Header=BB2_1557 Depth=3
	v_mov_b32_e32 v79, 0
	s_mov_b32 s22, exec_lo
	v_cmpx_ne_u32_e32 0, v88
	s_cbranch_execz .LBB2_1616
; %bb.1611:                             ;   in Loop: Header=BB2_1557 Depth=3
	v_bfe_u32 v79, v88, 23, 8
	v_and_b32_e32 v89, 0x7fffff, v88
	v_sub_nc_u32_e32 v90, 0x70, v79
	v_cmp_gt_u32_e32 vcc_lo, 0x71, v79
	v_or_b32_e32 v91, 0x800000, v89
	v_cndmask_b32_e32 v90, 0, v90, vcc_lo
	v_cmp_eq_u32_e32 vcc_lo, 0, v79
	v_add_nc_u32_e32 v79, 0xffffff91, v79
	v_cndmask_b32_e64 v90, v90, 0x6f, vcc_lo
	v_cndmask_b32_e32 v89, v91, v89, vcc_lo
	v_cndmask_b32_e64 v79, v79, 0xffffff92, vcc_lo
	v_lshl_add_u32 v91, 0x200000, v90, -1
	v_lshrrev_b32_e32 v92, v90, v89
	v_lshlrev_b32_e64 v94, v90, 0x100000
	v_add_nc_u32_e32 v90, v90, v79
	v_and_b32_e32 v89, v91, v89
	v_bfe_u32 v93, v92, 21, 1
	v_cmp_eq_u32_e64 s17, v89, v94
	v_add_nc_u32_e32 v91, -1, v93
	v_cndmask_b32_e64 v89, 0, v91, s17
	v_lshrrev_b32_e32 v91, 23, v92
	s_mov_b32 s17, exec_lo
	v_add_nc_u32_e32 v89, v89, v92
	v_xor_b32_e32 v91, 1, v91
	v_and_b32_e32 v79, 0x1fffff, v89
	v_add_nc_u32_e32 v89, v79, v92
                                        ; implicit-def: $vgpr79
	v_cmpx_ne_u32_e64 v90, v91
	s_xor_b32 s17, exec_lo, s17
; %bb.1612:                             ;   in Loop: Header=BB2_1557 Depth=3
	v_cmp_lt_u32_e32 vcc_lo, 0xffffff, v89
	v_sub_nc_u32_e32 v79, v90, v91
	v_cndmask_b32_e64 v90, 0, 1, vcc_lo
	v_add_co_ci_u32_e64 v79, null, 0, v79, vcc_lo
	v_lshrrev_b32_e32 v89, v90, v89
; %bb.1613:                             ;   in Loop: Header=BB2_1557 Depth=3
	s_andn2_saveexec_b32 s17, s17
; %bb.1614:                             ;   in Loop: Header=BB2_1557 Depth=3
	v_bfe_u32 v79, v89, 23, 1
; %bb.1615:                             ;   in Loop: Header=BB2_1557 Depth=3
	s_or_b32 exec_lo, exec_lo, s17
	v_lshrrev_b32_e32 v89, 21, v89
	v_min_i32_e32 v90, 31, v79
	v_cmp_gt_i32_e32 vcc_lo, 32, v79
	v_and_b32_sdwa v88, v88, v101 dst_sel:DWORD dst_unused:UNUSED_PAD src0_sel:BYTE_3 src1_sel:DWORD
	v_lshlrev_b32_e32 v90, 2, v90
	v_cndmask_b32_e32 v89, 3, v89, vcc_lo
	v_and_b32_e32 v90, 0xfc, v90
	v_and_b32_e32 v91, 3, v89
	v_or_b32_e32 v79, v79, v89
	v_or3_b32 v88, v90, v88, v91
	v_cmp_ne_u32_e32 vcc_lo, 0, v79
	v_cndmask_b32_e32 v79, 0, v88, vcc_lo
.LBB2_1616:                             ;   in Loop: Header=BB2_1557 Depth=3
	s_or_b32 exec_lo, exec_lo, s22
.LBB2_1617:                             ;   in Loop: Header=BB2_1557 Depth=3
	s_or_b32 exec_lo, exec_lo, s18
	v_cmp_gt_i16_sdwa s18, v12, v100 src0_sel:BYTE_3 src1_sel:DWORD
	s_mov_b32 s17, 0
	s_and_saveexec_b32 s22, s18
	s_xor_b32 s18, exec_lo, s22
	s_cbranch_execz .LBB2_1892
; %bb.1618:                             ;   in Loop: Header=BB2_1557 Depth=3
	v_cmp_eq_u16_sdwa s23, v12, v101 src0_sel:BYTE_3 src1_sel:DWORD
	s_mov_b32 s17, -1
	s_and_saveexec_b32 s22, s23
; %bb.1619:                             ;   in Loop: Header=BB2_1557 Depth=3
	s_xor_b32 s17, exec_lo, -1
; %bb.1620:                             ;   in Loop: Header=BB2_1557 Depth=3
	s_or_b32 exec_lo, exec_lo, s22
	s_and_b32 s17, s17, exec_lo
	s_or_saveexec_b32 s18, s18
	v_mov_b32_e32 v88, 0x7f800001
	s_xor_b32 exec_lo, exec_lo, s18
	s_cbranch_execnz .LBB2_1893
.LBB2_1621:                             ;   in Loop: Header=BB2_1557 Depth=3
	s_or_b32 exec_lo, exec_lo, s18
	s_and_saveexec_b32 s18, s17
	s_cbranch_execz .LBB2_1623
.LBB2_1622:                             ;   in Loop: Header=BB2_1557 Depth=3
	v_bfe_u32 v88, v12, 24, 2
	v_bfe_u32 v91, v12, 26, 5
	v_ffbh_u32_e32 v89, v88
	v_cmp_eq_u32_e32 vcc_lo, 0, v91
	v_min_u32_e32 v89, 32, v89
	v_subrev_nc_u32_e32 v90, 29, v89
	v_sub_nc_u32_e32 v89, 30, v89
	v_lshlrev_b32_sdwa v90, v90, v12 dst_sel:DWORD dst_unused:UNUSED_PAD src0_sel:DWORD src1_sel:BYTE_3
	v_cndmask_b32_e32 v89, v91, v89, vcc_lo
	v_and_b32_e32 v12, 0x80000000, v12
	v_and_b32_e32 v90, 3, v90
	v_lshl_add_u32 v89, v89, 23, 0x37800000
	v_cndmask_b32_e32 v88, v88, v90, vcc_lo
	v_lshlrev_b32_e32 v88, 21, v88
	v_or3_b32 v88, v12, v89, v88
.LBB2_1623:                             ;   in Loop: Header=BB2_1557 Depth=3
	s_or_b32 exec_lo, exec_lo, s18
	v_cmp_gt_i16_sdwa s18, v8, v100 src0_sel:BYTE_3 src1_sel:DWORD
	s_mov_b32 s17, 0
	s_and_saveexec_b32 s22, s18
	s_xor_b32 s18, exec_lo, s22
	s_cbranch_execz .LBB2_1894
; %bb.1624:                             ;   in Loop: Header=BB2_1557 Depth=3
	v_cmp_eq_u16_sdwa s23, v8, v101 src0_sel:BYTE_3 src1_sel:DWORD
	s_mov_b32 s17, -1
	s_and_saveexec_b32 s22, s23
; %bb.1625:                             ;   in Loop: Header=BB2_1557 Depth=3
	s_xor_b32 s17, exec_lo, -1
; %bb.1626:                             ;   in Loop: Header=BB2_1557 Depth=3
	s_or_b32 exec_lo, exec_lo, s22
	s_and_b32 s17, s17, exec_lo
	s_or_saveexec_b32 s18, s18
	v_mov_b32_e32 v12, 0x7f800001
	s_xor_b32 exec_lo, exec_lo, s18
	s_cbranch_execnz .LBB2_1895
.LBB2_1627:                             ;   in Loop: Header=BB2_1557 Depth=3
	s_or_b32 exec_lo, exec_lo, s18
	s_and_saveexec_b32 s18, s17
	s_cbranch_execz .LBB2_1629
.LBB2_1628:                             ;   in Loop: Header=BB2_1557 Depth=3
	v_and_b32_sdwa v12, v8, v113 dst_sel:DWORD dst_unused:UNUSED_PAD src0_sel:BYTE_3 src1_sel:DWORD
	v_bfe_u32 v91, v8, 26, 5
	v_ffbh_u32_e32 v89, v12
	v_cmp_eq_u32_e32 vcc_lo, 0, v91
	v_min_u32_e32 v89, 32, v89
	v_subrev_nc_u32_e32 v90, 29, v89
	v_sub_nc_u32_e32 v89, 30, v89
	v_lshlrev_b32_sdwa v90, v90, v8 dst_sel:DWORD dst_unused:UNUSED_PAD src0_sel:DWORD src1_sel:BYTE_3
	v_cndmask_b32_e32 v89, v91, v89, vcc_lo
	v_and_b32_e32 v8, 0x80000000, v8
	v_and_b32_e32 v90, 3, v90
	v_lshl_add_u32 v89, v89, 23, 0x37800000
	v_cndmask_b32_e32 v12, v12, v90, vcc_lo
	v_lshlrev_b32_e32 v12, 21, v12
	v_or3_b32 v12, v8, v89, v12
.LBB2_1629:                             ;   in Loop: Header=BB2_1557 Depth=3
	s_or_b32 exec_lo, exec_lo, s18
	v_mul_f32_e32 v12, v88, v12
	v_and_b32_e32 v8, 0x7f800000, v12
	v_cmp_ne_u32_e32 vcc_lo, 0x7f800000, v8
	v_mov_b32_e32 v8, 0x8000
	s_and_saveexec_b32 s18, vcc_lo
	s_cbranch_execz .LBB2_1637
; %bb.1630:                             ;   in Loop: Header=BB2_1557 Depth=3
	v_mov_b32_e32 v8, 0
	s_mov_b32 s22, exec_lo
	v_cmpx_ne_u32_e32 0, v12
	s_cbranch_execz .LBB2_1636
; %bb.1631:                             ;   in Loop: Header=BB2_1557 Depth=3
	v_bfe_u32 v8, v12, 23, 8
	v_and_b32_e32 v88, 0x7fffff, v12
	v_sub_nc_u32_e32 v89, 0x70, v8
	v_cmp_gt_u32_e32 vcc_lo, 0x71, v8
	v_or_b32_e32 v90, 0x800000, v88
	v_cndmask_b32_e32 v89, 0, v89, vcc_lo
	v_cmp_eq_u32_e32 vcc_lo, 0, v8
	v_add_nc_u32_e32 v8, 0xffffff91, v8
	v_cndmask_b32_e64 v89, v89, 0x6f, vcc_lo
	v_cndmask_b32_e32 v88, v90, v88, vcc_lo
	v_cndmask_b32_e64 v8, v8, 0xffffff92, vcc_lo
	v_lshl_add_u32 v90, 0x200000, v89, -1
	v_lshrrev_b32_e32 v91, v89, v88
	v_lshlrev_b32_e64 v93, v89, 0x100000
	v_add_nc_u32_e32 v89, v89, v8
	v_and_b32_e32 v88, v90, v88
	v_bfe_u32 v92, v91, 21, 1
	v_cmp_eq_u32_e64 s17, v88, v93
	v_add_nc_u32_e32 v90, -1, v92
	v_cndmask_b32_e64 v88, 0, v90, s17
	v_lshrrev_b32_e32 v90, 23, v91
	s_mov_b32 s17, exec_lo
	v_add_nc_u32_e32 v88, v88, v91
	v_xor_b32_e32 v90, 1, v90
	v_and_b32_e32 v8, 0x1fffff, v88
	v_add_nc_u32_e32 v88, v8, v91
                                        ; implicit-def: $vgpr8
	v_cmpx_ne_u32_e64 v89, v90
	s_xor_b32 s17, exec_lo, s17
; %bb.1632:                             ;   in Loop: Header=BB2_1557 Depth=3
	v_cmp_lt_u32_e32 vcc_lo, 0xffffff, v88
	v_sub_nc_u32_e32 v8, v89, v90
	v_cndmask_b32_e64 v89, 0, 1, vcc_lo
	v_add_co_ci_u32_e64 v8, null, 0, v8, vcc_lo
	v_lshrrev_b32_e32 v88, v89, v88
; %bb.1633:                             ;   in Loop: Header=BB2_1557 Depth=3
	s_andn2_saveexec_b32 s17, s17
; %bb.1634:                             ;   in Loop: Header=BB2_1557 Depth=3
	v_bfe_u32 v8, v88, 23, 1
; %bb.1635:                             ;   in Loop: Header=BB2_1557 Depth=3
	s_or_b32 exec_lo, exec_lo, s17
	v_lshrrev_b32_e32 v88, 21, v88
	v_min_i32_e32 v89, 31, v8
	v_cmp_gt_i32_e32 vcc_lo, 32, v8
	v_and_b32_sdwa v12, v12, v101 dst_sel:DWORD dst_unused:UNUSED_PAD src0_sel:BYTE_3 src1_sel:DWORD
	v_lshlrev_b32_e32 v89, 2, v89
	v_cndmask_b32_e32 v88, 3, v88, vcc_lo
	v_and_b32_e32 v89, 0xfc, v89
	v_and_b32_e32 v90, 3, v88
	v_or_b32_e32 v8, v8, v88
	v_or3_b32 v12, v12, v89, v90
	v_cmp_ne_u32_e32 vcc_lo, 0, v8
	v_lshlrev_b32_e32 v12, 8, v12
	v_cndmask_b32_e32 v8, 0, v12, vcc_lo
.LBB2_1636:                             ;   in Loop: Header=BB2_1557 Depth=3
	s_or_b32 exec_lo, exec_lo, s22
.LBB2_1637:                             ;   in Loop: Header=BB2_1557 Depth=3
	s_or_b32 exec_lo, exec_lo, s18
	v_cmp_gt_i16_sdwa s18, v13, v100 src0_sel:BYTE_0 src1_sel:DWORD
	s_mov_b32 s17, 0
	s_and_saveexec_b32 s22, s18
	s_xor_b32 s18, exec_lo, s22
	s_cbranch_execz .LBB2_1896
; %bb.1638:                             ;   in Loop: Header=BB2_1557 Depth=3
	v_cmp_eq_u16_sdwa s23, v13, v101 src0_sel:BYTE_0 src1_sel:DWORD
	s_mov_b32 s17, -1
	s_and_saveexec_b32 s22, s23
; %bb.1639:                             ;   in Loop: Header=BB2_1557 Depth=3
	s_xor_b32 s17, exec_lo, -1
; %bb.1640:                             ;   in Loop: Header=BB2_1557 Depth=3
	s_or_b32 exec_lo, exec_lo, s22
	s_and_b32 s17, s17, exec_lo
	s_or_saveexec_b32 s18, s18
	v_mov_b32_e32 v12, 0x7f800001
	s_xor_b32 exec_lo, exec_lo, s18
	s_cbranch_execnz .LBB2_1897
.LBB2_1641:                             ;   in Loop: Header=BB2_1557 Depth=3
	s_or_b32 exec_lo, exec_lo, s18
	s_and_saveexec_b32 s18, s17
	s_cbranch_execz .LBB2_1643
.LBB2_1642:                             ;   in Loop: Header=BB2_1557 Depth=3
	v_and_b32_e32 v12, 3, v13
	v_bfe_u32 v90, v13, 2, 5
	v_lshlrev_b32_e32 v91, 24, v13
	v_ffbh_u32_e32 v88, v12
	v_cmp_eq_u32_e32 vcc_lo, 0, v90
	v_min_u32_e32 v88, 32, v88
	v_subrev_nc_u32_e32 v89, 29, v88
	v_sub_nc_u32_e32 v88, 30, v88
	v_lshlrev_b32_e32 v89, v89, v13
	v_cndmask_b32_e32 v88, v90, v88, vcc_lo
	v_and_b32_e32 v89, 3, v89
	v_lshl_add_u32 v88, v88, 23, 0x37800000
	v_cndmask_b32_e32 v12, v12, v89, vcc_lo
	v_and_b32_e32 v89, 0x80000000, v91
	v_lshlrev_b32_e32 v12, 21, v12
	v_or3_b32 v12, v89, v88, v12
.LBB2_1643:                             ;   in Loop: Header=BB2_1557 Depth=3
	s_or_b32 exec_lo, exec_lo, s18
	v_cmp_gt_i16_sdwa s18, v9, v100 src0_sel:BYTE_0 src1_sel:DWORD
	s_mov_b32 s17, 0
	s_and_saveexec_b32 s22, s18
	s_xor_b32 s18, exec_lo, s22
	s_cbranch_execz .LBB2_1898
; %bb.1644:                             ;   in Loop: Header=BB2_1557 Depth=3
	v_cmp_eq_u16_sdwa s23, v9, v101 src0_sel:BYTE_0 src1_sel:DWORD
	s_mov_b32 s17, -1
	s_and_saveexec_b32 s22, s23
; %bb.1645:                             ;   in Loop: Header=BB2_1557 Depth=3
	s_xor_b32 s17, exec_lo, -1
; %bb.1646:                             ;   in Loop: Header=BB2_1557 Depth=3
	s_or_b32 exec_lo, exec_lo, s22
	s_and_b32 s17, s17, exec_lo
	s_or_saveexec_b32 s18, s18
	v_mov_b32_e32 v88, 0x7f800001
	s_xor_b32 exec_lo, exec_lo, s18
	s_cbranch_execnz .LBB2_1899
.LBB2_1647:                             ;   in Loop: Header=BB2_1557 Depth=3
	s_or_b32 exec_lo, exec_lo, s18
	s_and_saveexec_b32 s18, s17
	s_cbranch_execz .LBB2_1649
.LBB2_1648:                             ;   in Loop: Header=BB2_1557 Depth=3
	v_and_b32_e32 v88, 3, v9
	v_bfe_u32 v91, v9, 2, 5
	v_lshlrev_b32_e32 v92, 24, v9
	v_ffbh_u32_e32 v89, v88
	v_cmp_eq_u32_e32 vcc_lo, 0, v91
	v_min_u32_e32 v89, 32, v89
	v_subrev_nc_u32_e32 v90, 29, v89
	v_sub_nc_u32_e32 v89, 30, v89
	v_lshlrev_b32_e32 v90, v90, v9
	v_cndmask_b32_e32 v89, v91, v89, vcc_lo
	v_and_b32_e32 v90, 3, v90
	v_lshl_add_u32 v89, v89, 23, 0x37800000
	v_cndmask_b32_e32 v88, v88, v90, vcc_lo
	v_and_b32_e32 v90, 0x80000000, v92
	v_lshlrev_b32_e32 v88, 21, v88
	v_or3_b32 v88, v90, v89, v88
.LBB2_1649:                             ;   in Loop: Header=BB2_1557 Depth=3
	s_or_b32 exec_lo, exec_lo, s18
	v_mul_f32_e32 v88, v12, v88
	v_and_b32_e32 v12, 0x7f800000, v88
	v_cmp_ne_u32_e32 vcc_lo, 0x7f800000, v12
	v_mov_b32_e32 v12, 0x80
	s_and_saveexec_b32 s18, vcc_lo
	s_cbranch_execz .LBB2_1657
; %bb.1650:                             ;   in Loop: Header=BB2_1557 Depth=3
	v_mov_b32_e32 v12, 0
	s_mov_b32 s22, exec_lo
	v_cmpx_ne_u32_e32 0, v88
	s_cbranch_execz .LBB2_1656
; %bb.1651:                             ;   in Loop: Header=BB2_1557 Depth=3
	v_bfe_u32 v12, v88, 23, 8
	v_and_b32_e32 v89, 0x7fffff, v88
	v_sub_nc_u32_e32 v90, 0x70, v12
	v_cmp_gt_u32_e32 vcc_lo, 0x71, v12
	v_or_b32_e32 v91, 0x800000, v89
	v_cndmask_b32_e32 v90, 0, v90, vcc_lo
	v_cmp_eq_u32_e32 vcc_lo, 0, v12
	v_add_nc_u32_e32 v12, 0xffffff91, v12
	v_cndmask_b32_e64 v90, v90, 0x6f, vcc_lo
	v_cndmask_b32_e32 v89, v91, v89, vcc_lo
	v_cndmask_b32_e64 v12, v12, 0xffffff92, vcc_lo
	v_lshl_add_u32 v91, 0x200000, v90, -1
	v_lshrrev_b32_e32 v92, v90, v89
	v_lshlrev_b32_e64 v94, v90, 0x100000
	v_add_nc_u32_e32 v90, v90, v12
	v_and_b32_e32 v89, v91, v89
	v_bfe_u32 v93, v92, 21, 1
	v_cmp_eq_u32_e64 s17, v89, v94
	v_add_nc_u32_e32 v91, -1, v93
	v_cndmask_b32_e64 v89, 0, v91, s17
	v_lshrrev_b32_e32 v91, 23, v92
	s_mov_b32 s17, exec_lo
	v_add_nc_u32_e32 v89, v89, v92
	v_xor_b32_e32 v91, 1, v91
	v_and_b32_e32 v12, 0x1fffff, v89
	v_add_nc_u32_e32 v89, v12, v92
                                        ; implicit-def: $vgpr12
	v_cmpx_ne_u32_e64 v90, v91
	s_xor_b32 s17, exec_lo, s17
; %bb.1652:                             ;   in Loop: Header=BB2_1557 Depth=3
	v_cmp_lt_u32_e32 vcc_lo, 0xffffff, v89
	v_sub_nc_u32_e32 v12, v90, v91
	v_cndmask_b32_e64 v90, 0, 1, vcc_lo
	v_add_co_ci_u32_e64 v12, null, 0, v12, vcc_lo
	v_lshrrev_b32_e32 v89, v90, v89
; %bb.1653:                             ;   in Loop: Header=BB2_1557 Depth=3
	s_andn2_saveexec_b32 s17, s17
; %bb.1654:                             ;   in Loop: Header=BB2_1557 Depth=3
	v_bfe_u32 v12, v89, 23, 1
; %bb.1655:                             ;   in Loop: Header=BB2_1557 Depth=3
	s_or_b32 exec_lo, exec_lo, s17
	v_lshrrev_b32_e32 v89, 21, v89
	v_min_i32_e32 v90, 31, v12
	v_cmp_gt_i32_e32 vcc_lo, 32, v12
	v_and_b32_sdwa v88, v88, v101 dst_sel:DWORD dst_unused:UNUSED_PAD src0_sel:BYTE_3 src1_sel:DWORD
	v_lshlrev_b32_e32 v90, 2, v90
	v_cndmask_b32_e32 v89, 3, v89, vcc_lo
	v_and_b32_e32 v90, 0xfc, v90
	v_and_b32_e32 v91, 3, v89
	v_or_b32_e32 v12, v12, v89
	v_or3_b32 v88, v90, v88, v91
	v_cmp_ne_u32_e32 vcc_lo, 0, v12
	v_cndmask_b32_e32 v12, 0, v88, vcc_lo
.LBB2_1656:                             ;   in Loop: Header=BB2_1557 Depth=3
	s_or_b32 exec_lo, exec_lo, s22
.LBB2_1657:                             ;   in Loop: Header=BB2_1557 Depth=3
	s_or_b32 exec_lo, exec_lo, s18
	v_cmp_gt_i16_sdwa s18, v13, v100 src0_sel:BYTE_1 src1_sel:DWORD
	s_mov_b32 s17, 0
	s_and_saveexec_b32 s22, s18
	s_xor_b32 s18, exec_lo, s22
	s_cbranch_execz .LBB2_1900
; %bb.1658:                             ;   in Loop: Header=BB2_1557 Depth=3
	v_cmp_eq_u16_sdwa s23, v13, v101 src0_sel:BYTE_1 src1_sel:DWORD
	s_mov_b32 s17, -1
	s_and_saveexec_b32 s22, s23
; %bb.1659:                             ;   in Loop: Header=BB2_1557 Depth=3
	s_xor_b32 s17, exec_lo, -1
; %bb.1660:                             ;   in Loop: Header=BB2_1557 Depth=3
	s_or_b32 exec_lo, exec_lo, s22
	s_and_b32 s17, s17, exec_lo
	s_or_saveexec_b32 s18, s18
	v_mov_b32_e32 v88, 0x7f800001
	s_xor_b32 exec_lo, exec_lo, s18
	s_cbranch_execnz .LBB2_1901
.LBB2_1661:                             ;   in Loop: Header=BB2_1557 Depth=3
	s_or_b32 exec_lo, exec_lo, s18
	s_and_saveexec_b32 s18, s17
	s_cbranch_execz .LBB2_1663
.LBB2_1662:                             ;   in Loop: Header=BB2_1557 Depth=3
	v_and_b32_sdwa v88, v102, v13 dst_sel:DWORD dst_unused:UNUSED_PAD src0_sel:DWORD src1_sel:BYTE_1
	v_and_b32_e32 v89, 3, v88
	v_bfe_u32 v92, v88, 2, 5
	v_ffbh_u32_e32 v90, v89
	v_cmp_eq_u32_e32 vcc_lo, 0, v92
	v_min_u32_e32 v90, 32, v90
	v_subrev_nc_u32_e32 v91, 29, v90
	v_sub_nc_u32_e32 v90, 30, v90
	v_lshlrev_b32_e32 v88, v91, v88
	v_lshlrev_b32_sdwa v91, v103, v13 dst_sel:DWORD dst_unused:UNUSED_PAD src0_sel:DWORD src1_sel:BYTE_1
	v_cndmask_b32_e32 v90, v92, v90, vcc_lo
	v_and_b32_e32 v88, 3, v88
	v_lshl_add_u32 v90, v90, 23, 0x37800000
	v_cndmask_b32_e32 v88, v89, v88, vcc_lo
	v_and_b32_e32 v89, 0x80000000, v91
	v_lshlrev_b32_e32 v88, 21, v88
	v_or3_b32 v88, v89, v90, v88
.LBB2_1663:                             ;   in Loop: Header=BB2_1557 Depth=3
	s_or_b32 exec_lo, exec_lo, s18
	v_cmp_gt_i16_sdwa s18, v9, v100 src0_sel:BYTE_1 src1_sel:DWORD
	s_mov_b32 s17, 0
	s_and_saveexec_b32 s22, s18
	s_xor_b32 s18, exec_lo, s22
	s_cbranch_execz .LBB2_1902
; %bb.1664:                             ;   in Loop: Header=BB2_1557 Depth=3
	v_cmp_eq_u16_sdwa s23, v9, v101 src0_sel:BYTE_1 src1_sel:DWORD
	s_mov_b32 s17, -1
	s_and_saveexec_b32 s22, s23
; %bb.1665:                             ;   in Loop: Header=BB2_1557 Depth=3
	s_xor_b32 s17, exec_lo, -1
; %bb.1666:                             ;   in Loop: Header=BB2_1557 Depth=3
	s_or_b32 exec_lo, exec_lo, s22
	s_and_b32 s17, s17, exec_lo
	s_or_saveexec_b32 s18, s18
	v_mov_b32_e32 v89, 0x7f800001
	s_xor_b32 exec_lo, exec_lo, s18
	s_cbranch_execnz .LBB2_1903
.LBB2_1667:                             ;   in Loop: Header=BB2_1557 Depth=3
	s_or_b32 exec_lo, exec_lo, s18
	s_and_saveexec_b32 s18, s17
	s_cbranch_execz .LBB2_1669
.LBB2_1668:                             ;   in Loop: Header=BB2_1557 Depth=3
	v_and_b32_sdwa v89, v102, v9 dst_sel:DWORD dst_unused:UNUSED_PAD src0_sel:DWORD src1_sel:BYTE_1
	v_and_b32_e32 v90, 3, v89
	v_bfe_u32 v93, v89, 2, 5
	v_ffbh_u32_e32 v91, v90
	v_cmp_eq_u32_e32 vcc_lo, 0, v93
	v_min_u32_e32 v91, 32, v91
	v_subrev_nc_u32_e32 v92, 29, v91
	v_sub_nc_u32_e32 v91, 30, v91
	v_lshlrev_b32_e32 v89, v92, v89
	v_lshlrev_b32_sdwa v92, v103, v9 dst_sel:DWORD dst_unused:UNUSED_PAD src0_sel:DWORD src1_sel:BYTE_1
	v_cndmask_b32_e32 v91, v93, v91, vcc_lo
	v_and_b32_e32 v89, 3, v89
	v_lshl_add_u32 v91, v91, 23, 0x37800000
	v_cndmask_b32_e32 v89, v90, v89, vcc_lo
	v_and_b32_e32 v90, 0x80000000, v92
	v_lshlrev_b32_e32 v89, 21, v89
	v_or3_b32 v89, v90, v91, v89
.LBB2_1669:                             ;   in Loop: Header=BB2_1557 Depth=3
	s_or_b32 exec_lo, exec_lo, s18
	v_mul_f32_e32 v89, v88, v89
	v_and_b32_e32 v88, 0x7f800000, v89
	v_cmp_ne_u32_e32 vcc_lo, 0x7f800000, v88
	v_mov_b32_e32 v88, 0x8000
	s_and_saveexec_b32 s18, vcc_lo
	s_cbranch_execz .LBB2_1677
; %bb.1670:                             ;   in Loop: Header=BB2_1557 Depth=3
	v_mov_b32_e32 v88, 0
	s_mov_b32 s22, exec_lo
	v_cmpx_ne_u32_e32 0, v89
	s_cbranch_execz .LBB2_1676
; %bb.1671:                             ;   in Loop: Header=BB2_1557 Depth=3
	v_bfe_u32 v88, v89, 23, 8
	v_and_b32_e32 v90, 0x7fffff, v89
	v_sub_nc_u32_e32 v91, 0x70, v88
	v_cmp_gt_u32_e32 vcc_lo, 0x71, v88
	v_or_b32_e32 v92, 0x800000, v90
	v_cndmask_b32_e32 v91, 0, v91, vcc_lo
	v_cmp_eq_u32_e32 vcc_lo, 0, v88
	v_add_nc_u32_e32 v88, 0xffffff91, v88
	v_cndmask_b32_e64 v91, v91, 0x6f, vcc_lo
	v_cndmask_b32_e32 v90, v92, v90, vcc_lo
	v_cndmask_b32_e64 v88, v88, 0xffffff92, vcc_lo
	v_lshl_add_u32 v92, 0x200000, v91, -1
	v_lshrrev_b32_e32 v93, v91, v90
	v_lshlrev_b32_e64 v95, v91, 0x100000
	v_add_nc_u32_e32 v91, v91, v88
	v_and_b32_e32 v90, v92, v90
	v_bfe_u32 v94, v93, 21, 1
	v_cmp_eq_u32_e64 s17, v90, v95
	v_add_nc_u32_e32 v92, -1, v94
	v_cndmask_b32_e64 v90, 0, v92, s17
	v_lshrrev_b32_e32 v92, 23, v93
	s_mov_b32 s17, exec_lo
	v_add_nc_u32_e32 v90, v90, v93
	v_xor_b32_e32 v92, 1, v92
	v_and_b32_e32 v88, 0x1fffff, v90
	v_add_nc_u32_e32 v90, v88, v93
                                        ; implicit-def: $vgpr88
	v_cmpx_ne_u32_e64 v91, v92
	s_xor_b32 s17, exec_lo, s17
; %bb.1672:                             ;   in Loop: Header=BB2_1557 Depth=3
	v_cmp_lt_u32_e32 vcc_lo, 0xffffff, v90
	v_sub_nc_u32_e32 v88, v91, v92
	v_cndmask_b32_e64 v91, 0, 1, vcc_lo
	v_add_co_ci_u32_e64 v88, null, 0, v88, vcc_lo
	v_lshrrev_b32_e32 v90, v91, v90
; %bb.1673:                             ;   in Loop: Header=BB2_1557 Depth=3
	s_andn2_saveexec_b32 s17, s17
; %bb.1674:                             ;   in Loop: Header=BB2_1557 Depth=3
	v_bfe_u32 v88, v90, 23, 1
; %bb.1675:                             ;   in Loop: Header=BB2_1557 Depth=3
	s_or_b32 exec_lo, exec_lo, s17
	v_lshrrev_b32_e32 v90, 21, v90
	v_min_i32_e32 v91, 31, v88
	v_cmp_gt_i32_e32 vcc_lo, 32, v88
	v_and_b32_sdwa v89, v89, v101 dst_sel:DWORD dst_unused:UNUSED_PAD src0_sel:BYTE_3 src1_sel:DWORD
	v_lshlrev_b32_e32 v91, 2, v91
	v_cndmask_b32_e32 v90, 3, v90, vcc_lo
	v_and_b32_e32 v91, 0xfc, v91
	v_and_b32_e32 v92, 3, v90
	v_or_b32_e32 v88, v88, v90
	v_or3_b32 v89, v89, v91, v92
	v_cmp_ne_u32_e32 vcc_lo, 0, v88
	v_lshlrev_b32_e32 v89, 8, v89
	v_cndmask_b32_e32 v88, 0, v89, vcc_lo
.LBB2_1676:                             ;   in Loop: Header=BB2_1557 Depth=3
	s_or_b32 exec_lo, exec_lo, s22
.LBB2_1677:                             ;   in Loop: Header=BB2_1557 Depth=3
	s_or_b32 exec_lo, exec_lo, s18
	v_and_b32_sdwa v90, v13, v112 dst_sel:DWORD dst_unused:UNUSED_PAD src0_sel:WORD_1 src1_sel:DWORD
	s_mov_b32 s17, 0
	s_mov_b32 s18, exec_lo
	v_cmpx_lt_i16_e32 0x7f, v90
	s_xor_b32 s18, exec_lo, s18
	s_cbranch_execz .LBB2_1904
; %bb.1678:                             ;   in Loop: Header=BB2_1557 Depth=3
	s_mov_b32 s17, -1
	s_mov_b32 s22, exec_lo
	v_cmpx_eq_u16_e32 0x80, v90
; %bb.1679:                             ;   in Loop: Header=BB2_1557 Depth=3
	s_xor_b32 s17, exec_lo, -1
; %bb.1680:                             ;   in Loop: Header=BB2_1557 Depth=3
	s_or_b32 exec_lo, exec_lo, s22
	s_and_b32 s17, s17, exec_lo
                                        ; implicit-def: $vgpr90
	s_or_saveexec_b32 s18, s18
	v_mov_b32_e32 v89, 0x7f800001
	s_xor_b32 exec_lo, exec_lo, s18
	s_cbranch_execnz .LBB2_1905
.LBB2_1681:                             ;   in Loop: Header=BB2_1557 Depth=3
	s_or_b32 exec_lo, exec_lo, s18
	s_and_saveexec_b32 s18, s17
	s_cbranch_execz .LBB2_1683
.LBB2_1682:                             ;   in Loop: Header=BB2_1557 Depth=3
	v_bfe_u32 v89, v13, 16, 2
	v_bfe_u32 v92, v13, 18, 5
	v_lshlrev_b32_e32 v93, 8, v13
	v_ffbh_u32_e32 v90, v89
	v_cmp_eq_u32_e32 vcc_lo, 0, v92
	v_min_u32_e32 v90, 32, v90
	v_subrev_nc_u32_e32 v91, 29, v90
	v_sub_nc_u32_e32 v90, 30, v90
	v_lshlrev_b32_sdwa v91, v91, v13 dst_sel:DWORD dst_unused:UNUSED_PAD src0_sel:DWORD src1_sel:WORD_1
	v_cndmask_b32_e32 v90, v92, v90, vcc_lo
	v_and_b32_e32 v91, 3, v91
	v_lshl_add_u32 v90, v90, 23, 0x37800000
	v_cndmask_b32_e32 v89, v89, v91, vcc_lo
	v_and_b32_e32 v91, 0x80000000, v93
	v_lshlrev_b32_e32 v89, 21, v89
	v_or3_b32 v89, v91, v90, v89
.LBB2_1683:                             ;   in Loop: Header=BB2_1557 Depth=3
	s_or_b32 exec_lo, exec_lo, s18
	v_and_b32_sdwa v91, v9, v112 dst_sel:DWORD dst_unused:UNUSED_PAD src0_sel:WORD_1 src1_sel:DWORD
	s_mov_b32 s17, 0
	s_mov_b32 s18, exec_lo
	v_cmpx_lt_i16_e32 0x7f, v91
	s_xor_b32 s18, exec_lo, s18
	s_cbranch_execz .LBB2_1906
; %bb.1684:                             ;   in Loop: Header=BB2_1557 Depth=3
	s_mov_b32 s17, -1
	s_mov_b32 s22, exec_lo
	v_cmpx_eq_u16_e32 0x80, v91
; %bb.1685:                             ;   in Loop: Header=BB2_1557 Depth=3
	s_xor_b32 s17, exec_lo, -1
; %bb.1686:                             ;   in Loop: Header=BB2_1557 Depth=3
	s_or_b32 exec_lo, exec_lo, s22
	s_and_b32 s17, s17, exec_lo
                                        ; implicit-def: $vgpr91
	s_or_saveexec_b32 s18, s18
	v_mov_b32_e32 v90, 0x7f800001
	s_xor_b32 exec_lo, exec_lo, s18
	s_cbranch_execnz .LBB2_1907
.LBB2_1687:                             ;   in Loop: Header=BB2_1557 Depth=3
	s_or_b32 exec_lo, exec_lo, s18
	s_and_saveexec_b32 s18, s17
	s_cbranch_execz .LBB2_1689
.LBB2_1688:                             ;   in Loop: Header=BB2_1557 Depth=3
	v_and_b32_sdwa v90, v9, v113 dst_sel:DWORD dst_unused:UNUSED_PAD src0_sel:WORD_1 src1_sel:DWORD
	v_bfe_u32 v93, v9, 18, 5
	v_lshlrev_b32_sdwa v94, v103, v9 dst_sel:DWORD dst_unused:UNUSED_PAD src0_sel:DWORD src1_sel:WORD_1
	v_ffbh_u32_e32 v91, v90
	v_cmp_eq_u32_e32 vcc_lo, 0, v93
	v_min_u32_e32 v91, 32, v91
	v_subrev_nc_u32_e32 v92, 29, v91
	v_sub_nc_u32_e32 v91, 30, v91
	v_lshlrev_b32_sdwa v92, v92, v9 dst_sel:DWORD dst_unused:UNUSED_PAD src0_sel:DWORD src1_sel:WORD_1
	v_cndmask_b32_e32 v91, v93, v91, vcc_lo
	v_and_b32_e32 v92, 3, v92
	v_lshl_add_u32 v91, v91, 23, 0x37800000
	v_cndmask_b32_e32 v90, v90, v92, vcc_lo
	v_and_b32_e32 v92, 0x80000000, v94
	v_lshlrev_b32_e32 v90, 21, v90
	v_or3_b32 v90, v92, v91, v90
.LBB2_1689:                             ;   in Loop: Header=BB2_1557 Depth=3
	s_or_b32 exec_lo, exec_lo, s18
	v_mul_f32_e32 v90, v89, v90
	v_and_b32_e32 v89, 0x7f800000, v90
	v_cmp_ne_u32_e32 vcc_lo, 0x7f800000, v89
	v_mov_b32_e32 v89, 0x80
	s_and_saveexec_b32 s18, vcc_lo
	s_cbranch_execz .LBB2_1697
; %bb.1690:                             ;   in Loop: Header=BB2_1557 Depth=3
	v_mov_b32_e32 v89, 0
	s_mov_b32 s22, exec_lo
	v_cmpx_ne_u32_e32 0, v90
	s_cbranch_execz .LBB2_1696
; %bb.1691:                             ;   in Loop: Header=BB2_1557 Depth=3
	v_bfe_u32 v89, v90, 23, 8
	v_and_b32_e32 v91, 0x7fffff, v90
	v_sub_nc_u32_e32 v92, 0x70, v89
	v_cmp_gt_u32_e32 vcc_lo, 0x71, v89
	v_or_b32_e32 v93, 0x800000, v91
	v_cndmask_b32_e32 v92, 0, v92, vcc_lo
	v_cmp_eq_u32_e32 vcc_lo, 0, v89
	v_add_nc_u32_e32 v89, 0xffffff91, v89
	v_cndmask_b32_e64 v92, v92, 0x6f, vcc_lo
	v_cndmask_b32_e32 v91, v93, v91, vcc_lo
	v_cndmask_b32_e64 v89, v89, 0xffffff92, vcc_lo
	v_lshl_add_u32 v93, 0x200000, v92, -1
	v_lshrrev_b32_e32 v94, v92, v91
	v_lshlrev_b32_e64 v104, v92, 0x100000
	v_add_nc_u32_e32 v92, v92, v89
	v_and_b32_e32 v91, v93, v91
	v_bfe_u32 v95, v94, 21, 1
	v_cmp_eq_u32_e64 s17, v91, v104
	v_add_nc_u32_e32 v93, -1, v95
	v_cndmask_b32_e64 v91, 0, v93, s17
	v_lshrrev_b32_e32 v93, 23, v94
	s_mov_b32 s17, exec_lo
	v_add_nc_u32_e32 v91, v91, v94
	v_xor_b32_e32 v93, 1, v93
	v_and_b32_e32 v89, 0x1fffff, v91
	v_add_nc_u32_e32 v91, v89, v94
                                        ; implicit-def: $vgpr89
	v_cmpx_ne_u32_e64 v92, v93
	s_xor_b32 s17, exec_lo, s17
; %bb.1692:                             ;   in Loop: Header=BB2_1557 Depth=3
	v_cmp_lt_u32_e32 vcc_lo, 0xffffff, v91
	v_sub_nc_u32_e32 v89, v92, v93
	v_cndmask_b32_e64 v92, 0, 1, vcc_lo
	v_add_co_ci_u32_e64 v89, null, 0, v89, vcc_lo
	v_lshrrev_b32_e32 v91, v92, v91
; %bb.1693:                             ;   in Loop: Header=BB2_1557 Depth=3
	s_andn2_saveexec_b32 s17, s17
; %bb.1694:                             ;   in Loop: Header=BB2_1557 Depth=3
	v_bfe_u32 v89, v91, 23, 1
; %bb.1695:                             ;   in Loop: Header=BB2_1557 Depth=3
	s_or_b32 exec_lo, exec_lo, s17
	v_lshrrev_b32_e32 v91, 21, v91
	v_min_i32_e32 v92, 31, v89
	v_cmp_gt_i32_e32 vcc_lo, 32, v89
	v_and_b32_sdwa v90, v90, v101 dst_sel:DWORD dst_unused:UNUSED_PAD src0_sel:BYTE_3 src1_sel:DWORD
	v_lshlrev_b32_e32 v92, 2, v92
	v_cndmask_b32_e32 v91, 3, v91, vcc_lo
	v_and_b32_e32 v92, 0xfc, v92
	v_and_b32_e32 v93, 3, v91
	v_or_b32_e32 v89, v89, v91
	v_or3_b32 v90, v92, v90, v93
	v_cmp_ne_u32_e32 vcc_lo, 0, v89
	v_cndmask_b32_e32 v89, 0, v90, vcc_lo
.LBB2_1696:                             ;   in Loop: Header=BB2_1557 Depth=3
	s_or_b32 exec_lo, exec_lo, s22
.LBB2_1697:                             ;   in Loop: Header=BB2_1557 Depth=3
	s_or_b32 exec_lo, exec_lo, s18
	v_cmp_gt_i16_sdwa s18, v13, v100 src0_sel:BYTE_3 src1_sel:DWORD
	s_mov_b32 s17, 0
	s_and_saveexec_b32 s22, s18
	s_xor_b32 s18, exec_lo, s22
	s_cbranch_execz .LBB2_1908
; %bb.1698:                             ;   in Loop: Header=BB2_1557 Depth=3
	v_cmp_eq_u16_sdwa s23, v13, v101 src0_sel:BYTE_3 src1_sel:DWORD
	s_mov_b32 s17, -1
	s_and_saveexec_b32 s22, s23
; %bb.1699:                             ;   in Loop: Header=BB2_1557 Depth=3
	s_xor_b32 s17, exec_lo, -1
; %bb.1700:                             ;   in Loop: Header=BB2_1557 Depth=3
	s_or_b32 exec_lo, exec_lo, s22
	s_and_b32 s17, s17, exec_lo
	s_or_saveexec_b32 s18, s18
	v_mov_b32_e32 v90, 0x7f800001
	s_xor_b32 exec_lo, exec_lo, s18
	s_cbranch_execnz .LBB2_1909
.LBB2_1701:                             ;   in Loop: Header=BB2_1557 Depth=3
	s_or_b32 exec_lo, exec_lo, s18
	s_and_saveexec_b32 s18, s17
	s_cbranch_execz .LBB2_1703
.LBB2_1702:                             ;   in Loop: Header=BB2_1557 Depth=3
	v_bfe_u32 v90, v13, 24, 2
	v_bfe_u32 v93, v13, 26, 5
	v_ffbh_u32_e32 v91, v90
	v_cmp_eq_u32_e32 vcc_lo, 0, v93
	v_min_u32_e32 v91, 32, v91
	v_subrev_nc_u32_e32 v92, 29, v91
	v_sub_nc_u32_e32 v91, 30, v91
	v_lshlrev_b32_sdwa v92, v92, v13 dst_sel:DWORD dst_unused:UNUSED_PAD src0_sel:DWORD src1_sel:BYTE_3
	v_cndmask_b32_e32 v91, v93, v91, vcc_lo
	v_and_b32_e32 v13, 0x80000000, v13
	v_and_b32_e32 v92, 3, v92
	v_lshl_add_u32 v91, v91, 23, 0x37800000
	v_cndmask_b32_e32 v90, v90, v92, vcc_lo
	v_lshlrev_b32_e32 v90, 21, v90
	v_or3_b32 v90, v13, v91, v90
.LBB2_1703:                             ;   in Loop: Header=BB2_1557 Depth=3
	s_or_b32 exec_lo, exec_lo, s18
	v_cmp_gt_i16_sdwa s18, v9, v100 src0_sel:BYTE_3 src1_sel:DWORD
	s_mov_b32 s17, 0
	s_and_saveexec_b32 s22, s18
	s_xor_b32 s18, exec_lo, s22
	s_cbranch_execz .LBB2_1910
; %bb.1704:                             ;   in Loop: Header=BB2_1557 Depth=3
	v_cmp_eq_u16_sdwa s23, v9, v101 src0_sel:BYTE_3 src1_sel:DWORD
	s_mov_b32 s17, -1
	s_and_saveexec_b32 s22, s23
; %bb.1705:                             ;   in Loop: Header=BB2_1557 Depth=3
	s_xor_b32 s17, exec_lo, -1
; %bb.1706:                             ;   in Loop: Header=BB2_1557 Depth=3
	s_or_b32 exec_lo, exec_lo, s22
	s_and_b32 s17, s17, exec_lo
	s_or_saveexec_b32 s18, s18
	v_mov_b32_e32 v13, 0x7f800001
	s_xor_b32 exec_lo, exec_lo, s18
	s_cbranch_execnz .LBB2_1911
.LBB2_1707:                             ;   in Loop: Header=BB2_1557 Depth=3
	s_or_b32 exec_lo, exec_lo, s18
	s_and_saveexec_b32 s18, s17
	s_cbranch_execz .LBB2_1709
.LBB2_1708:                             ;   in Loop: Header=BB2_1557 Depth=3
	v_and_b32_sdwa v13, v9, v113 dst_sel:DWORD dst_unused:UNUSED_PAD src0_sel:BYTE_3 src1_sel:DWORD
	v_bfe_u32 v93, v9, 26, 5
	v_ffbh_u32_e32 v91, v13
	v_cmp_eq_u32_e32 vcc_lo, 0, v93
	v_min_u32_e32 v91, 32, v91
	v_subrev_nc_u32_e32 v92, 29, v91
	v_sub_nc_u32_e32 v91, 30, v91
	v_lshlrev_b32_sdwa v92, v92, v9 dst_sel:DWORD dst_unused:UNUSED_PAD src0_sel:DWORD src1_sel:BYTE_3
	v_cndmask_b32_e32 v91, v93, v91, vcc_lo
	v_and_b32_e32 v9, 0x80000000, v9
	v_and_b32_e32 v92, 3, v92
	v_lshl_add_u32 v91, v91, 23, 0x37800000
	v_cndmask_b32_e32 v13, v13, v92, vcc_lo
	v_lshlrev_b32_e32 v13, 21, v13
	v_or3_b32 v13, v9, v91, v13
.LBB2_1709:                             ;   in Loop: Header=BB2_1557 Depth=3
	s_or_b32 exec_lo, exec_lo, s18
	v_mul_f32_e32 v13, v90, v13
	v_and_b32_e32 v9, 0x7f800000, v13
	v_cmp_ne_u32_e32 vcc_lo, 0x7f800000, v9
	v_mov_b32_e32 v9, 0x8000
	s_and_saveexec_b32 s18, vcc_lo
	s_cbranch_execz .LBB2_1717
; %bb.1710:                             ;   in Loop: Header=BB2_1557 Depth=3
	v_mov_b32_e32 v9, 0
	s_mov_b32 s22, exec_lo
	v_cmpx_ne_u32_e32 0, v13
	s_cbranch_execz .LBB2_1716
; %bb.1711:                             ;   in Loop: Header=BB2_1557 Depth=3
	v_bfe_u32 v9, v13, 23, 8
	v_and_b32_e32 v90, 0x7fffff, v13
	v_sub_nc_u32_e32 v91, 0x70, v9
	v_cmp_gt_u32_e32 vcc_lo, 0x71, v9
	v_or_b32_e32 v92, 0x800000, v90
	v_cndmask_b32_e32 v91, 0, v91, vcc_lo
	v_cmp_eq_u32_e32 vcc_lo, 0, v9
	v_add_nc_u32_e32 v9, 0xffffff91, v9
	v_cndmask_b32_e64 v91, v91, 0x6f, vcc_lo
	v_cndmask_b32_e32 v90, v92, v90, vcc_lo
	v_cndmask_b32_e64 v9, v9, 0xffffff92, vcc_lo
	v_lshl_add_u32 v92, 0x200000, v91, -1
	v_lshrrev_b32_e32 v93, v91, v90
	v_lshlrev_b32_e64 v95, v91, 0x100000
	v_add_nc_u32_e32 v91, v91, v9
	v_and_b32_e32 v90, v92, v90
	v_bfe_u32 v94, v93, 21, 1
	v_cmp_eq_u32_e64 s17, v90, v95
	v_add_nc_u32_e32 v92, -1, v94
	v_cndmask_b32_e64 v90, 0, v92, s17
	v_lshrrev_b32_e32 v92, 23, v93
	s_mov_b32 s17, exec_lo
	v_add_nc_u32_e32 v90, v90, v93
	v_xor_b32_e32 v92, 1, v92
	v_and_b32_e32 v9, 0x1fffff, v90
	v_add_nc_u32_e32 v90, v9, v93
                                        ; implicit-def: $vgpr9
	v_cmpx_ne_u32_e64 v91, v92
	s_xor_b32 s17, exec_lo, s17
; %bb.1712:                             ;   in Loop: Header=BB2_1557 Depth=3
	v_cmp_lt_u32_e32 vcc_lo, 0xffffff, v90
	v_sub_nc_u32_e32 v9, v91, v92
	v_cndmask_b32_e64 v91, 0, 1, vcc_lo
	v_add_co_ci_u32_e64 v9, null, 0, v9, vcc_lo
	v_lshrrev_b32_e32 v90, v91, v90
; %bb.1713:                             ;   in Loop: Header=BB2_1557 Depth=3
	s_andn2_saveexec_b32 s17, s17
; %bb.1714:                             ;   in Loop: Header=BB2_1557 Depth=3
	v_bfe_u32 v9, v90, 23, 1
; %bb.1715:                             ;   in Loop: Header=BB2_1557 Depth=3
	s_or_b32 exec_lo, exec_lo, s17
	v_lshrrev_b32_e32 v90, 21, v90
	v_min_i32_e32 v91, 31, v9
	v_cmp_gt_i32_e32 vcc_lo, 32, v9
	v_and_b32_sdwa v13, v13, v101 dst_sel:DWORD dst_unused:UNUSED_PAD src0_sel:BYTE_3 src1_sel:DWORD
	v_lshlrev_b32_e32 v91, 2, v91
	v_cndmask_b32_e32 v90, 3, v90, vcc_lo
	v_and_b32_e32 v91, 0xfc, v91
	v_and_b32_e32 v92, 3, v90
	v_or_b32_e32 v9, v9, v90
	v_or3_b32 v13, v13, v91, v92
	v_cmp_ne_u32_e32 vcc_lo, 0, v9
	v_lshlrev_b32_e32 v13, 8, v13
	v_cndmask_b32_e32 v9, 0, v13, vcc_lo
.LBB2_1716:                             ;   in Loop: Header=BB2_1557 Depth=3
	s_or_b32 exec_lo, exec_lo, s22
.LBB2_1717:                             ;   in Loop: Header=BB2_1557 Depth=3
	s_or_b32 exec_lo, exec_lo, s18
	v_cmp_gt_i16_sdwa s18, v14, v100 src0_sel:BYTE_0 src1_sel:DWORD
	s_mov_b32 s17, 0
	s_and_saveexec_b32 s22, s18
	s_xor_b32 s18, exec_lo, s22
	s_cbranch_execz .LBB2_1912
; %bb.1718:                             ;   in Loop: Header=BB2_1557 Depth=3
	v_cmp_eq_u16_sdwa s23, v14, v101 src0_sel:BYTE_0 src1_sel:DWORD
	s_mov_b32 s17, -1
	s_and_saveexec_b32 s22, s23
; %bb.1719:                             ;   in Loop: Header=BB2_1557 Depth=3
	s_xor_b32 s17, exec_lo, -1
; %bb.1720:                             ;   in Loop: Header=BB2_1557 Depth=3
	s_or_b32 exec_lo, exec_lo, s22
	s_and_b32 s17, s17, exec_lo
	s_or_saveexec_b32 s18, s18
	v_mov_b32_e32 v13, 0x7f800001
	s_xor_b32 exec_lo, exec_lo, s18
	s_cbranch_execnz .LBB2_1913
.LBB2_1721:                             ;   in Loop: Header=BB2_1557 Depth=3
	s_or_b32 exec_lo, exec_lo, s18
	s_and_saveexec_b32 s18, s17
	s_cbranch_execz .LBB2_1723
.LBB2_1722:                             ;   in Loop: Header=BB2_1557 Depth=3
	v_and_b32_e32 v13, 3, v14
	v_bfe_u32 v92, v14, 2, 5
	v_lshlrev_b32_e32 v93, 24, v14
	v_ffbh_u32_e32 v90, v13
	v_cmp_eq_u32_e32 vcc_lo, 0, v92
	v_min_u32_e32 v90, 32, v90
	v_subrev_nc_u32_e32 v91, 29, v90
	v_sub_nc_u32_e32 v90, 30, v90
	v_lshlrev_b32_e32 v91, v91, v14
	v_cndmask_b32_e32 v90, v92, v90, vcc_lo
	v_and_b32_e32 v91, 3, v91
	v_lshl_add_u32 v90, v90, 23, 0x37800000
	v_cndmask_b32_e32 v13, v13, v91, vcc_lo
	v_and_b32_e32 v91, 0x80000000, v93
	v_lshlrev_b32_e32 v13, 21, v13
	v_or3_b32 v13, v91, v90, v13
.LBB2_1723:                             ;   in Loop: Header=BB2_1557 Depth=3
	s_or_b32 exec_lo, exec_lo, s18
	v_cmp_gt_i16_sdwa s18, v10, v100 src0_sel:BYTE_0 src1_sel:DWORD
	s_mov_b32 s17, 0
	s_and_saveexec_b32 s22, s18
	s_xor_b32 s18, exec_lo, s22
	s_cbranch_execz .LBB2_1914
; %bb.1724:                             ;   in Loop: Header=BB2_1557 Depth=3
	v_cmp_eq_u16_sdwa s23, v10, v101 src0_sel:BYTE_0 src1_sel:DWORD
	s_mov_b32 s17, -1
	s_and_saveexec_b32 s22, s23
; %bb.1725:                             ;   in Loop: Header=BB2_1557 Depth=3
	s_xor_b32 s17, exec_lo, -1
; %bb.1726:                             ;   in Loop: Header=BB2_1557 Depth=3
	s_or_b32 exec_lo, exec_lo, s22
	s_and_b32 s17, s17, exec_lo
	s_or_saveexec_b32 s18, s18
	v_mov_b32_e32 v90, 0x7f800001
	s_xor_b32 exec_lo, exec_lo, s18
	s_cbranch_execnz .LBB2_1915
.LBB2_1727:                             ;   in Loop: Header=BB2_1557 Depth=3
	s_or_b32 exec_lo, exec_lo, s18
	s_and_saveexec_b32 s18, s17
	s_cbranch_execz .LBB2_1729
.LBB2_1728:                             ;   in Loop: Header=BB2_1557 Depth=3
	v_and_b32_e32 v90, 3, v10
	v_bfe_u32 v93, v10, 2, 5
	v_lshlrev_b32_e32 v94, 24, v10
	v_ffbh_u32_e32 v91, v90
	v_cmp_eq_u32_e32 vcc_lo, 0, v93
	v_min_u32_e32 v91, 32, v91
	v_subrev_nc_u32_e32 v92, 29, v91
	v_sub_nc_u32_e32 v91, 30, v91
	v_lshlrev_b32_e32 v92, v92, v10
	v_cndmask_b32_e32 v91, v93, v91, vcc_lo
	v_and_b32_e32 v92, 3, v92
	v_lshl_add_u32 v91, v91, 23, 0x37800000
	v_cndmask_b32_e32 v90, v90, v92, vcc_lo
	v_and_b32_e32 v92, 0x80000000, v94
	v_lshlrev_b32_e32 v90, 21, v90
	v_or3_b32 v90, v92, v91, v90
.LBB2_1729:                             ;   in Loop: Header=BB2_1557 Depth=3
	s_or_b32 exec_lo, exec_lo, s18
	v_mul_f32_e32 v90, v13, v90
	v_and_b32_e32 v13, 0x7f800000, v90
	v_cmp_ne_u32_e32 vcc_lo, 0x7f800000, v13
	v_mov_b32_e32 v13, 0x80
	s_and_saveexec_b32 s18, vcc_lo
	s_cbranch_execz .LBB2_1737
; %bb.1730:                             ;   in Loop: Header=BB2_1557 Depth=3
	v_mov_b32_e32 v13, 0
	s_mov_b32 s22, exec_lo
	v_cmpx_ne_u32_e32 0, v90
	s_cbranch_execz .LBB2_1736
; %bb.1731:                             ;   in Loop: Header=BB2_1557 Depth=3
	v_bfe_u32 v13, v90, 23, 8
	v_and_b32_e32 v91, 0x7fffff, v90
	v_sub_nc_u32_e32 v92, 0x70, v13
	v_cmp_gt_u32_e32 vcc_lo, 0x71, v13
	v_or_b32_e32 v93, 0x800000, v91
	v_cndmask_b32_e32 v92, 0, v92, vcc_lo
	v_cmp_eq_u32_e32 vcc_lo, 0, v13
	v_add_nc_u32_e32 v13, 0xffffff91, v13
	v_cndmask_b32_e64 v92, v92, 0x6f, vcc_lo
	v_cndmask_b32_e32 v91, v93, v91, vcc_lo
	v_cndmask_b32_e64 v13, v13, 0xffffff92, vcc_lo
	v_lshl_add_u32 v93, 0x200000, v92, -1
	v_lshrrev_b32_e32 v94, v92, v91
	v_lshlrev_b32_e64 v104, v92, 0x100000
	v_add_nc_u32_e32 v92, v92, v13
	v_and_b32_e32 v91, v93, v91
	v_bfe_u32 v95, v94, 21, 1
	v_cmp_eq_u32_e64 s17, v91, v104
	v_add_nc_u32_e32 v93, -1, v95
	v_cndmask_b32_e64 v91, 0, v93, s17
	v_lshrrev_b32_e32 v93, 23, v94
	s_mov_b32 s17, exec_lo
	v_add_nc_u32_e32 v91, v91, v94
	v_xor_b32_e32 v93, 1, v93
	v_and_b32_e32 v13, 0x1fffff, v91
	v_add_nc_u32_e32 v91, v13, v94
                                        ; implicit-def: $vgpr13
	v_cmpx_ne_u32_e64 v92, v93
	s_xor_b32 s17, exec_lo, s17
; %bb.1732:                             ;   in Loop: Header=BB2_1557 Depth=3
	v_cmp_lt_u32_e32 vcc_lo, 0xffffff, v91
	v_sub_nc_u32_e32 v13, v92, v93
	v_cndmask_b32_e64 v92, 0, 1, vcc_lo
	v_add_co_ci_u32_e64 v13, null, 0, v13, vcc_lo
	v_lshrrev_b32_e32 v91, v92, v91
; %bb.1733:                             ;   in Loop: Header=BB2_1557 Depth=3
	s_andn2_saveexec_b32 s17, s17
; %bb.1734:                             ;   in Loop: Header=BB2_1557 Depth=3
	v_bfe_u32 v13, v91, 23, 1
; %bb.1735:                             ;   in Loop: Header=BB2_1557 Depth=3
	s_or_b32 exec_lo, exec_lo, s17
	v_lshrrev_b32_e32 v91, 21, v91
	v_min_i32_e32 v92, 31, v13
	v_cmp_gt_i32_e32 vcc_lo, 32, v13
	v_and_b32_sdwa v90, v90, v101 dst_sel:DWORD dst_unused:UNUSED_PAD src0_sel:BYTE_3 src1_sel:DWORD
	v_lshlrev_b32_e32 v92, 2, v92
	v_cndmask_b32_e32 v91, 3, v91, vcc_lo
	v_and_b32_e32 v92, 0xfc, v92
	v_and_b32_e32 v93, 3, v91
	v_or_b32_e32 v13, v13, v91
	v_or3_b32 v90, v92, v90, v93
	v_cmp_ne_u32_e32 vcc_lo, 0, v13
	v_cndmask_b32_e32 v13, 0, v90, vcc_lo
.LBB2_1736:                             ;   in Loop: Header=BB2_1557 Depth=3
	s_or_b32 exec_lo, exec_lo, s22
.LBB2_1737:                             ;   in Loop: Header=BB2_1557 Depth=3
	s_or_b32 exec_lo, exec_lo, s18
	v_cmp_gt_i16_sdwa s18, v14, v100 src0_sel:BYTE_1 src1_sel:DWORD
	s_mov_b32 s17, 0
	s_and_saveexec_b32 s22, s18
	s_xor_b32 s18, exec_lo, s22
	s_cbranch_execz .LBB2_1916
; %bb.1738:                             ;   in Loop: Header=BB2_1557 Depth=3
	v_cmp_eq_u16_sdwa s23, v14, v101 src0_sel:BYTE_1 src1_sel:DWORD
	s_mov_b32 s17, -1
	s_and_saveexec_b32 s22, s23
; %bb.1739:                             ;   in Loop: Header=BB2_1557 Depth=3
	s_xor_b32 s17, exec_lo, -1
; %bb.1740:                             ;   in Loop: Header=BB2_1557 Depth=3
	s_or_b32 exec_lo, exec_lo, s22
	s_and_b32 s17, s17, exec_lo
	s_or_saveexec_b32 s18, s18
	v_mov_b32_e32 v90, 0x7f800001
	s_xor_b32 exec_lo, exec_lo, s18
	s_cbranch_execnz .LBB2_1917
.LBB2_1741:                             ;   in Loop: Header=BB2_1557 Depth=3
	s_or_b32 exec_lo, exec_lo, s18
	s_and_saveexec_b32 s18, s17
	s_cbranch_execz .LBB2_1743
.LBB2_1742:                             ;   in Loop: Header=BB2_1557 Depth=3
	v_and_b32_sdwa v90, v102, v14 dst_sel:DWORD dst_unused:UNUSED_PAD src0_sel:DWORD src1_sel:BYTE_1
	v_and_b32_e32 v91, 3, v90
	v_bfe_u32 v94, v90, 2, 5
	v_ffbh_u32_e32 v92, v91
	v_cmp_eq_u32_e32 vcc_lo, 0, v94
	v_min_u32_e32 v92, 32, v92
	v_subrev_nc_u32_e32 v93, 29, v92
	v_sub_nc_u32_e32 v92, 30, v92
	v_lshlrev_b32_e32 v90, v93, v90
	v_lshlrev_b32_sdwa v93, v103, v14 dst_sel:DWORD dst_unused:UNUSED_PAD src0_sel:DWORD src1_sel:BYTE_1
	v_cndmask_b32_e32 v92, v94, v92, vcc_lo
	v_and_b32_e32 v90, 3, v90
	v_lshl_add_u32 v92, v92, 23, 0x37800000
	v_cndmask_b32_e32 v90, v91, v90, vcc_lo
	v_and_b32_e32 v91, 0x80000000, v93
	v_lshlrev_b32_e32 v90, 21, v90
	v_or3_b32 v90, v91, v92, v90
.LBB2_1743:                             ;   in Loop: Header=BB2_1557 Depth=3
	s_or_b32 exec_lo, exec_lo, s18
	v_cmp_gt_i16_sdwa s18, v10, v100 src0_sel:BYTE_1 src1_sel:DWORD
	s_mov_b32 s17, 0
	s_and_saveexec_b32 s22, s18
	s_xor_b32 s18, exec_lo, s22
	s_cbranch_execz .LBB2_1918
; %bb.1744:                             ;   in Loop: Header=BB2_1557 Depth=3
	v_cmp_eq_u16_sdwa s23, v10, v101 src0_sel:BYTE_1 src1_sel:DWORD
	s_mov_b32 s17, -1
	s_and_saveexec_b32 s22, s23
; %bb.1745:                             ;   in Loop: Header=BB2_1557 Depth=3
	s_xor_b32 s17, exec_lo, -1
; %bb.1746:                             ;   in Loop: Header=BB2_1557 Depth=3
	s_or_b32 exec_lo, exec_lo, s22
	s_and_b32 s17, s17, exec_lo
	s_or_saveexec_b32 s18, s18
	v_mov_b32_e32 v91, 0x7f800001
	s_xor_b32 exec_lo, exec_lo, s18
	s_cbranch_execnz .LBB2_1919
.LBB2_1747:                             ;   in Loop: Header=BB2_1557 Depth=3
	s_or_b32 exec_lo, exec_lo, s18
	s_and_saveexec_b32 s18, s17
	s_cbranch_execz .LBB2_1749
.LBB2_1748:                             ;   in Loop: Header=BB2_1557 Depth=3
	v_and_b32_sdwa v91, v102, v10 dst_sel:DWORD dst_unused:UNUSED_PAD src0_sel:DWORD src1_sel:BYTE_1
	v_and_b32_e32 v92, 3, v91
	v_bfe_u32 v95, v91, 2, 5
	v_ffbh_u32_e32 v93, v92
	v_cmp_eq_u32_e32 vcc_lo, 0, v95
	v_min_u32_e32 v93, 32, v93
	v_subrev_nc_u32_e32 v94, 29, v93
	v_sub_nc_u32_e32 v93, 30, v93
	v_lshlrev_b32_e32 v91, v94, v91
	v_lshlrev_b32_sdwa v94, v103, v10 dst_sel:DWORD dst_unused:UNUSED_PAD src0_sel:DWORD src1_sel:BYTE_1
	v_cndmask_b32_e32 v93, v95, v93, vcc_lo
	v_and_b32_e32 v91, 3, v91
	v_lshl_add_u32 v93, v93, 23, 0x37800000
	v_cndmask_b32_e32 v91, v92, v91, vcc_lo
	v_and_b32_e32 v92, 0x80000000, v94
	v_lshlrev_b32_e32 v91, 21, v91
	v_or3_b32 v91, v92, v93, v91
.LBB2_1749:                             ;   in Loop: Header=BB2_1557 Depth=3
	s_or_b32 exec_lo, exec_lo, s18
	v_mul_f32_e32 v91, v90, v91
	v_and_b32_e32 v90, 0x7f800000, v91
	v_cmp_ne_u32_e32 vcc_lo, 0x7f800000, v90
	v_mov_b32_e32 v90, 0x8000
	s_and_saveexec_b32 s18, vcc_lo
	s_cbranch_execz .LBB2_1757
; %bb.1750:                             ;   in Loop: Header=BB2_1557 Depth=3
	v_mov_b32_e32 v90, 0
	s_mov_b32 s22, exec_lo
	v_cmpx_ne_u32_e32 0, v91
	s_cbranch_execz .LBB2_1756
; %bb.1751:                             ;   in Loop: Header=BB2_1557 Depth=3
	v_bfe_u32 v90, v91, 23, 8
	v_and_b32_e32 v92, 0x7fffff, v91
	v_sub_nc_u32_e32 v93, 0x70, v90
	v_cmp_gt_u32_e32 vcc_lo, 0x71, v90
	v_or_b32_e32 v94, 0x800000, v92
	v_cndmask_b32_e32 v93, 0, v93, vcc_lo
	v_cmp_eq_u32_e32 vcc_lo, 0, v90
	v_add_nc_u32_e32 v90, 0xffffff91, v90
	v_cndmask_b32_e64 v93, v93, 0x6f, vcc_lo
	v_cndmask_b32_e32 v92, v94, v92, vcc_lo
	v_cndmask_b32_e64 v90, v90, 0xffffff92, vcc_lo
	v_lshl_add_u32 v94, 0x200000, v93, -1
	v_lshrrev_b32_e32 v95, v93, v92
	v_lshlrev_b32_e64 v105, v93, 0x100000
	v_add_nc_u32_e32 v93, v93, v90
	v_and_b32_e32 v92, v94, v92
	v_bfe_u32 v104, v95, 21, 1
	v_cmp_eq_u32_e64 s17, v92, v105
	v_add_nc_u32_e32 v94, -1, v104
	v_cndmask_b32_e64 v92, 0, v94, s17
	v_lshrrev_b32_e32 v94, 23, v95
	s_mov_b32 s17, exec_lo
	v_add_nc_u32_e32 v92, v92, v95
	v_xor_b32_e32 v94, 1, v94
	v_and_b32_e32 v90, 0x1fffff, v92
	v_add_nc_u32_e32 v92, v90, v95
                                        ; implicit-def: $vgpr90
	v_cmpx_ne_u32_e64 v93, v94
	s_xor_b32 s17, exec_lo, s17
; %bb.1752:                             ;   in Loop: Header=BB2_1557 Depth=3
	v_cmp_lt_u32_e32 vcc_lo, 0xffffff, v92
	v_sub_nc_u32_e32 v90, v93, v94
	v_cndmask_b32_e64 v93, 0, 1, vcc_lo
	v_add_co_ci_u32_e64 v90, null, 0, v90, vcc_lo
	v_lshrrev_b32_e32 v92, v93, v92
; %bb.1753:                             ;   in Loop: Header=BB2_1557 Depth=3
	s_andn2_saveexec_b32 s17, s17
; %bb.1754:                             ;   in Loop: Header=BB2_1557 Depth=3
	v_bfe_u32 v90, v92, 23, 1
; %bb.1755:                             ;   in Loop: Header=BB2_1557 Depth=3
	s_or_b32 exec_lo, exec_lo, s17
	v_lshrrev_b32_e32 v92, 21, v92
	v_min_i32_e32 v93, 31, v90
	v_cmp_gt_i32_e32 vcc_lo, 32, v90
	v_and_b32_sdwa v91, v91, v101 dst_sel:DWORD dst_unused:UNUSED_PAD src0_sel:BYTE_3 src1_sel:DWORD
	v_lshlrev_b32_e32 v93, 2, v93
	v_cndmask_b32_e32 v92, 3, v92, vcc_lo
	v_and_b32_e32 v93, 0xfc, v93
	v_and_b32_e32 v94, 3, v92
	v_or_b32_e32 v90, v90, v92
	v_or3_b32 v91, v91, v93, v94
	v_cmp_ne_u32_e32 vcc_lo, 0, v90
	v_lshlrev_b32_e32 v91, 8, v91
	v_cndmask_b32_e32 v90, 0, v91, vcc_lo
.LBB2_1756:                             ;   in Loop: Header=BB2_1557 Depth=3
	s_or_b32 exec_lo, exec_lo, s22
.LBB2_1757:                             ;   in Loop: Header=BB2_1557 Depth=3
	s_or_b32 exec_lo, exec_lo, s18
	v_and_b32_sdwa v92, v14, v112 dst_sel:DWORD dst_unused:UNUSED_PAD src0_sel:WORD_1 src1_sel:DWORD
	s_mov_b32 s17, 0
	s_mov_b32 s18, exec_lo
	v_cmpx_lt_i16_e32 0x7f, v92
	s_xor_b32 s18, exec_lo, s18
	s_cbranch_execz .LBB2_1920
; %bb.1758:                             ;   in Loop: Header=BB2_1557 Depth=3
	s_mov_b32 s17, -1
	s_mov_b32 s22, exec_lo
	v_cmpx_eq_u16_e32 0x80, v92
; %bb.1759:                             ;   in Loop: Header=BB2_1557 Depth=3
	s_xor_b32 s17, exec_lo, -1
; %bb.1760:                             ;   in Loop: Header=BB2_1557 Depth=3
	s_or_b32 exec_lo, exec_lo, s22
	s_and_b32 s17, s17, exec_lo
                                        ; implicit-def: $vgpr92
	s_or_saveexec_b32 s18, s18
	v_mov_b32_e32 v91, 0x7f800001
	s_xor_b32 exec_lo, exec_lo, s18
	s_cbranch_execnz .LBB2_1921
.LBB2_1761:                             ;   in Loop: Header=BB2_1557 Depth=3
	s_or_b32 exec_lo, exec_lo, s18
	s_and_saveexec_b32 s18, s17
	s_cbranch_execz .LBB2_1763
.LBB2_1762:                             ;   in Loop: Header=BB2_1557 Depth=3
	v_bfe_u32 v91, v14, 16, 2
	v_bfe_u32 v94, v14, 18, 5
	v_lshlrev_b32_e32 v95, 8, v14
	v_ffbh_u32_e32 v92, v91
	v_cmp_eq_u32_e32 vcc_lo, 0, v94
	v_min_u32_e32 v92, 32, v92
	v_subrev_nc_u32_e32 v93, 29, v92
	v_sub_nc_u32_e32 v92, 30, v92
	v_lshlrev_b32_sdwa v93, v93, v14 dst_sel:DWORD dst_unused:UNUSED_PAD src0_sel:DWORD src1_sel:WORD_1
	v_cndmask_b32_e32 v92, v94, v92, vcc_lo
	v_and_b32_e32 v93, 3, v93
	v_lshl_add_u32 v92, v92, 23, 0x37800000
	v_cndmask_b32_e32 v91, v91, v93, vcc_lo
	v_and_b32_e32 v93, 0x80000000, v95
	v_lshlrev_b32_e32 v91, 21, v91
	v_or3_b32 v91, v93, v92, v91
.LBB2_1763:                             ;   in Loop: Header=BB2_1557 Depth=3
	s_or_b32 exec_lo, exec_lo, s18
	v_and_b32_sdwa v93, v10, v112 dst_sel:DWORD dst_unused:UNUSED_PAD src0_sel:WORD_1 src1_sel:DWORD
	s_mov_b32 s17, 0
	s_mov_b32 s18, exec_lo
	v_cmpx_lt_i16_e32 0x7f, v93
	s_xor_b32 s18, exec_lo, s18
	s_cbranch_execz .LBB2_1922
; %bb.1764:                             ;   in Loop: Header=BB2_1557 Depth=3
	s_mov_b32 s17, -1
	s_mov_b32 s22, exec_lo
	v_cmpx_eq_u16_e32 0x80, v93
; %bb.1765:                             ;   in Loop: Header=BB2_1557 Depth=3
	s_xor_b32 s17, exec_lo, -1
; %bb.1766:                             ;   in Loop: Header=BB2_1557 Depth=3
	s_or_b32 exec_lo, exec_lo, s22
	s_and_b32 s17, s17, exec_lo
                                        ; implicit-def: $vgpr93
	s_or_saveexec_b32 s18, s18
	v_mov_b32_e32 v92, 0x7f800001
	s_xor_b32 exec_lo, exec_lo, s18
	s_cbranch_execnz .LBB2_1923
.LBB2_1767:                             ;   in Loop: Header=BB2_1557 Depth=3
	s_or_b32 exec_lo, exec_lo, s18
	s_and_saveexec_b32 s18, s17
	s_cbranch_execz .LBB2_1769
.LBB2_1768:                             ;   in Loop: Header=BB2_1557 Depth=3
	v_and_b32_sdwa v92, v10, v113 dst_sel:DWORD dst_unused:UNUSED_PAD src0_sel:WORD_1 src1_sel:DWORD
	v_bfe_u32 v95, v10, 18, 5
	v_lshlrev_b32_sdwa v104, v103, v10 dst_sel:DWORD dst_unused:UNUSED_PAD src0_sel:DWORD src1_sel:WORD_1
	v_ffbh_u32_e32 v93, v92
	v_cmp_eq_u32_e32 vcc_lo, 0, v95
	v_min_u32_e32 v93, 32, v93
	v_subrev_nc_u32_e32 v94, 29, v93
	v_sub_nc_u32_e32 v93, 30, v93
	v_lshlrev_b32_sdwa v94, v94, v10 dst_sel:DWORD dst_unused:UNUSED_PAD src0_sel:DWORD src1_sel:WORD_1
	v_cndmask_b32_e32 v93, v95, v93, vcc_lo
	v_and_b32_e32 v94, 3, v94
	v_lshl_add_u32 v93, v93, 23, 0x37800000
	v_cndmask_b32_e32 v92, v92, v94, vcc_lo
	v_and_b32_e32 v94, 0x80000000, v104
	v_lshlrev_b32_e32 v92, 21, v92
	v_or3_b32 v92, v94, v93, v92
.LBB2_1769:                             ;   in Loop: Header=BB2_1557 Depth=3
	s_or_b32 exec_lo, exec_lo, s18
	v_mul_f32_e32 v92, v91, v92
	v_and_b32_e32 v91, 0x7f800000, v92
	v_cmp_ne_u32_e32 vcc_lo, 0x7f800000, v91
	v_mov_b32_e32 v91, 0x80
	s_and_saveexec_b32 s18, vcc_lo
	s_cbranch_execz .LBB2_1777
; %bb.1770:                             ;   in Loop: Header=BB2_1557 Depth=3
	v_mov_b32_e32 v91, 0
	s_mov_b32 s22, exec_lo
	v_cmpx_ne_u32_e32 0, v92
	s_cbranch_execz .LBB2_1776
; %bb.1771:                             ;   in Loop: Header=BB2_1557 Depth=3
	v_bfe_u32 v91, v92, 23, 8
	v_and_b32_e32 v93, 0x7fffff, v92
	v_sub_nc_u32_e32 v94, 0x70, v91
	v_cmp_gt_u32_e32 vcc_lo, 0x71, v91
	v_or_b32_e32 v95, 0x800000, v93
	v_cndmask_b32_e32 v94, 0, v94, vcc_lo
	v_cmp_eq_u32_e32 vcc_lo, 0, v91
	v_add_nc_u32_e32 v91, 0xffffff91, v91
	v_cndmask_b32_e64 v94, v94, 0x6f, vcc_lo
	v_cndmask_b32_e32 v93, v95, v93, vcc_lo
	v_cndmask_b32_e64 v91, v91, 0xffffff92, vcc_lo
	v_lshl_add_u32 v95, 0x200000, v94, -1
	v_lshrrev_b32_e32 v104, v94, v93
	v_lshlrev_b32_e64 v106, v94, 0x100000
	v_add_nc_u32_e32 v94, v94, v91
	v_and_b32_e32 v93, v95, v93
	v_bfe_u32 v105, v104, 21, 1
	v_cmp_eq_u32_e64 s17, v93, v106
	v_add_nc_u32_e32 v95, -1, v105
	v_cndmask_b32_e64 v93, 0, v95, s17
	v_lshrrev_b32_e32 v95, 23, v104
	s_mov_b32 s17, exec_lo
	v_add_nc_u32_e32 v93, v93, v104
	v_xor_b32_e32 v95, 1, v95
	v_and_b32_e32 v91, 0x1fffff, v93
	v_add_nc_u32_e32 v93, v91, v104
                                        ; implicit-def: $vgpr91
	v_cmpx_ne_u32_e64 v94, v95
	s_xor_b32 s17, exec_lo, s17
; %bb.1772:                             ;   in Loop: Header=BB2_1557 Depth=3
	v_cmp_lt_u32_e32 vcc_lo, 0xffffff, v93
	v_sub_nc_u32_e32 v91, v94, v95
	v_cndmask_b32_e64 v94, 0, 1, vcc_lo
	v_add_co_ci_u32_e64 v91, null, 0, v91, vcc_lo
	v_lshrrev_b32_e32 v93, v94, v93
; %bb.1773:                             ;   in Loop: Header=BB2_1557 Depth=3
	s_andn2_saveexec_b32 s17, s17
; %bb.1774:                             ;   in Loop: Header=BB2_1557 Depth=3
	v_bfe_u32 v91, v93, 23, 1
; %bb.1775:                             ;   in Loop: Header=BB2_1557 Depth=3
	s_or_b32 exec_lo, exec_lo, s17
	v_lshrrev_b32_e32 v93, 21, v93
	v_min_i32_e32 v94, 31, v91
	v_cmp_gt_i32_e32 vcc_lo, 32, v91
	v_and_b32_sdwa v92, v92, v101 dst_sel:DWORD dst_unused:UNUSED_PAD src0_sel:BYTE_3 src1_sel:DWORD
	v_lshlrev_b32_e32 v94, 2, v94
	v_cndmask_b32_e32 v93, 3, v93, vcc_lo
	v_and_b32_e32 v94, 0xfc, v94
	v_and_b32_e32 v95, 3, v93
	v_or_b32_e32 v91, v91, v93
	v_or3_b32 v92, v94, v92, v95
	v_cmp_ne_u32_e32 vcc_lo, 0, v91
	v_cndmask_b32_e32 v91, 0, v92, vcc_lo
.LBB2_1776:                             ;   in Loop: Header=BB2_1557 Depth=3
	s_or_b32 exec_lo, exec_lo, s22
.LBB2_1777:                             ;   in Loop: Header=BB2_1557 Depth=3
	s_or_b32 exec_lo, exec_lo, s18
	v_cmp_gt_i16_sdwa s18, v14, v100 src0_sel:BYTE_3 src1_sel:DWORD
	s_mov_b32 s17, 0
	s_and_saveexec_b32 s22, s18
	s_xor_b32 s18, exec_lo, s22
	s_cbranch_execz .LBB2_1924
; %bb.1778:                             ;   in Loop: Header=BB2_1557 Depth=3
	v_cmp_eq_u16_sdwa s23, v14, v101 src0_sel:BYTE_3 src1_sel:DWORD
	s_mov_b32 s17, -1
	s_and_saveexec_b32 s22, s23
; %bb.1779:                             ;   in Loop: Header=BB2_1557 Depth=3
	s_xor_b32 s17, exec_lo, -1
; %bb.1780:                             ;   in Loop: Header=BB2_1557 Depth=3
	s_or_b32 exec_lo, exec_lo, s22
	s_and_b32 s17, s17, exec_lo
	s_or_saveexec_b32 s18, s18
	v_mov_b32_e32 v92, 0x7f800001
	s_xor_b32 exec_lo, exec_lo, s18
	s_cbranch_execnz .LBB2_1925
.LBB2_1781:                             ;   in Loop: Header=BB2_1557 Depth=3
	s_or_b32 exec_lo, exec_lo, s18
	s_and_saveexec_b32 s18, s17
	s_cbranch_execz .LBB2_1783
.LBB2_1782:                             ;   in Loop: Header=BB2_1557 Depth=3
	v_bfe_u32 v92, v14, 24, 2
	v_bfe_u32 v95, v14, 26, 5
	v_ffbh_u32_e32 v93, v92
	v_cmp_eq_u32_e32 vcc_lo, 0, v95
	v_min_u32_e32 v93, 32, v93
	v_subrev_nc_u32_e32 v94, 29, v93
	v_sub_nc_u32_e32 v93, 30, v93
	v_lshlrev_b32_sdwa v94, v94, v14 dst_sel:DWORD dst_unused:UNUSED_PAD src0_sel:DWORD src1_sel:BYTE_3
	v_cndmask_b32_e32 v93, v95, v93, vcc_lo
	v_and_b32_e32 v14, 0x80000000, v14
	v_and_b32_e32 v94, 3, v94
	v_lshl_add_u32 v93, v93, 23, 0x37800000
	v_cndmask_b32_e32 v92, v92, v94, vcc_lo
	v_lshlrev_b32_e32 v92, 21, v92
	v_or3_b32 v92, v14, v93, v92
.LBB2_1783:                             ;   in Loop: Header=BB2_1557 Depth=3
	s_or_b32 exec_lo, exec_lo, s18
	v_cmp_gt_i16_sdwa s18, v10, v100 src0_sel:BYTE_3 src1_sel:DWORD
	s_mov_b32 s17, 0
	s_and_saveexec_b32 s22, s18
	s_xor_b32 s18, exec_lo, s22
	s_cbranch_execz .LBB2_1926
; %bb.1784:                             ;   in Loop: Header=BB2_1557 Depth=3
	v_cmp_eq_u16_sdwa s23, v10, v101 src0_sel:BYTE_3 src1_sel:DWORD
	s_mov_b32 s17, -1
	s_and_saveexec_b32 s22, s23
; %bb.1785:                             ;   in Loop: Header=BB2_1557 Depth=3
	s_xor_b32 s17, exec_lo, -1
; %bb.1786:                             ;   in Loop: Header=BB2_1557 Depth=3
	s_or_b32 exec_lo, exec_lo, s22
	s_and_b32 s17, s17, exec_lo
	s_or_saveexec_b32 s18, s18
	v_mov_b32_e32 v14, 0x7f800001
	s_xor_b32 exec_lo, exec_lo, s18
	s_cbranch_execnz .LBB2_1927
.LBB2_1787:                             ;   in Loop: Header=BB2_1557 Depth=3
	s_or_b32 exec_lo, exec_lo, s18
	s_and_saveexec_b32 s18, s17
	s_cbranch_execz .LBB2_1789
.LBB2_1788:                             ;   in Loop: Header=BB2_1557 Depth=3
	v_and_b32_sdwa v14, v10, v113 dst_sel:DWORD dst_unused:UNUSED_PAD src0_sel:BYTE_3 src1_sel:DWORD
	v_bfe_u32 v95, v10, 26, 5
	v_ffbh_u32_e32 v93, v14
	v_cmp_eq_u32_e32 vcc_lo, 0, v95
	v_min_u32_e32 v93, 32, v93
	v_subrev_nc_u32_e32 v94, 29, v93
	v_sub_nc_u32_e32 v93, 30, v93
	v_lshlrev_b32_sdwa v94, v94, v10 dst_sel:DWORD dst_unused:UNUSED_PAD src0_sel:DWORD src1_sel:BYTE_3
	v_cndmask_b32_e32 v93, v95, v93, vcc_lo
	v_and_b32_e32 v10, 0x80000000, v10
	v_and_b32_e32 v94, 3, v94
	v_lshl_add_u32 v93, v93, 23, 0x37800000
	v_cndmask_b32_e32 v14, v14, v94, vcc_lo
	v_lshlrev_b32_e32 v14, 21, v14
	v_or3_b32 v14, v10, v93, v14
.LBB2_1789:                             ;   in Loop: Header=BB2_1557 Depth=3
	s_or_b32 exec_lo, exec_lo, s18
	v_mul_f32_e32 v14, v92, v14
	v_and_b32_e32 v10, 0x7f800000, v14
	v_cmp_ne_u32_e32 vcc_lo, 0x7f800000, v10
	v_mov_b32_e32 v10, 0x8000
	s_and_saveexec_b32 s18, vcc_lo
	s_cbranch_execz .LBB2_1797
; %bb.1790:                             ;   in Loop: Header=BB2_1557 Depth=3
	v_mov_b32_e32 v10, 0
	s_mov_b32 s22, exec_lo
	v_cmpx_ne_u32_e32 0, v14
	s_cbranch_execz .LBB2_1796
; %bb.1791:                             ;   in Loop: Header=BB2_1557 Depth=3
	v_bfe_u32 v10, v14, 23, 8
	v_and_b32_e32 v92, 0x7fffff, v14
	v_sub_nc_u32_e32 v93, 0x70, v10
	v_cmp_gt_u32_e32 vcc_lo, 0x71, v10
	v_or_b32_e32 v94, 0x800000, v92
	v_cndmask_b32_e32 v93, 0, v93, vcc_lo
	v_cmp_eq_u32_e32 vcc_lo, 0, v10
	v_add_nc_u32_e32 v10, 0xffffff91, v10
	v_cndmask_b32_e64 v93, v93, 0x6f, vcc_lo
	v_cndmask_b32_e32 v92, v94, v92, vcc_lo
	v_cndmask_b32_e64 v10, v10, 0xffffff92, vcc_lo
	v_lshl_add_u32 v94, 0x200000, v93, -1
	v_lshrrev_b32_e32 v95, v93, v92
	v_lshlrev_b32_e64 v105, v93, 0x100000
	v_add_nc_u32_e32 v93, v93, v10
	v_and_b32_e32 v92, v94, v92
	v_bfe_u32 v104, v95, 21, 1
	v_cmp_eq_u32_e64 s17, v92, v105
	v_add_nc_u32_e32 v94, -1, v104
	v_cndmask_b32_e64 v92, 0, v94, s17
	v_lshrrev_b32_e32 v94, 23, v95
	s_mov_b32 s17, exec_lo
	v_add_nc_u32_e32 v92, v92, v95
	v_xor_b32_e32 v94, 1, v94
	v_and_b32_e32 v10, 0x1fffff, v92
	v_add_nc_u32_e32 v92, v10, v95
                                        ; implicit-def: $vgpr10
	v_cmpx_ne_u32_e64 v93, v94
	s_xor_b32 s17, exec_lo, s17
; %bb.1792:                             ;   in Loop: Header=BB2_1557 Depth=3
	v_cmp_lt_u32_e32 vcc_lo, 0xffffff, v92
	v_sub_nc_u32_e32 v10, v93, v94
	v_cndmask_b32_e64 v93, 0, 1, vcc_lo
	v_add_co_ci_u32_e64 v10, null, 0, v10, vcc_lo
	v_lshrrev_b32_e32 v92, v93, v92
; %bb.1793:                             ;   in Loop: Header=BB2_1557 Depth=3
	s_andn2_saveexec_b32 s17, s17
; %bb.1794:                             ;   in Loop: Header=BB2_1557 Depth=3
	v_bfe_u32 v10, v92, 23, 1
; %bb.1795:                             ;   in Loop: Header=BB2_1557 Depth=3
	s_or_b32 exec_lo, exec_lo, s17
	v_lshrrev_b32_e32 v92, 21, v92
	v_min_i32_e32 v93, 31, v10
	v_cmp_gt_i32_e32 vcc_lo, 32, v10
	v_and_b32_sdwa v14, v14, v101 dst_sel:DWORD dst_unused:UNUSED_PAD src0_sel:BYTE_3 src1_sel:DWORD
	v_lshlrev_b32_e32 v93, 2, v93
	v_cndmask_b32_e32 v92, 3, v92, vcc_lo
	v_and_b32_e32 v93, 0xfc, v93
	v_and_b32_e32 v94, 3, v92
	v_or_b32_e32 v10, v10, v92
	v_or3_b32 v14, v14, v93, v94
	v_cmp_ne_u32_e32 vcc_lo, 0, v10
	v_lshlrev_b32_e32 v14, 8, v14
	v_cndmask_b32_e32 v10, 0, v14, vcc_lo
.LBB2_1796:                             ;   in Loop: Header=BB2_1557 Depth=3
	s_or_b32 exec_lo, exec_lo, s22
.LBB2_1797:                             ;   in Loop: Header=BB2_1557 Depth=3
	s_or_b32 exec_lo, exec_lo, s18
	v_cmp_gt_i16_sdwa s18, v15, v100 src0_sel:BYTE_0 src1_sel:DWORD
	s_mov_b32 s17, 0
	s_and_saveexec_b32 s22, s18
	s_xor_b32 s18, exec_lo, s22
	s_cbranch_execz .LBB2_1928
; %bb.1798:                             ;   in Loop: Header=BB2_1557 Depth=3
	v_cmp_eq_u16_sdwa s23, v15, v101 src0_sel:BYTE_0 src1_sel:DWORD
	s_mov_b32 s17, -1
	s_and_saveexec_b32 s22, s23
; %bb.1799:                             ;   in Loop: Header=BB2_1557 Depth=3
	s_xor_b32 s17, exec_lo, -1
; %bb.1800:                             ;   in Loop: Header=BB2_1557 Depth=3
	s_or_b32 exec_lo, exec_lo, s22
	s_and_b32 s17, s17, exec_lo
	s_or_saveexec_b32 s18, s18
	v_mov_b32_e32 v14, 0x7f800001
	s_xor_b32 exec_lo, exec_lo, s18
	s_cbranch_execnz .LBB2_1929
.LBB2_1801:                             ;   in Loop: Header=BB2_1557 Depth=3
	s_or_b32 exec_lo, exec_lo, s18
	s_and_saveexec_b32 s18, s17
	s_cbranch_execz .LBB2_1803
.LBB2_1802:                             ;   in Loop: Header=BB2_1557 Depth=3
	v_and_b32_e32 v14, 3, v15
	v_bfe_u32 v94, v15, 2, 5
	v_lshlrev_b32_e32 v95, 24, v15
	v_ffbh_u32_e32 v92, v14
	v_cmp_eq_u32_e32 vcc_lo, 0, v94
	v_min_u32_e32 v92, 32, v92
	v_subrev_nc_u32_e32 v93, 29, v92
	v_sub_nc_u32_e32 v92, 30, v92
	v_lshlrev_b32_e32 v93, v93, v15
	v_cndmask_b32_e32 v92, v94, v92, vcc_lo
	v_and_b32_e32 v93, 3, v93
	v_lshl_add_u32 v92, v92, 23, 0x37800000
	v_cndmask_b32_e32 v14, v14, v93, vcc_lo
	v_and_b32_e32 v93, 0x80000000, v95
	v_lshlrev_b32_e32 v14, 21, v14
	v_or3_b32 v14, v93, v92, v14
.LBB2_1803:                             ;   in Loop: Header=BB2_1557 Depth=3
	s_or_b32 exec_lo, exec_lo, s18
	v_cmp_gt_i16_sdwa s18, v11, v100 src0_sel:BYTE_0 src1_sel:DWORD
	s_mov_b32 s17, 0
	s_and_saveexec_b32 s22, s18
	s_xor_b32 s18, exec_lo, s22
	s_cbranch_execz .LBB2_1930
; %bb.1804:                             ;   in Loop: Header=BB2_1557 Depth=3
	v_cmp_eq_u16_sdwa s23, v11, v101 src0_sel:BYTE_0 src1_sel:DWORD
	s_mov_b32 s17, -1
	s_and_saveexec_b32 s22, s23
; %bb.1805:                             ;   in Loop: Header=BB2_1557 Depth=3
	s_xor_b32 s17, exec_lo, -1
; %bb.1806:                             ;   in Loop: Header=BB2_1557 Depth=3
	s_or_b32 exec_lo, exec_lo, s22
	s_and_b32 s17, s17, exec_lo
	s_or_saveexec_b32 s18, s18
	v_mov_b32_e32 v92, 0x7f800001
	s_xor_b32 exec_lo, exec_lo, s18
	s_cbranch_execnz .LBB2_1931
.LBB2_1807:                             ;   in Loop: Header=BB2_1557 Depth=3
	s_or_b32 exec_lo, exec_lo, s18
	s_and_saveexec_b32 s18, s17
	s_cbranch_execz .LBB2_1809
.LBB2_1808:                             ;   in Loop: Header=BB2_1557 Depth=3
	v_and_b32_e32 v92, 3, v11
	v_bfe_u32 v95, v11, 2, 5
	v_lshlrev_b32_e32 v104, 24, v11
	v_ffbh_u32_e32 v93, v92
	v_cmp_eq_u32_e32 vcc_lo, 0, v95
	v_min_u32_e32 v93, 32, v93
	v_subrev_nc_u32_e32 v94, 29, v93
	v_sub_nc_u32_e32 v93, 30, v93
	v_lshlrev_b32_e32 v94, v94, v11
	v_cndmask_b32_e32 v93, v95, v93, vcc_lo
	v_and_b32_e32 v94, 3, v94
	v_lshl_add_u32 v93, v93, 23, 0x37800000
	v_cndmask_b32_e32 v92, v92, v94, vcc_lo
	v_and_b32_e32 v94, 0x80000000, v104
	v_lshlrev_b32_e32 v92, 21, v92
	v_or3_b32 v92, v94, v93, v92
.LBB2_1809:                             ;   in Loop: Header=BB2_1557 Depth=3
	s_or_b32 exec_lo, exec_lo, s18
	v_mul_f32_e32 v92, v14, v92
	v_and_b32_e32 v14, 0x7f800000, v92
	v_cmp_ne_u32_e32 vcc_lo, 0x7f800000, v14
	v_mov_b32_e32 v14, 0x80
	s_and_saveexec_b32 s18, vcc_lo
	s_cbranch_execz .LBB2_1817
; %bb.1810:                             ;   in Loop: Header=BB2_1557 Depth=3
	v_mov_b32_e32 v14, 0
	s_mov_b32 s22, exec_lo
	v_cmpx_ne_u32_e32 0, v92
	s_cbranch_execz .LBB2_1816
; %bb.1811:                             ;   in Loop: Header=BB2_1557 Depth=3
	v_bfe_u32 v14, v92, 23, 8
	v_and_b32_e32 v93, 0x7fffff, v92
	v_sub_nc_u32_e32 v94, 0x70, v14
	v_cmp_gt_u32_e32 vcc_lo, 0x71, v14
	v_or_b32_e32 v95, 0x800000, v93
	v_cndmask_b32_e32 v94, 0, v94, vcc_lo
	v_cmp_eq_u32_e32 vcc_lo, 0, v14
	v_add_nc_u32_e32 v14, 0xffffff91, v14
	v_cndmask_b32_e64 v94, v94, 0x6f, vcc_lo
	v_cndmask_b32_e32 v93, v95, v93, vcc_lo
	v_cndmask_b32_e64 v14, v14, 0xffffff92, vcc_lo
	v_lshl_add_u32 v95, 0x200000, v94, -1
	v_lshrrev_b32_e32 v104, v94, v93
	v_lshlrev_b32_e64 v106, v94, 0x100000
	v_add_nc_u32_e32 v94, v94, v14
	v_and_b32_e32 v93, v95, v93
	v_bfe_u32 v105, v104, 21, 1
	v_cmp_eq_u32_e64 s17, v93, v106
	v_add_nc_u32_e32 v95, -1, v105
	v_cndmask_b32_e64 v93, 0, v95, s17
	v_lshrrev_b32_e32 v95, 23, v104
	s_mov_b32 s17, exec_lo
	v_add_nc_u32_e32 v93, v93, v104
	v_xor_b32_e32 v95, 1, v95
	v_and_b32_e32 v14, 0x1fffff, v93
	v_add_nc_u32_e32 v93, v14, v104
                                        ; implicit-def: $vgpr14
	v_cmpx_ne_u32_e64 v94, v95
	s_xor_b32 s17, exec_lo, s17
; %bb.1812:                             ;   in Loop: Header=BB2_1557 Depth=3
	v_cmp_lt_u32_e32 vcc_lo, 0xffffff, v93
	v_sub_nc_u32_e32 v14, v94, v95
	v_cndmask_b32_e64 v94, 0, 1, vcc_lo
	v_add_co_ci_u32_e64 v14, null, 0, v14, vcc_lo
	v_lshrrev_b32_e32 v93, v94, v93
; %bb.1813:                             ;   in Loop: Header=BB2_1557 Depth=3
	s_andn2_saveexec_b32 s17, s17
; %bb.1814:                             ;   in Loop: Header=BB2_1557 Depth=3
	v_bfe_u32 v14, v93, 23, 1
; %bb.1815:                             ;   in Loop: Header=BB2_1557 Depth=3
	s_or_b32 exec_lo, exec_lo, s17
	v_lshrrev_b32_e32 v93, 21, v93
	v_min_i32_e32 v94, 31, v14
	v_cmp_gt_i32_e32 vcc_lo, 32, v14
	v_and_b32_sdwa v92, v92, v101 dst_sel:DWORD dst_unused:UNUSED_PAD src0_sel:BYTE_3 src1_sel:DWORD
	v_lshlrev_b32_e32 v94, 2, v94
	v_cndmask_b32_e32 v93, 3, v93, vcc_lo
	v_and_b32_e32 v94, 0xfc, v94
	v_and_b32_e32 v95, 3, v93
	v_or_b32_e32 v14, v14, v93
	v_or3_b32 v92, v94, v92, v95
	v_cmp_ne_u32_e32 vcc_lo, 0, v14
	v_cndmask_b32_e32 v14, 0, v92, vcc_lo
.LBB2_1816:                             ;   in Loop: Header=BB2_1557 Depth=3
	s_or_b32 exec_lo, exec_lo, s22
.LBB2_1817:                             ;   in Loop: Header=BB2_1557 Depth=3
	s_or_b32 exec_lo, exec_lo, s18
	v_cmp_gt_i16_sdwa s18, v15, v100 src0_sel:BYTE_1 src1_sel:DWORD
	s_mov_b32 s17, 0
	s_and_saveexec_b32 s22, s18
	s_xor_b32 s18, exec_lo, s22
	s_cbranch_execz .LBB2_1932
; %bb.1818:                             ;   in Loop: Header=BB2_1557 Depth=3
	v_cmp_eq_u16_sdwa s23, v15, v101 src0_sel:BYTE_1 src1_sel:DWORD
	s_mov_b32 s17, -1
	s_and_saveexec_b32 s22, s23
; %bb.1819:                             ;   in Loop: Header=BB2_1557 Depth=3
	s_xor_b32 s17, exec_lo, -1
; %bb.1820:                             ;   in Loop: Header=BB2_1557 Depth=3
	s_or_b32 exec_lo, exec_lo, s22
	s_and_b32 s17, s17, exec_lo
	s_or_saveexec_b32 s18, s18
	v_mov_b32_e32 v92, 0x7f800001
	s_xor_b32 exec_lo, exec_lo, s18
	s_cbranch_execnz .LBB2_1933
.LBB2_1821:                             ;   in Loop: Header=BB2_1557 Depth=3
	s_or_b32 exec_lo, exec_lo, s18
	s_and_saveexec_b32 s18, s17
	s_cbranch_execz .LBB2_1823
.LBB2_1822:                             ;   in Loop: Header=BB2_1557 Depth=3
	v_and_b32_sdwa v92, v102, v15 dst_sel:DWORD dst_unused:UNUSED_PAD src0_sel:DWORD src1_sel:BYTE_1
	v_and_b32_e32 v93, 3, v92
	v_bfe_u32 v104, v92, 2, 5
	v_ffbh_u32_e32 v94, v93
	v_cmp_eq_u32_e32 vcc_lo, 0, v104
	v_min_u32_e32 v94, 32, v94
	v_subrev_nc_u32_e32 v95, 29, v94
	v_sub_nc_u32_e32 v94, 30, v94
	v_lshlrev_b32_e32 v92, v95, v92
	v_lshlrev_b32_sdwa v95, v103, v15 dst_sel:DWORD dst_unused:UNUSED_PAD src0_sel:DWORD src1_sel:BYTE_1
	v_cndmask_b32_e32 v94, v104, v94, vcc_lo
	v_and_b32_e32 v92, 3, v92
	v_lshl_add_u32 v94, v94, 23, 0x37800000
	v_cndmask_b32_e32 v92, v93, v92, vcc_lo
	v_and_b32_e32 v93, 0x80000000, v95
	v_lshlrev_b32_e32 v92, 21, v92
	v_or3_b32 v92, v93, v94, v92
.LBB2_1823:                             ;   in Loop: Header=BB2_1557 Depth=3
	s_or_b32 exec_lo, exec_lo, s18
	v_cmp_gt_i16_sdwa s18, v11, v100 src0_sel:BYTE_1 src1_sel:DWORD
	s_mov_b32 s17, 0
	s_and_saveexec_b32 s22, s18
	s_xor_b32 s18, exec_lo, s22
	s_cbranch_execz .LBB2_1934
; %bb.1824:                             ;   in Loop: Header=BB2_1557 Depth=3
	v_cmp_eq_u16_sdwa s23, v11, v101 src0_sel:BYTE_1 src1_sel:DWORD
	s_mov_b32 s17, -1
	s_and_saveexec_b32 s22, s23
; %bb.1825:                             ;   in Loop: Header=BB2_1557 Depth=3
	s_xor_b32 s17, exec_lo, -1
; %bb.1826:                             ;   in Loop: Header=BB2_1557 Depth=3
	s_or_b32 exec_lo, exec_lo, s22
	s_and_b32 s17, s17, exec_lo
	s_or_saveexec_b32 s18, s18
	v_mov_b32_e32 v93, 0x7f800001
	s_xor_b32 exec_lo, exec_lo, s18
	s_cbranch_execnz .LBB2_1935
.LBB2_1827:                             ;   in Loop: Header=BB2_1557 Depth=3
	s_or_b32 exec_lo, exec_lo, s18
	s_and_saveexec_b32 s18, s17
	s_cbranch_execz .LBB2_1829
.LBB2_1828:                             ;   in Loop: Header=BB2_1557 Depth=3
	v_and_b32_sdwa v93, v102, v11 dst_sel:DWORD dst_unused:UNUSED_PAD src0_sel:DWORD src1_sel:BYTE_1
	v_and_b32_e32 v94, 3, v93
	v_bfe_u32 v105, v93, 2, 5
	v_ffbh_u32_e32 v95, v94
	v_cmp_eq_u32_e32 vcc_lo, 0, v105
	v_min_u32_e32 v95, 32, v95
	v_subrev_nc_u32_e32 v104, 29, v95
	v_sub_nc_u32_e32 v95, 30, v95
	v_lshlrev_b32_e32 v93, v104, v93
	v_lshlrev_b32_sdwa v104, v103, v11 dst_sel:DWORD dst_unused:UNUSED_PAD src0_sel:DWORD src1_sel:BYTE_1
	v_cndmask_b32_e32 v95, v105, v95, vcc_lo
	v_and_b32_e32 v93, 3, v93
	v_lshl_add_u32 v95, v95, 23, 0x37800000
	v_cndmask_b32_e32 v93, v94, v93, vcc_lo
	v_and_b32_e32 v94, 0x80000000, v104
	v_lshlrev_b32_e32 v93, 21, v93
	v_or3_b32 v93, v94, v95, v93
.LBB2_1829:                             ;   in Loop: Header=BB2_1557 Depth=3
	s_or_b32 exec_lo, exec_lo, s18
	v_mul_f32_e32 v93, v92, v93
	v_and_b32_e32 v92, 0x7f800000, v93
	v_cmp_ne_u32_e32 vcc_lo, 0x7f800000, v92
	v_mov_b32_e32 v92, 0x8000
	s_and_saveexec_b32 s18, vcc_lo
	s_cbranch_execz .LBB2_1837
; %bb.1830:                             ;   in Loop: Header=BB2_1557 Depth=3
	v_mov_b32_e32 v92, 0
	s_mov_b32 s22, exec_lo
	v_cmpx_ne_u32_e32 0, v93
	s_cbranch_execz .LBB2_1836
; %bb.1831:                             ;   in Loop: Header=BB2_1557 Depth=3
	v_bfe_u32 v92, v93, 23, 8
	v_and_b32_e32 v94, 0x7fffff, v93
	v_sub_nc_u32_e32 v95, 0x70, v92
	v_cmp_gt_u32_e32 vcc_lo, 0x71, v92
	v_or_b32_e32 v104, 0x800000, v94
	v_cndmask_b32_e32 v95, 0, v95, vcc_lo
	v_cmp_eq_u32_e32 vcc_lo, 0, v92
	v_add_nc_u32_e32 v92, 0xffffff91, v92
	v_cndmask_b32_e64 v95, v95, 0x6f, vcc_lo
	v_cndmask_b32_e32 v94, v104, v94, vcc_lo
	v_cndmask_b32_e64 v92, v92, 0xffffff92, vcc_lo
	v_lshl_add_u32 v104, 0x200000, v95, -1
	v_lshrrev_b32_e32 v105, v95, v94
	v_lshlrev_b32_e64 v107, v95, 0x100000
	v_add_nc_u32_e32 v95, v95, v92
	v_and_b32_e32 v94, v104, v94
	v_bfe_u32 v106, v105, 21, 1
	v_cmp_eq_u32_e64 s17, v94, v107
	v_add_nc_u32_e32 v104, -1, v106
	v_cndmask_b32_e64 v94, 0, v104, s17
	v_lshrrev_b32_e32 v104, 23, v105
	s_mov_b32 s17, exec_lo
	v_add_nc_u32_e32 v94, v94, v105
	v_xor_b32_e32 v104, 1, v104
	v_and_b32_e32 v92, 0x1fffff, v94
	v_add_nc_u32_e32 v94, v92, v105
                                        ; implicit-def: $vgpr92
	v_cmpx_ne_u32_e64 v95, v104
	s_xor_b32 s17, exec_lo, s17
; %bb.1832:                             ;   in Loop: Header=BB2_1557 Depth=3
	v_cmp_lt_u32_e32 vcc_lo, 0xffffff, v94
	v_sub_nc_u32_e32 v92, v95, v104
	v_cndmask_b32_e64 v95, 0, 1, vcc_lo
	v_add_co_ci_u32_e64 v92, null, 0, v92, vcc_lo
	v_lshrrev_b32_e32 v94, v95, v94
; %bb.1833:                             ;   in Loop: Header=BB2_1557 Depth=3
	s_andn2_saveexec_b32 s17, s17
; %bb.1834:                             ;   in Loop: Header=BB2_1557 Depth=3
	v_bfe_u32 v92, v94, 23, 1
; %bb.1835:                             ;   in Loop: Header=BB2_1557 Depth=3
	s_or_b32 exec_lo, exec_lo, s17
	v_lshrrev_b32_e32 v94, 21, v94
	v_min_i32_e32 v95, 31, v92
	v_cmp_gt_i32_e32 vcc_lo, 32, v92
	v_and_b32_sdwa v93, v93, v101 dst_sel:DWORD dst_unused:UNUSED_PAD src0_sel:BYTE_3 src1_sel:DWORD
	v_lshlrev_b32_e32 v95, 2, v95
	v_cndmask_b32_e32 v94, 3, v94, vcc_lo
	v_and_b32_e32 v95, 0xfc, v95
	v_and_b32_e32 v104, 3, v94
	v_or_b32_e32 v92, v92, v94
	v_or3_b32 v93, v93, v95, v104
	v_cmp_ne_u32_e32 vcc_lo, 0, v92
	v_lshlrev_b32_e32 v93, 8, v93
	v_cndmask_b32_e32 v92, 0, v93, vcc_lo
.LBB2_1836:                             ;   in Loop: Header=BB2_1557 Depth=3
	s_or_b32 exec_lo, exec_lo, s22
.LBB2_1837:                             ;   in Loop: Header=BB2_1557 Depth=3
	s_or_b32 exec_lo, exec_lo, s18
	v_and_b32_sdwa v94, v15, v112 dst_sel:DWORD dst_unused:UNUSED_PAD src0_sel:WORD_1 src1_sel:DWORD
	s_mov_b32 s17, 0
	s_mov_b32 s18, exec_lo
	v_cmpx_lt_i16_e32 0x7f, v94
	s_xor_b32 s18, exec_lo, s18
	s_cbranch_execz .LBB2_1936
; %bb.1838:                             ;   in Loop: Header=BB2_1557 Depth=3
	s_mov_b32 s17, -1
	s_mov_b32 s22, exec_lo
	v_cmpx_eq_u16_e32 0x80, v94
; %bb.1839:                             ;   in Loop: Header=BB2_1557 Depth=3
	s_xor_b32 s17, exec_lo, -1
; %bb.1840:                             ;   in Loop: Header=BB2_1557 Depth=3
	s_or_b32 exec_lo, exec_lo, s22
	s_and_b32 s17, s17, exec_lo
                                        ; implicit-def: $vgpr94
	s_or_saveexec_b32 s18, s18
	v_mov_b32_e32 v93, 0x7f800001
	s_xor_b32 exec_lo, exec_lo, s18
	s_cbranch_execnz .LBB2_1937
.LBB2_1841:                             ;   in Loop: Header=BB2_1557 Depth=3
	s_or_b32 exec_lo, exec_lo, s18
	s_and_saveexec_b32 s18, s17
	s_cbranch_execz .LBB2_1843
.LBB2_1842:                             ;   in Loop: Header=BB2_1557 Depth=3
	v_bfe_u32 v93, v15, 16, 2
	v_bfe_u32 v104, v15, 18, 5
	v_lshlrev_b32_e32 v105, 8, v15
	v_ffbh_u32_e32 v94, v93
	v_cmp_eq_u32_e32 vcc_lo, 0, v104
	v_min_u32_e32 v94, 32, v94
	v_subrev_nc_u32_e32 v95, 29, v94
	v_sub_nc_u32_e32 v94, 30, v94
	v_lshlrev_b32_sdwa v95, v95, v15 dst_sel:DWORD dst_unused:UNUSED_PAD src0_sel:DWORD src1_sel:WORD_1
	v_cndmask_b32_e32 v94, v104, v94, vcc_lo
	v_and_b32_e32 v95, 3, v95
	v_lshl_add_u32 v94, v94, 23, 0x37800000
	v_cndmask_b32_e32 v93, v93, v95, vcc_lo
	v_and_b32_e32 v95, 0x80000000, v105
	v_lshlrev_b32_e32 v93, 21, v93
	v_or3_b32 v93, v95, v94, v93
.LBB2_1843:                             ;   in Loop: Header=BB2_1557 Depth=3
	s_or_b32 exec_lo, exec_lo, s18
	v_and_b32_sdwa v95, v11, v112 dst_sel:DWORD dst_unused:UNUSED_PAD src0_sel:WORD_1 src1_sel:DWORD
	s_mov_b32 s17, 0
	s_mov_b32 s18, exec_lo
	v_cmpx_lt_i16_e32 0x7f, v95
	s_xor_b32 s18, exec_lo, s18
	s_cbranch_execz .LBB2_1938
; %bb.1844:                             ;   in Loop: Header=BB2_1557 Depth=3
	s_mov_b32 s17, -1
	s_mov_b32 s22, exec_lo
	v_cmpx_eq_u16_e32 0x80, v95
; %bb.1845:                             ;   in Loop: Header=BB2_1557 Depth=3
	s_xor_b32 s17, exec_lo, -1
; %bb.1846:                             ;   in Loop: Header=BB2_1557 Depth=3
	s_or_b32 exec_lo, exec_lo, s22
	s_and_b32 s17, s17, exec_lo
                                        ; implicit-def: $vgpr95
	s_or_saveexec_b32 s18, s18
	v_mov_b32_e32 v94, 0x7f800001
	s_xor_b32 exec_lo, exec_lo, s18
	s_cbranch_execnz .LBB2_1939
.LBB2_1847:                             ;   in Loop: Header=BB2_1557 Depth=3
	s_or_b32 exec_lo, exec_lo, s18
	s_and_saveexec_b32 s18, s17
	s_cbranch_execz .LBB2_1849
.LBB2_1848:                             ;   in Loop: Header=BB2_1557 Depth=3
	v_and_b32_sdwa v94, v11, v113 dst_sel:DWORD dst_unused:UNUSED_PAD src0_sel:WORD_1 src1_sel:DWORD
	v_bfe_u32 v105, v11, 18, 5
	v_lshlrev_b32_sdwa v106, v103, v11 dst_sel:DWORD dst_unused:UNUSED_PAD src0_sel:DWORD src1_sel:WORD_1
	v_ffbh_u32_e32 v95, v94
	v_cmp_eq_u32_e32 vcc_lo, 0, v105
	v_min_u32_e32 v95, 32, v95
	v_subrev_nc_u32_e32 v104, 29, v95
	v_sub_nc_u32_e32 v95, 30, v95
	v_lshlrev_b32_sdwa v104, v104, v11 dst_sel:DWORD dst_unused:UNUSED_PAD src0_sel:DWORD src1_sel:WORD_1
	v_cndmask_b32_e32 v95, v105, v95, vcc_lo
	v_and_b32_e32 v104, 3, v104
	v_lshl_add_u32 v95, v95, 23, 0x37800000
	v_cndmask_b32_e32 v94, v94, v104, vcc_lo
	v_and_b32_e32 v104, 0x80000000, v106
	v_lshlrev_b32_e32 v94, 21, v94
	v_or3_b32 v94, v104, v95, v94
.LBB2_1849:                             ;   in Loop: Header=BB2_1557 Depth=3
	s_or_b32 exec_lo, exec_lo, s18
	v_mul_f32_e32 v94, v93, v94
	v_and_b32_e32 v93, 0x7f800000, v94
	v_cmp_ne_u32_e32 vcc_lo, 0x7f800000, v93
	v_mov_b32_e32 v93, 0x80
	s_and_saveexec_b32 s18, vcc_lo
	s_cbranch_execz .LBB2_1857
; %bb.1850:                             ;   in Loop: Header=BB2_1557 Depth=3
	v_mov_b32_e32 v93, 0
	s_mov_b32 s22, exec_lo
	v_cmpx_ne_u32_e32 0, v94
	s_cbranch_execz .LBB2_1856
; %bb.1851:                             ;   in Loop: Header=BB2_1557 Depth=3
	v_bfe_u32 v93, v94, 23, 8
	v_and_b32_e32 v95, 0x7fffff, v94
	v_sub_nc_u32_e32 v104, 0x70, v93
	v_cmp_gt_u32_e32 vcc_lo, 0x71, v93
	v_or_b32_e32 v105, 0x800000, v95
	v_cndmask_b32_e32 v104, 0, v104, vcc_lo
	v_cmp_eq_u32_e32 vcc_lo, 0, v93
	v_add_nc_u32_e32 v93, 0xffffff91, v93
	v_cndmask_b32_e64 v104, v104, 0x6f, vcc_lo
	v_cndmask_b32_e32 v95, v105, v95, vcc_lo
	v_cndmask_b32_e64 v93, v93, 0xffffff92, vcc_lo
	v_lshl_add_u32 v105, 0x200000, v104, -1
	v_lshrrev_b32_e32 v106, v104, v95
	v_lshlrev_b32_e64 v108, v104, 0x100000
	v_add_nc_u32_e32 v104, v104, v93
	v_and_b32_e32 v95, v105, v95
	v_bfe_u32 v107, v106, 21, 1
	v_cmp_eq_u32_e64 s17, v95, v108
	v_add_nc_u32_e32 v105, -1, v107
	v_cndmask_b32_e64 v95, 0, v105, s17
	v_lshrrev_b32_e32 v105, 23, v106
	s_mov_b32 s17, exec_lo
	v_add_nc_u32_e32 v95, v95, v106
	v_xor_b32_e32 v105, 1, v105
	v_and_b32_e32 v93, 0x1fffff, v95
	v_add_nc_u32_e32 v95, v93, v106
                                        ; implicit-def: $vgpr93
	v_cmpx_ne_u32_e64 v104, v105
	s_xor_b32 s17, exec_lo, s17
; %bb.1852:                             ;   in Loop: Header=BB2_1557 Depth=3
	v_cmp_lt_u32_e32 vcc_lo, 0xffffff, v95
	v_sub_nc_u32_e32 v93, v104, v105
	v_cndmask_b32_e64 v104, 0, 1, vcc_lo
	v_add_co_ci_u32_e64 v93, null, 0, v93, vcc_lo
	v_lshrrev_b32_e32 v95, v104, v95
; %bb.1853:                             ;   in Loop: Header=BB2_1557 Depth=3
	s_andn2_saveexec_b32 s17, s17
; %bb.1854:                             ;   in Loop: Header=BB2_1557 Depth=3
	v_bfe_u32 v93, v95, 23, 1
; %bb.1855:                             ;   in Loop: Header=BB2_1557 Depth=3
	s_or_b32 exec_lo, exec_lo, s17
	v_lshrrev_b32_e32 v95, 21, v95
	v_min_i32_e32 v104, 31, v93
	v_cmp_gt_i32_e32 vcc_lo, 32, v93
	v_and_b32_sdwa v94, v94, v101 dst_sel:DWORD dst_unused:UNUSED_PAD src0_sel:BYTE_3 src1_sel:DWORD
	v_lshlrev_b32_e32 v104, 2, v104
	v_cndmask_b32_e32 v95, 3, v95, vcc_lo
	v_and_b32_e32 v104, 0xfc, v104
	v_and_b32_e32 v105, 3, v95
	v_or_b32_e32 v93, v93, v95
	v_or3_b32 v94, v104, v94, v105
	v_cmp_ne_u32_e32 vcc_lo, 0, v93
	v_cndmask_b32_e32 v93, 0, v94, vcc_lo
.LBB2_1856:                             ;   in Loop: Header=BB2_1557 Depth=3
	s_or_b32 exec_lo, exec_lo, s22
.LBB2_1857:                             ;   in Loop: Header=BB2_1557 Depth=3
	s_or_b32 exec_lo, exec_lo, s18
	v_cmp_gt_i16_sdwa s18, v15, v100 src0_sel:BYTE_3 src1_sel:DWORD
	s_mov_b32 s17, 0
	s_and_saveexec_b32 s22, s18
	s_xor_b32 s18, exec_lo, s22
	s_cbranch_execz .LBB2_1940
; %bb.1858:                             ;   in Loop: Header=BB2_1557 Depth=3
	v_cmp_eq_u16_sdwa s23, v15, v101 src0_sel:BYTE_3 src1_sel:DWORD
	s_mov_b32 s17, -1
	s_and_saveexec_b32 s22, s23
; %bb.1859:                             ;   in Loop: Header=BB2_1557 Depth=3
	s_xor_b32 s17, exec_lo, -1
; %bb.1860:                             ;   in Loop: Header=BB2_1557 Depth=3
	s_or_b32 exec_lo, exec_lo, s22
	s_and_b32 s17, s17, exec_lo
	s_or_saveexec_b32 s18, s18
	v_mov_b32_e32 v94, 0x7f800001
	s_xor_b32 exec_lo, exec_lo, s18
	s_cbranch_execnz .LBB2_1941
.LBB2_1861:                             ;   in Loop: Header=BB2_1557 Depth=3
	s_or_b32 exec_lo, exec_lo, s18
	s_and_saveexec_b32 s18, s17
	s_cbranch_execz .LBB2_1863
.LBB2_1862:                             ;   in Loop: Header=BB2_1557 Depth=3
	v_bfe_u32 v94, v15, 24, 2
	v_bfe_u32 v105, v15, 26, 5
	v_ffbh_u32_e32 v95, v94
	v_cmp_eq_u32_e32 vcc_lo, 0, v105
	v_min_u32_e32 v95, 32, v95
	v_subrev_nc_u32_e32 v104, 29, v95
	v_sub_nc_u32_e32 v95, 30, v95
	v_lshlrev_b32_sdwa v104, v104, v15 dst_sel:DWORD dst_unused:UNUSED_PAD src0_sel:DWORD src1_sel:BYTE_3
	v_cndmask_b32_e32 v95, v105, v95, vcc_lo
	v_and_b32_e32 v15, 0x80000000, v15
	v_and_b32_e32 v104, 3, v104
	v_lshl_add_u32 v95, v95, 23, 0x37800000
	v_cndmask_b32_e32 v94, v94, v104, vcc_lo
	v_lshlrev_b32_e32 v94, 21, v94
	v_or3_b32 v94, v15, v95, v94
.LBB2_1863:                             ;   in Loop: Header=BB2_1557 Depth=3
	s_or_b32 exec_lo, exec_lo, s18
	v_cmp_gt_i16_sdwa s18, v11, v100 src0_sel:BYTE_3 src1_sel:DWORD
	s_mov_b32 s17, 0
	s_and_saveexec_b32 s22, s18
	s_xor_b32 s18, exec_lo, s22
	s_cbranch_execz .LBB2_1942
; %bb.1864:                             ;   in Loop: Header=BB2_1557 Depth=3
	v_cmp_eq_u16_sdwa s23, v11, v101 src0_sel:BYTE_3 src1_sel:DWORD
	s_mov_b32 s17, -1
	s_and_saveexec_b32 s22, s23
; %bb.1865:                             ;   in Loop: Header=BB2_1557 Depth=3
	s_xor_b32 s17, exec_lo, -1
; %bb.1866:                             ;   in Loop: Header=BB2_1557 Depth=3
	s_or_b32 exec_lo, exec_lo, s22
	s_and_b32 s17, s17, exec_lo
	s_or_saveexec_b32 s18, s18
	v_mov_b32_e32 v15, 0x7f800001
	s_xor_b32 exec_lo, exec_lo, s18
	s_cbranch_execnz .LBB2_1943
.LBB2_1867:                             ;   in Loop: Header=BB2_1557 Depth=3
	s_or_b32 exec_lo, exec_lo, s18
	s_and_saveexec_b32 s18, s17
	s_cbranch_execz .LBB2_1869
.LBB2_1868:                             ;   in Loop: Header=BB2_1557 Depth=3
	v_and_b32_sdwa v15, v11, v113 dst_sel:DWORD dst_unused:UNUSED_PAD src0_sel:BYTE_3 src1_sel:DWORD
	v_bfe_u32 v105, v11, 26, 5
	v_ffbh_u32_e32 v95, v15
	v_cmp_eq_u32_e32 vcc_lo, 0, v105
	v_min_u32_e32 v95, 32, v95
	v_subrev_nc_u32_e32 v104, 29, v95
	v_sub_nc_u32_e32 v95, 30, v95
	v_lshlrev_b32_sdwa v104, v104, v11 dst_sel:DWORD dst_unused:UNUSED_PAD src0_sel:DWORD src1_sel:BYTE_3
	v_cndmask_b32_e32 v95, v105, v95, vcc_lo
	v_and_b32_e32 v11, 0x80000000, v11
	v_and_b32_e32 v104, 3, v104
	v_lshl_add_u32 v95, v95, 23, 0x37800000
	v_cndmask_b32_e32 v15, v15, v104, vcc_lo
	v_lshlrev_b32_e32 v15, 21, v15
	v_or3_b32 v15, v11, v95, v15
.LBB2_1869:                             ;   in Loop: Header=BB2_1557 Depth=3
	s_or_b32 exec_lo, exec_lo, s18
	v_mul_f32_e32 v11, v94, v15
	v_and_b32_e32 v15, 0x7f800000, v11
	v_cmp_ne_u32_e32 vcc_lo, 0x7f800000, v15
	v_mov_b32_e32 v15, 0x8000
	s_and_saveexec_b32 s18, vcc_lo
	s_cbranch_execz .LBB2_1877
; %bb.1870:                             ;   in Loop: Header=BB2_1557 Depth=3
	v_mov_b32_e32 v15, 0
	s_mov_b32 s22, exec_lo
	v_cmpx_ne_u32_e32 0, v11
	s_cbranch_execz .LBB2_1876
; %bb.1871:                             ;   in Loop: Header=BB2_1557 Depth=3
	v_bfe_u32 v15, v11, 23, 8
	v_and_b32_e32 v94, 0x7fffff, v11
	v_sub_nc_u32_e32 v95, 0x70, v15
	v_cmp_gt_u32_e32 vcc_lo, 0x71, v15
	v_or_b32_e32 v104, 0x800000, v94
	v_cndmask_b32_e32 v95, 0, v95, vcc_lo
	v_cmp_eq_u32_e32 vcc_lo, 0, v15
	v_add_nc_u32_e32 v15, 0xffffff91, v15
	v_cndmask_b32_e64 v95, v95, 0x6f, vcc_lo
	v_cndmask_b32_e32 v94, v104, v94, vcc_lo
	v_cndmask_b32_e64 v15, v15, 0xffffff92, vcc_lo
	v_lshl_add_u32 v104, 0x200000, v95, -1
	v_lshrrev_b32_e32 v105, v95, v94
	v_lshlrev_b32_e64 v107, v95, 0x100000
	v_add_nc_u32_e32 v95, v95, v15
	v_and_b32_e32 v94, v104, v94
	v_bfe_u32 v106, v105, 21, 1
	v_cmp_eq_u32_e64 s17, v94, v107
	v_add_nc_u32_e32 v104, -1, v106
	v_cndmask_b32_e64 v94, 0, v104, s17
	v_lshrrev_b32_e32 v104, 23, v105
	s_mov_b32 s17, exec_lo
	v_add_nc_u32_e32 v94, v94, v105
	v_xor_b32_e32 v104, 1, v104
	v_and_b32_e32 v15, 0x1fffff, v94
	v_add_nc_u32_e32 v94, v15, v105
                                        ; implicit-def: $vgpr15
	v_cmpx_ne_u32_e64 v95, v104
	s_xor_b32 s17, exec_lo, s17
; %bb.1872:                             ;   in Loop: Header=BB2_1557 Depth=3
	v_cmp_lt_u32_e32 vcc_lo, 0xffffff, v94
	v_sub_nc_u32_e32 v15, v95, v104
	v_cndmask_b32_e64 v95, 0, 1, vcc_lo
	v_add_co_ci_u32_e64 v15, null, 0, v15, vcc_lo
	v_lshrrev_b32_e32 v94, v95, v94
; %bb.1873:                             ;   in Loop: Header=BB2_1557 Depth=3
	s_andn2_saveexec_b32 s17, s17
; %bb.1874:                             ;   in Loop: Header=BB2_1557 Depth=3
	v_bfe_u32 v15, v94, 23, 1
; %bb.1875:                             ;   in Loop: Header=BB2_1557 Depth=3
	s_or_b32 exec_lo, exec_lo, s17
	v_lshrrev_b32_e32 v94, 21, v94
	v_min_i32_e32 v95, 31, v15
	v_cmp_gt_i32_e32 vcc_lo, 32, v15
	v_and_b32_sdwa v11, v11, v101 dst_sel:DWORD dst_unused:UNUSED_PAD src0_sel:BYTE_3 src1_sel:DWORD
	v_lshlrev_b32_e32 v95, 2, v95
	v_cndmask_b32_e32 v94, 3, v94, vcc_lo
	v_and_b32_e32 v95, 0xfc, v95
	v_and_b32_e32 v104, 3, v94
	v_or_b32_e32 v15, v15, v94
	v_or3_b32 v11, v11, v95, v104
	v_cmp_ne_u32_e32 vcc_lo, 0, v15
	v_lshlrev_b32_e32 v11, 8, v11
	v_cndmask_b32_e32 v15, 0, v11, vcc_lo
.LBB2_1876:                             ;   in Loop: Header=BB2_1557 Depth=3
	s_or_b32 exec_lo, exec_lo, s22
.LBB2_1877:                             ;   in Loop: Header=BB2_1557 Depth=3
	s_or_b32 exec_lo, exec_lo, s18
	v_or_b32_sdwa v9, v9, v89 dst_sel:WORD_1 dst_unused:UNUSED_PAD src0_sel:DWORD src1_sel:DWORD
	v_or_b32_sdwa v8, v8, v79 dst_sel:WORD_1 dst_unused:UNUSED_PAD src0_sel:DWORD src1_sel:DWORD
	;; [unrolled: 1-line block ×4, first 2 shown]
	s_mov_b64 s[22:23], 0
	v_or3_b32 v9, v88, v12, v9
	v_or3_b32 v8, v78, v77, v8
	;; [unrolled: 1-line block ×4, first 2 shown]
	s_mov_b32 s73, -1
	.p2align	6
.LBB2_1878:                             ;   Parent Loop BB2_47 Depth=1
                                        ;     Parent Loop BB2_1479 Depth=2
                                        ;       Parent Loop BB2_1557 Depth=3
                                        ; =>      This Inner Loop Header: Depth=4
	s_cmp_eq_u32 s22, 1
	s_cselect_b32 vcc_lo, -1, 0
	s_cmp_eq_u32 s22, 0
	v_cndmask_b32_e32 v12, v73, v75, vcc_lo
	v_cndmask_b32_e32 v13, v74, v76, vcc_lo
	s_mov_b64 s[22:23], 1
	v_add_co_u32 v14, s17, 0x200, v12
	v_add_co_ci_u32_e64 v15, null, 0, v13, s17
	s_cselect_b32 s17, -1, 0
	v_cndmask_b32_e32 v75, v75, v14, vcc_lo
	v_cndmask_b32_e64 v73, v73, v14, s17
	v_cndmask_b32_e32 v76, v76, v15, vcc_lo
	v_cndmask_b32_e64 v74, v74, v15, s17
	s_and_b32 s18, exec_lo, s73
	s_mov_b32 s73, 0
	s_mov_b32 vcc_lo, s18
	global_store_dwordx4 v[12:13], v[8:11], off glc slc
	s_cbranch_vccnz .LBB2_1878
; %bb.1879:                             ;   in Loop: Header=BB2_1557 Depth=3
	v_add_co_u32 v70, vcc_lo, v70, v56
	v_sub_nc_u32_e32 v62, v62, v116
	v_add_co_ci_u32_e64 v71, null, v71, v57, vcc_lo
	v_add_co_u32 v80, vcc_lo, v80, v56
	v_add_co_ci_u32_e64 v81, null, v81, v57, vcc_lo
	v_add_co_u32 v73, vcc_lo, v73, v40
	v_add_co_ci_u32_e64 v74, null, v74, v43, vcc_lo
	v_cmp_gt_i32_e32 vcc_lo, 16, v62
	v_add_co_u32 v75, s17, v75, v40
	v_add_co_ci_u32_e64 v76, null, v76, v43, s17
	v_sub_nc_u32_e32 v72, v72, v87
	s_or_b32 s72, vcc_lo, s72
	s_andn2_b32 exec_lo, exec_lo, s72
	s_cbranch_execnz .LBB2_1557
	s_branch .LBB2_1944
.LBB2_1880:                             ;   in Loop: Header=BB2_1557 Depth=3
	s_or_saveexec_b32 s18, s18
	v_mov_b32_e32 v77, 0x7f800001
	s_xor_b32 exec_lo, exec_lo, s18
	s_cbranch_execz .LBB2_1561
.LBB2_1881:                             ;   in Loop: Header=BB2_1557 Depth=3
	v_cmp_ne_u16_sdwa s22, v12, v2 src0_sel:BYTE_0 src1_sel:DWORD
	v_mov_b32_e32 v77, 0
	s_andn2_b32 s17, s17, exec_lo
	s_and_b32 s22, s22, exec_lo
	s_or_b32 s17, s17, s22
	s_or_b32 exec_lo, exec_lo, s18
	s_and_saveexec_b32 s18, s17
	s_cbranch_execnz .LBB2_1562
	s_branch .LBB2_1563
.LBB2_1882:                             ;   in Loop: Header=BB2_1557 Depth=3
	s_or_saveexec_b32 s18, s18
	v_mov_b32_e32 v78, 0x7f800001
	s_xor_b32 exec_lo, exec_lo, s18
	s_cbranch_execz .LBB2_1567
.LBB2_1883:                             ;   in Loop: Header=BB2_1557 Depth=3
	v_cmp_ne_u16_sdwa s22, v8, v2 src0_sel:BYTE_0 src1_sel:DWORD
	v_mov_b32_e32 v78, 0
	s_andn2_b32 s17, s17, exec_lo
	s_and_b32 s22, s22, exec_lo
	s_or_b32 s17, s17, s22
	s_or_b32 exec_lo, exec_lo, s18
	s_and_saveexec_b32 s18, s17
	s_cbranch_execnz .LBB2_1568
	s_branch .LBB2_1569
.LBB2_1884:                             ;   in Loop: Header=BB2_1557 Depth=3
	s_or_saveexec_b32 s18, s18
	v_mov_b32_e32 v78, 0x7f800001
	s_xor_b32 exec_lo, exec_lo, s18
	s_cbranch_execz .LBB2_1581
.LBB2_1885:                             ;   in Loop: Header=BB2_1557 Depth=3
	v_cmp_ne_u16_sdwa s22, v12, v2 src0_sel:BYTE_1 src1_sel:DWORD
	v_mov_b32_e32 v78, 0
	s_andn2_b32 s17, s17, exec_lo
	s_and_b32 s22, s22, exec_lo
	s_or_b32 s17, s17, s22
	s_or_b32 exec_lo, exec_lo, s18
	s_and_saveexec_b32 s18, s17
	s_cbranch_execnz .LBB2_1582
	s_branch .LBB2_1583
.LBB2_1886:                             ;   in Loop: Header=BB2_1557 Depth=3
	s_or_saveexec_b32 s18, s18
	v_mov_b32_e32 v79, 0x7f800001
	s_xor_b32 exec_lo, exec_lo, s18
	s_cbranch_execz .LBB2_1587
.LBB2_1887:                             ;   in Loop: Header=BB2_1557 Depth=3
	v_cmp_ne_u16_sdwa s22, v8, v2 src0_sel:BYTE_1 src1_sel:DWORD
	v_mov_b32_e32 v79, 0
	s_andn2_b32 s17, s17, exec_lo
	s_and_b32 s22, s22, exec_lo
	s_or_b32 s17, s17, s22
	s_or_b32 exec_lo, exec_lo, s18
	s_and_saveexec_b32 s18, s17
	s_cbranch_execnz .LBB2_1588
	s_branch .LBB2_1589
.LBB2_1888:                             ;   in Loop: Header=BB2_1557 Depth=3
	s_or_saveexec_b32 s18, s18
	v_mov_b32_e32 v79, 0x7f800001
	s_xor_b32 exec_lo, exec_lo, s18
	s_cbranch_execz .LBB2_1601
.LBB2_1889:                             ;   in Loop: Header=BB2_1557 Depth=3
	v_cmp_ne_u16_e32 vcc_lo, 0, v88
	v_mov_b32_e32 v79, 0
	s_andn2_b32 s17, s17, exec_lo
	s_and_b32 s22, vcc_lo, exec_lo
	s_or_b32 s17, s17, s22
	s_or_b32 exec_lo, exec_lo, s18
	s_and_saveexec_b32 s18, s17
	s_cbranch_execnz .LBB2_1602
	s_branch .LBB2_1603
.LBB2_1890:                             ;   in Loop: Header=BB2_1557 Depth=3
	s_or_saveexec_b32 s18, s18
	v_mov_b32_e32 v88, 0x7f800001
	s_xor_b32 exec_lo, exec_lo, s18
	s_cbranch_execz .LBB2_1607
.LBB2_1891:                             ;   in Loop: Header=BB2_1557 Depth=3
	v_cmp_ne_u16_e32 vcc_lo, 0, v89
	v_mov_b32_e32 v88, 0
	s_andn2_b32 s17, s17, exec_lo
	s_and_b32 s22, vcc_lo, exec_lo
	s_or_b32 s17, s17, s22
	s_or_b32 exec_lo, exec_lo, s18
	s_and_saveexec_b32 s18, s17
	s_cbranch_execnz .LBB2_1608
	s_branch .LBB2_1609
.LBB2_1892:                             ;   in Loop: Header=BB2_1557 Depth=3
	s_or_saveexec_b32 s18, s18
	v_mov_b32_e32 v88, 0x7f800001
	s_xor_b32 exec_lo, exec_lo, s18
	s_cbranch_execz .LBB2_1621
.LBB2_1893:                             ;   in Loop: Header=BB2_1557 Depth=3
	v_cmp_ne_u16_sdwa s22, v12, v2 src0_sel:BYTE_3 src1_sel:DWORD
	v_mov_b32_e32 v88, 0
	s_andn2_b32 s17, s17, exec_lo
	s_and_b32 s22, s22, exec_lo
	s_or_b32 s17, s17, s22
	s_or_b32 exec_lo, exec_lo, s18
	s_and_saveexec_b32 s18, s17
	s_cbranch_execnz .LBB2_1622
	s_branch .LBB2_1623
.LBB2_1894:                             ;   in Loop: Header=BB2_1557 Depth=3
	s_or_saveexec_b32 s18, s18
	v_mov_b32_e32 v12, 0x7f800001
	s_xor_b32 exec_lo, exec_lo, s18
	s_cbranch_execz .LBB2_1627
.LBB2_1895:                             ;   in Loop: Header=BB2_1557 Depth=3
	v_cmp_ne_u16_sdwa s22, v8, v2 src0_sel:BYTE_3 src1_sel:DWORD
	v_mov_b32_e32 v12, 0
	s_andn2_b32 s17, s17, exec_lo
	s_and_b32 s22, s22, exec_lo
	s_or_b32 s17, s17, s22
	s_or_b32 exec_lo, exec_lo, s18
	s_and_saveexec_b32 s18, s17
	s_cbranch_execnz .LBB2_1628
	s_branch .LBB2_1629
.LBB2_1896:                             ;   in Loop: Header=BB2_1557 Depth=3
	s_or_saveexec_b32 s18, s18
	v_mov_b32_e32 v12, 0x7f800001
	s_xor_b32 exec_lo, exec_lo, s18
	s_cbranch_execz .LBB2_1641
.LBB2_1897:                             ;   in Loop: Header=BB2_1557 Depth=3
	v_cmp_ne_u16_sdwa s22, v13, v2 src0_sel:BYTE_0 src1_sel:DWORD
	v_mov_b32_e32 v12, 0
	s_andn2_b32 s17, s17, exec_lo
	s_and_b32 s22, s22, exec_lo
	s_or_b32 s17, s17, s22
	s_or_b32 exec_lo, exec_lo, s18
	s_and_saveexec_b32 s18, s17
	s_cbranch_execnz .LBB2_1642
	s_branch .LBB2_1643
.LBB2_1898:                             ;   in Loop: Header=BB2_1557 Depth=3
	s_or_saveexec_b32 s18, s18
	v_mov_b32_e32 v88, 0x7f800001
	s_xor_b32 exec_lo, exec_lo, s18
	s_cbranch_execz .LBB2_1647
.LBB2_1899:                             ;   in Loop: Header=BB2_1557 Depth=3
	v_cmp_ne_u16_sdwa s22, v9, v2 src0_sel:BYTE_0 src1_sel:DWORD
	v_mov_b32_e32 v88, 0
	s_andn2_b32 s17, s17, exec_lo
	s_and_b32 s22, s22, exec_lo
	s_or_b32 s17, s17, s22
	s_or_b32 exec_lo, exec_lo, s18
	s_and_saveexec_b32 s18, s17
	s_cbranch_execnz .LBB2_1648
	s_branch .LBB2_1649
.LBB2_1900:                             ;   in Loop: Header=BB2_1557 Depth=3
	s_or_saveexec_b32 s18, s18
	v_mov_b32_e32 v88, 0x7f800001
	s_xor_b32 exec_lo, exec_lo, s18
	s_cbranch_execz .LBB2_1661
.LBB2_1901:                             ;   in Loop: Header=BB2_1557 Depth=3
	v_cmp_ne_u16_sdwa s22, v13, v2 src0_sel:BYTE_1 src1_sel:DWORD
	v_mov_b32_e32 v88, 0
	s_andn2_b32 s17, s17, exec_lo
	s_and_b32 s22, s22, exec_lo
	s_or_b32 s17, s17, s22
	s_or_b32 exec_lo, exec_lo, s18
	s_and_saveexec_b32 s18, s17
	s_cbranch_execnz .LBB2_1662
	s_branch .LBB2_1663
.LBB2_1902:                             ;   in Loop: Header=BB2_1557 Depth=3
	s_or_saveexec_b32 s18, s18
	v_mov_b32_e32 v89, 0x7f800001
	s_xor_b32 exec_lo, exec_lo, s18
	s_cbranch_execz .LBB2_1667
.LBB2_1903:                             ;   in Loop: Header=BB2_1557 Depth=3
	v_cmp_ne_u16_sdwa s22, v9, v2 src0_sel:BYTE_1 src1_sel:DWORD
	v_mov_b32_e32 v89, 0
	s_andn2_b32 s17, s17, exec_lo
	s_and_b32 s22, s22, exec_lo
	s_or_b32 s17, s17, s22
	s_or_b32 exec_lo, exec_lo, s18
	s_and_saveexec_b32 s18, s17
	s_cbranch_execnz .LBB2_1668
	s_branch .LBB2_1669
.LBB2_1904:                             ;   in Loop: Header=BB2_1557 Depth=3
	s_or_saveexec_b32 s18, s18
	v_mov_b32_e32 v89, 0x7f800001
	s_xor_b32 exec_lo, exec_lo, s18
	s_cbranch_execz .LBB2_1681
.LBB2_1905:                             ;   in Loop: Header=BB2_1557 Depth=3
	v_cmp_ne_u16_e32 vcc_lo, 0, v90
	v_mov_b32_e32 v89, 0
	s_andn2_b32 s17, s17, exec_lo
	s_and_b32 s22, vcc_lo, exec_lo
	s_or_b32 s17, s17, s22
	s_or_b32 exec_lo, exec_lo, s18
	s_and_saveexec_b32 s18, s17
	s_cbranch_execnz .LBB2_1682
	s_branch .LBB2_1683
.LBB2_1906:                             ;   in Loop: Header=BB2_1557 Depth=3
	s_or_saveexec_b32 s18, s18
	v_mov_b32_e32 v90, 0x7f800001
	s_xor_b32 exec_lo, exec_lo, s18
	s_cbranch_execz .LBB2_1687
.LBB2_1907:                             ;   in Loop: Header=BB2_1557 Depth=3
	v_cmp_ne_u16_e32 vcc_lo, 0, v91
	v_mov_b32_e32 v90, 0
	s_andn2_b32 s17, s17, exec_lo
	s_and_b32 s22, vcc_lo, exec_lo
	s_or_b32 s17, s17, s22
	s_or_b32 exec_lo, exec_lo, s18
	s_and_saveexec_b32 s18, s17
	s_cbranch_execnz .LBB2_1688
	s_branch .LBB2_1689
.LBB2_1908:                             ;   in Loop: Header=BB2_1557 Depth=3
	s_or_saveexec_b32 s18, s18
	v_mov_b32_e32 v90, 0x7f800001
	s_xor_b32 exec_lo, exec_lo, s18
	s_cbranch_execz .LBB2_1701
.LBB2_1909:                             ;   in Loop: Header=BB2_1557 Depth=3
	v_cmp_ne_u16_sdwa s22, v13, v2 src0_sel:BYTE_3 src1_sel:DWORD
	v_mov_b32_e32 v90, 0
	s_andn2_b32 s17, s17, exec_lo
	s_and_b32 s22, s22, exec_lo
	s_or_b32 s17, s17, s22
	s_or_b32 exec_lo, exec_lo, s18
	s_and_saveexec_b32 s18, s17
	s_cbranch_execnz .LBB2_1702
	s_branch .LBB2_1703
.LBB2_1910:                             ;   in Loop: Header=BB2_1557 Depth=3
	s_or_saveexec_b32 s18, s18
	v_mov_b32_e32 v13, 0x7f800001
	s_xor_b32 exec_lo, exec_lo, s18
	s_cbranch_execz .LBB2_1707
.LBB2_1911:                             ;   in Loop: Header=BB2_1557 Depth=3
	v_cmp_ne_u16_sdwa s22, v9, v2 src0_sel:BYTE_3 src1_sel:DWORD
	v_mov_b32_e32 v13, 0
	s_andn2_b32 s17, s17, exec_lo
	s_and_b32 s22, s22, exec_lo
	s_or_b32 s17, s17, s22
	s_or_b32 exec_lo, exec_lo, s18
	s_and_saveexec_b32 s18, s17
	s_cbranch_execnz .LBB2_1708
	s_branch .LBB2_1709
.LBB2_1912:                             ;   in Loop: Header=BB2_1557 Depth=3
	s_or_saveexec_b32 s18, s18
	v_mov_b32_e32 v13, 0x7f800001
	s_xor_b32 exec_lo, exec_lo, s18
	s_cbranch_execz .LBB2_1721
.LBB2_1913:                             ;   in Loop: Header=BB2_1557 Depth=3
	v_cmp_ne_u16_sdwa s22, v14, v2 src0_sel:BYTE_0 src1_sel:DWORD
	v_mov_b32_e32 v13, 0
	s_andn2_b32 s17, s17, exec_lo
	s_and_b32 s22, s22, exec_lo
	s_or_b32 s17, s17, s22
	s_or_b32 exec_lo, exec_lo, s18
	s_and_saveexec_b32 s18, s17
	s_cbranch_execnz .LBB2_1722
	s_branch .LBB2_1723
.LBB2_1914:                             ;   in Loop: Header=BB2_1557 Depth=3
	s_or_saveexec_b32 s18, s18
	v_mov_b32_e32 v90, 0x7f800001
	s_xor_b32 exec_lo, exec_lo, s18
	s_cbranch_execz .LBB2_1727
.LBB2_1915:                             ;   in Loop: Header=BB2_1557 Depth=3
	v_cmp_ne_u16_sdwa s22, v10, v2 src0_sel:BYTE_0 src1_sel:DWORD
	v_mov_b32_e32 v90, 0
	s_andn2_b32 s17, s17, exec_lo
	s_and_b32 s22, s22, exec_lo
	s_or_b32 s17, s17, s22
	s_or_b32 exec_lo, exec_lo, s18
	s_and_saveexec_b32 s18, s17
	s_cbranch_execnz .LBB2_1728
	s_branch .LBB2_1729
.LBB2_1916:                             ;   in Loop: Header=BB2_1557 Depth=3
	s_or_saveexec_b32 s18, s18
	v_mov_b32_e32 v90, 0x7f800001
	s_xor_b32 exec_lo, exec_lo, s18
	s_cbranch_execz .LBB2_1741
.LBB2_1917:                             ;   in Loop: Header=BB2_1557 Depth=3
	v_cmp_ne_u16_sdwa s22, v14, v2 src0_sel:BYTE_1 src1_sel:DWORD
	v_mov_b32_e32 v90, 0
	s_andn2_b32 s17, s17, exec_lo
	s_and_b32 s22, s22, exec_lo
	s_or_b32 s17, s17, s22
	s_or_b32 exec_lo, exec_lo, s18
	s_and_saveexec_b32 s18, s17
	s_cbranch_execnz .LBB2_1742
	s_branch .LBB2_1743
.LBB2_1918:                             ;   in Loop: Header=BB2_1557 Depth=3
	s_or_saveexec_b32 s18, s18
	v_mov_b32_e32 v91, 0x7f800001
	s_xor_b32 exec_lo, exec_lo, s18
	s_cbranch_execz .LBB2_1747
.LBB2_1919:                             ;   in Loop: Header=BB2_1557 Depth=3
	v_cmp_ne_u16_sdwa s22, v10, v2 src0_sel:BYTE_1 src1_sel:DWORD
	v_mov_b32_e32 v91, 0
	s_andn2_b32 s17, s17, exec_lo
	s_and_b32 s22, s22, exec_lo
	s_or_b32 s17, s17, s22
	s_or_b32 exec_lo, exec_lo, s18
	s_and_saveexec_b32 s18, s17
	s_cbranch_execnz .LBB2_1748
	s_branch .LBB2_1749
.LBB2_1920:                             ;   in Loop: Header=BB2_1557 Depth=3
	s_or_saveexec_b32 s18, s18
	v_mov_b32_e32 v91, 0x7f800001
	s_xor_b32 exec_lo, exec_lo, s18
	s_cbranch_execz .LBB2_1761
.LBB2_1921:                             ;   in Loop: Header=BB2_1557 Depth=3
	v_cmp_ne_u16_e32 vcc_lo, 0, v92
	v_mov_b32_e32 v91, 0
	s_andn2_b32 s17, s17, exec_lo
	s_and_b32 s22, vcc_lo, exec_lo
	s_or_b32 s17, s17, s22
	s_or_b32 exec_lo, exec_lo, s18
	s_and_saveexec_b32 s18, s17
	s_cbranch_execnz .LBB2_1762
	s_branch .LBB2_1763
.LBB2_1922:                             ;   in Loop: Header=BB2_1557 Depth=3
	s_or_saveexec_b32 s18, s18
	v_mov_b32_e32 v92, 0x7f800001
	s_xor_b32 exec_lo, exec_lo, s18
	s_cbranch_execz .LBB2_1767
.LBB2_1923:                             ;   in Loop: Header=BB2_1557 Depth=3
	v_cmp_ne_u16_e32 vcc_lo, 0, v93
	v_mov_b32_e32 v92, 0
	s_andn2_b32 s17, s17, exec_lo
	s_and_b32 s22, vcc_lo, exec_lo
	s_or_b32 s17, s17, s22
	s_or_b32 exec_lo, exec_lo, s18
	s_and_saveexec_b32 s18, s17
	s_cbranch_execnz .LBB2_1768
	s_branch .LBB2_1769
.LBB2_1924:                             ;   in Loop: Header=BB2_1557 Depth=3
	s_or_saveexec_b32 s18, s18
	v_mov_b32_e32 v92, 0x7f800001
	s_xor_b32 exec_lo, exec_lo, s18
	s_cbranch_execz .LBB2_1781
.LBB2_1925:                             ;   in Loop: Header=BB2_1557 Depth=3
	v_cmp_ne_u16_sdwa s22, v14, v2 src0_sel:BYTE_3 src1_sel:DWORD
	v_mov_b32_e32 v92, 0
	s_andn2_b32 s17, s17, exec_lo
	s_and_b32 s22, s22, exec_lo
	s_or_b32 s17, s17, s22
	s_or_b32 exec_lo, exec_lo, s18
	s_and_saveexec_b32 s18, s17
	s_cbranch_execnz .LBB2_1782
	s_branch .LBB2_1783
.LBB2_1926:                             ;   in Loop: Header=BB2_1557 Depth=3
	s_or_saveexec_b32 s18, s18
	v_mov_b32_e32 v14, 0x7f800001
	s_xor_b32 exec_lo, exec_lo, s18
	s_cbranch_execz .LBB2_1787
.LBB2_1927:                             ;   in Loop: Header=BB2_1557 Depth=3
	v_cmp_ne_u16_sdwa s22, v10, v2 src0_sel:BYTE_3 src1_sel:DWORD
	v_mov_b32_e32 v14, 0
	s_andn2_b32 s17, s17, exec_lo
	s_and_b32 s22, s22, exec_lo
	s_or_b32 s17, s17, s22
	s_or_b32 exec_lo, exec_lo, s18
	s_and_saveexec_b32 s18, s17
	s_cbranch_execnz .LBB2_1788
	s_branch .LBB2_1789
.LBB2_1928:                             ;   in Loop: Header=BB2_1557 Depth=3
	s_or_saveexec_b32 s18, s18
	v_mov_b32_e32 v14, 0x7f800001
	s_xor_b32 exec_lo, exec_lo, s18
	s_cbranch_execz .LBB2_1801
.LBB2_1929:                             ;   in Loop: Header=BB2_1557 Depth=3
	v_cmp_ne_u16_sdwa s22, v15, v2 src0_sel:BYTE_0 src1_sel:DWORD
	v_mov_b32_e32 v14, 0
	s_andn2_b32 s17, s17, exec_lo
	s_and_b32 s22, s22, exec_lo
	s_or_b32 s17, s17, s22
	s_or_b32 exec_lo, exec_lo, s18
	s_and_saveexec_b32 s18, s17
	s_cbranch_execnz .LBB2_1802
	s_branch .LBB2_1803
.LBB2_1930:                             ;   in Loop: Header=BB2_1557 Depth=3
	s_or_saveexec_b32 s18, s18
	v_mov_b32_e32 v92, 0x7f800001
	s_xor_b32 exec_lo, exec_lo, s18
	s_cbranch_execz .LBB2_1807
.LBB2_1931:                             ;   in Loop: Header=BB2_1557 Depth=3
	v_cmp_ne_u16_sdwa s22, v11, v2 src0_sel:BYTE_0 src1_sel:DWORD
	v_mov_b32_e32 v92, 0
	s_andn2_b32 s17, s17, exec_lo
	s_and_b32 s22, s22, exec_lo
	s_or_b32 s17, s17, s22
	s_or_b32 exec_lo, exec_lo, s18
	s_and_saveexec_b32 s18, s17
	s_cbranch_execnz .LBB2_1808
	s_branch .LBB2_1809
.LBB2_1932:                             ;   in Loop: Header=BB2_1557 Depth=3
	s_or_saveexec_b32 s18, s18
	v_mov_b32_e32 v92, 0x7f800001
	s_xor_b32 exec_lo, exec_lo, s18
	s_cbranch_execz .LBB2_1821
.LBB2_1933:                             ;   in Loop: Header=BB2_1557 Depth=3
	v_cmp_ne_u16_sdwa s22, v15, v2 src0_sel:BYTE_1 src1_sel:DWORD
	v_mov_b32_e32 v92, 0
	s_andn2_b32 s17, s17, exec_lo
	s_and_b32 s22, s22, exec_lo
	s_or_b32 s17, s17, s22
	s_or_b32 exec_lo, exec_lo, s18
	s_and_saveexec_b32 s18, s17
	s_cbranch_execnz .LBB2_1822
	s_branch .LBB2_1823
.LBB2_1934:                             ;   in Loop: Header=BB2_1557 Depth=3
	s_or_saveexec_b32 s18, s18
	v_mov_b32_e32 v93, 0x7f800001
	s_xor_b32 exec_lo, exec_lo, s18
	s_cbranch_execz .LBB2_1827
.LBB2_1935:                             ;   in Loop: Header=BB2_1557 Depth=3
	v_cmp_ne_u16_sdwa s22, v11, v2 src0_sel:BYTE_1 src1_sel:DWORD
	v_mov_b32_e32 v93, 0
	s_andn2_b32 s17, s17, exec_lo
	s_and_b32 s22, s22, exec_lo
	s_or_b32 s17, s17, s22
	s_or_b32 exec_lo, exec_lo, s18
	s_and_saveexec_b32 s18, s17
	s_cbranch_execnz .LBB2_1828
	s_branch .LBB2_1829
.LBB2_1936:                             ;   in Loop: Header=BB2_1557 Depth=3
	s_or_saveexec_b32 s18, s18
	v_mov_b32_e32 v93, 0x7f800001
	s_xor_b32 exec_lo, exec_lo, s18
	s_cbranch_execz .LBB2_1841
.LBB2_1937:                             ;   in Loop: Header=BB2_1557 Depth=3
	v_cmp_ne_u16_e32 vcc_lo, 0, v94
	v_mov_b32_e32 v93, 0
	s_andn2_b32 s17, s17, exec_lo
	s_and_b32 s22, vcc_lo, exec_lo
	s_or_b32 s17, s17, s22
	s_or_b32 exec_lo, exec_lo, s18
	s_and_saveexec_b32 s18, s17
	s_cbranch_execnz .LBB2_1842
	s_branch .LBB2_1843
.LBB2_1938:                             ;   in Loop: Header=BB2_1557 Depth=3
	s_or_saveexec_b32 s18, s18
	v_mov_b32_e32 v94, 0x7f800001
	s_xor_b32 exec_lo, exec_lo, s18
	s_cbranch_execz .LBB2_1847
.LBB2_1939:                             ;   in Loop: Header=BB2_1557 Depth=3
	v_cmp_ne_u16_e32 vcc_lo, 0, v95
	v_mov_b32_e32 v94, 0
	s_andn2_b32 s17, s17, exec_lo
	s_and_b32 s22, vcc_lo, exec_lo
	s_or_b32 s17, s17, s22
	s_or_b32 exec_lo, exec_lo, s18
	s_and_saveexec_b32 s18, s17
	s_cbranch_execnz .LBB2_1848
	s_branch .LBB2_1849
.LBB2_1940:                             ;   in Loop: Header=BB2_1557 Depth=3
	s_or_saveexec_b32 s18, s18
	v_mov_b32_e32 v94, 0x7f800001
	s_xor_b32 exec_lo, exec_lo, s18
	s_cbranch_execz .LBB2_1861
.LBB2_1941:                             ;   in Loop: Header=BB2_1557 Depth=3
	v_cmp_ne_u16_sdwa s22, v15, v2 src0_sel:BYTE_3 src1_sel:DWORD
	v_mov_b32_e32 v94, 0
	s_andn2_b32 s17, s17, exec_lo
	s_and_b32 s22, s22, exec_lo
	s_or_b32 s17, s17, s22
	s_or_b32 exec_lo, exec_lo, s18
	s_and_saveexec_b32 s18, s17
	s_cbranch_execnz .LBB2_1862
	s_branch .LBB2_1863
.LBB2_1942:                             ;   in Loop: Header=BB2_1557 Depth=3
	s_or_saveexec_b32 s18, s18
	v_mov_b32_e32 v15, 0x7f800001
	s_xor_b32 exec_lo, exec_lo, s18
	s_cbranch_execz .LBB2_1867
.LBB2_1943:                             ;   in Loop: Header=BB2_1557 Depth=3
	v_cmp_ne_u16_sdwa s22, v11, v2 src0_sel:BYTE_3 src1_sel:DWORD
	v_mov_b32_e32 v15, 0
	s_andn2_b32 s17, s17, exec_lo
	s_and_b32 s22, s22, exec_lo
	s_or_b32 s17, s17, s22
	s_or_b32 exec_lo, exec_lo, s18
	s_and_saveexec_b32 s18, s17
	s_cbranch_execnz .LBB2_1868
	s_branch .LBB2_1869
.LBB2_1944:                             ;   in Loop: Header=BB2_1479 Depth=2
	s_or_b32 exec_lo, exec_lo, s72
.LBB2_1945:                             ;   in Loop: Header=BB2_1479 Depth=2
	s_or_b32 exec_lo, exec_lo, s19
	v_and_b32_e32 v9, 15, v55
	v_mov_b32_e32 v70, 0
	s_mov_b32 s17, 0
	s_mov_b32 s19, exec_lo
                                        ; implicit-def: $vgpr71
                                        ; implicit-def: $vgpr80
                                        ; implicit-def: $vgpr8
	v_cndmask_b32_e64 v62, v63, v9, s16
	v_cmpx_ne_u32_e32 0, v62
	s_cbranch_execz .LBB2_2339
; %bb.1946:                             ;   in Loop: Header=BB2_1479 Depth=2
	v_cmp_lt_i32_e32 vcc_lo, 0, v72
	v_ashrrev_i32_e32 v11, 31, v62
	v_sub_nc_u32_e32 v9, v63, v9
	s_mov_b32 s72, exec_lo
	v_cndmask_b32_e32 v8, 0, v87, vcc_lo
	v_lshrrev_b32_e32 v11, 23, v11
	v_cndmask_b32_e64 v9, 0, v9, s16
	v_sub_nc_u32_e32 v8, v8, v72
	v_add_nc_u32_e32 v11, v62, v11
	v_add_nc_u32_e32 v61, v9, v61
	v_lshl_add_u32 v8, v8, 5, v46
	v_and_b32_e32 v72, 0xfffffe00, v11
	v_ashrrev_i32_e32 v11, 9, v11
	v_ashrrev_i32_e32 v10, 31, v8
	v_sub_nc_u32_e32 v63, v62, v72
	v_lshrrev_b32_e32 v10, 27, v10
	v_cmp_lt_i32_e64 s16, 15, v63
	v_add_nc_u32_e32 v10, v8, v10
	v_add_co_ci_u32_e64 v11, null, 0, v11, s16
	v_and_b32_e32 v12, 0xffffffe0, v10
	v_ashrrev_i32_e32 v10, 5, v10
	v_sub_nc_u32_e32 v73, v8, v12
	v_sub_nc_u32_e32 v74, v11, v10
	v_lshlrev_b32_e32 v8, 4, v73
	v_lshl_add_u32 v8, v10, 9, v8
	v_sub_nc_u32_e32 v75, v62, v8
	v_cmpx_lt_i32_e32 15, v75
	s_cbranch_execz .LBB2_2336
; %bb.1947:                             ;   in Loop: Header=BB2_1479 Depth=2
	s_trap 2
	ds_read_b64 v[9:10], v0
	v_add_nc_u32_e32 v8, v8, v61
	s_mov_b32 s73, 0
	v_ashrrev_i32_e32 v11, 31, v8
	v_add_co_u32 v76, vcc_lo, v8, v66
	v_add_co_ci_u32_e64 v77, null, v11, v67, vcc_lo
	v_add_co_u32 v78, vcc_lo, v8, v68
	v_add_co_ci_u32_e64 v79, null, v11, v69, vcc_lo
	;; [unrolled: 2-line block ×3, first 2 shown]
	s_waitcnt lgkmcnt(0)
	v_add_co_u32 v80, vcc_lo, v9, v8
	v_add_co_ci_u32_e64 v81, null, v10, v11, vcc_lo
.LBB2_1948:                             ;   Parent Loop BB2_47 Depth=1
                                        ;     Parent Loop BB2_1479 Depth=2
                                        ; =>    This Loop Header: Depth=3
                                        ;         Child Loop BB2_2269 Depth 4
	global_load_dwordx4 v[12:15], v[70:71], off slc
	global_load_dwordx4 v[8:11], v[80:81], off slc
	s_mov_b32 s17, 0
	s_waitcnt vmcnt(1)
	v_cmp_gt_i16_sdwa s18, v12, v100 src0_sel:BYTE_0 src1_sel:DWORD
	s_and_saveexec_b32 s22, s18
	s_xor_b32 s18, exec_lo, s22
	s_cbranch_execz .LBB2_2271
; %bb.1949:                             ;   in Loop: Header=BB2_1948 Depth=3
	v_cmp_eq_u16_sdwa s23, v12, v101 src0_sel:BYTE_0 src1_sel:DWORD
	s_mov_b32 s17, -1
	s_and_saveexec_b32 s22, s23
; %bb.1950:                             ;   in Loop: Header=BB2_1948 Depth=3
	s_xor_b32 s17, exec_lo, -1
; %bb.1951:                             ;   in Loop: Header=BB2_1948 Depth=3
	s_or_b32 exec_lo, exec_lo, s22
	s_and_b32 s17, s17, exec_lo
	s_or_saveexec_b32 s18, s18
	v_mov_b32_e32 v88, 0x7f800001
	s_xor_b32 exec_lo, exec_lo, s18
	s_cbranch_execnz .LBB2_2272
.LBB2_1952:                             ;   in Loop: Header=BB2_1948 Depth=3
	s_or_b32 exec_lo, exec_lo, s18
	s_and_saveexec_b32 s18, s17
	s_cbranch_execz .LBB2_1954
.LBB2_1953:                             ;   in Loop: Header=BB2_1948 Depth=3
	v_and_b32_e32 v88, 3, v12
	v_bfe_u32 v91, v12, 2, 5
	v_lshlrev_b32_e32 v92, 24, v12
	v_ffbh_u32_e32 v89, v88
	v_cmp_eq_u32_e32 vcc_lo, 0, v91
	v_min_u32_e32 v89, 32, v89
	v_subrev_nc_u32_e32 v90, 29, v89
	v_sub_nc_u32_e32 v89, 30, v89
	v_lshlrev_b32_e32 v90, v90, v12
	v_cndmask_b32_e32 v89, v91, v89, vcc_lo
	v_and_b32_e32 v90, 3, v90
	v_lshl_add_u32 v89, v89, 23, 0x37800000
	v_cndmask_b32_e32 v88, v88, v90, vcc_lo
	v_and_b32_e32 v90, 0x80000000, v92
	v_lshlrev_b32_e32 v88, 21, v88
	v_or3_b32 v88, v90, v89, v88
.LBB2_1954:                             ;   in Loop: Header=BB2_1948 Depth=3
	s_or_b32 exec_lo, exec_lo, s18
	s_waitcnt vmcnt(0)
	v_cmp_gt_i16_sdwa s18, v8, v100 src0_sel:BYTE_0 src1_sel:DWORD
	s_mov_b32 s17, 0
	s_and_saveexec_b32 s22, s18
	s_xor_b32 s18, exec_lo, s22
	s_cbranch_execz .LBB2_2273
; %bb.1955:                             ;   in Loop: Header=BB2_1948 Depth=3
	v_cmp_eq_u16_sdwa s23, v8, v101 src0_sel:BYTE_0 src1_sel:DWORD
	s_mov_b32 s17, -1
	s_and_saveexec_b32 s22, s23
; %bb.1956:                             ;   in Loop: Header=BB2_1948 Depth=3
	s_xor_b32 s17, exec_lo, -1
; %bb.1957:                             ;   in Loop: Header=BB2_1948 Depth=3
	s_or_b32 exec_lo, exec_lo, s22
	s_and_b32 s17, s17, exec_lo
	s_or_saveexec_b32 s18, s18
	v_mov_b32_e32 v89, 0x7f800001
	s_xor_b32 exec_lo, exec_lo, s18
	s_cbranch_execnz .LBB2_2274
.LBB2_1958:                             ;   in Loop: Header=BB2_1948 Depth=3
	s_or_b32 exec_lo, exec_lo, s18
	s_and_saveexec_b32 s18, s17
	s_cbranch_execz .LBB2_1960
.LBB2_1959:                             ;   in Loop: Header=BB2_1948 Depth=3
	v_and_b32_e32 v89, 3, v8
	v_bfe_u32 v92, v8, 2, 5
	v_lshlrev_b32_e32 v93, 24, v8
	v_ffbh_u32_e32 v90, v89
	v_cmp_eq_u32_e32 vcc_lo, 0, v92
	v_min_u32_e32 v90, 32, v90
	v_subrev_nc_u32_e32 v91, 29, v90
	v_sub_nc_u32_e32 v90, 30, v90
	v_lshlrev_b32_e32 v91, v91, v8
	v_cndmask_b32_e32 v90, v92, v90, vcc_lo
	v_and_b32_e32 v91, 3, v91
	v_lshl_add_u32 v90, v90, 23, 0x37800000
	v_cndmask_b32_e32 v89, v89, v91, vcc_lo
	v_and_b32_e32 v91, 0x80000000, v93
	v_lshlrev_b32_e32 v89, 21, v89
	v_or3_b32 v89, v91, v90, v89
.LBB2_1960:                             ;   in Loop: Header=BB2_1948 Depth=3
	s_or_b32 exec_lo, exec_lo, s18
	v_mul_f32_e32 v89, v88, v89
	v_and_b32_e32 v88, 0x7f800000, v89
	v_cmp_ne_u32_e32 vcc_lo, 0x7f800000, v88
	v_mov_b32_e32 v88, 0x80
	s_and_saveexec_b32 s18, vcc_lo
	s_cbranch_execz .LBB2_1968
; %bb.1961:                             ;   in Loop: Header=BB2_1948 Depth=3
	v_mov_b32_e32 v88, 0
	s_mov_b32 s22, exec_lo
	v_cmpx_ne_u32_e32 0, v89
	s_cbranch_execz .LBB2_1967
; %bb.1962:                             ;   in Loop: Header=BB2_1948 Depth=3
	v_bfe_u32 v88, v89, 23, 8
	v_and_b32_e32 v90, 0x7fffff, v89
	v_sub_nc_u32_e32 v91, 0x70, v88
	v_cmp_gt_u32_e32 vcc_lo, 0x71, v88
	v_or_b32_e32 v92, 0x800000, v90
	v_cndmask_b32_e32 v91, 0, v91, vcc_lo
	v_cmp_eq_u32_e32 vcc_lo, 0, v88
	v_add_nc_u32_e32 v88, 0xffffff91, v88
	v_cndmask_b32_e64 v91, v91, 0x6f, vcc_lo
	v_cndmask_b32_e32 v90, v92, v90, vcc_lo
	v_cndmask_b32_e64 v88, v88, 0xffffff92, vcc_lo
	v_lshl_add_u32 v92, 0x200000, v91, -1
	v_lshrrev_b32_e32 v93, v91, v90
	v_lshlrev_b32_e64 v95, v91, 0x100000
	v_add_nc_u32_e32 v91, v91, v88
	v_and_b32_e32 v90, v92, v90
	v_bfe_u32 v94, v93, 21, 1
	v_cmp_eq_u32_e64 s17, v90, v95
	v_add_nc_u32_e32 v92, -1, v94
	v_cndmask_b32_e64 v90, 0, v92, s17
	v_lshrrev_b32_e32 v92, 23, v93
	s_mov_b32 s17, exec_lo
	v_add_nc_u32_e32 v90, v90, v93
	v_xor_b32_e32 v92, 1, v92
	v_and_b32_e32 v88, 0x1fffff, v90
	v_add_nc_u32_e32 v90, v88, v93
                                        ; implicit-def: $vgpr88
	v_cmpx_ne_u32_e64 v91, v92
	s_xor_b32 s17, exec_lo, s17
; %bb.1963:                             ;   in Loop: Header=BB2_1948 Depth=3
	v_cmp_lt_u32_e32 vcc_lo, 0xffffff, v90
	v_sub_nc_u32_e32 v88, v91, v92
	v_cndmask_b32_e64 v91, 0, 1, vcc_lo
	v_add_co_ci_u32_e64 v88, null, 0, v88, vcc_lo
	v_lshrrev_b32_e32 v90, v91, v90
; %bb.1964:                             ;   in Loop: Header=BB2_1948 Depth=3
	s_andn2_saveexec_b32 s17, s17
; %bb.1965:                             ;   in Loop: Header=BB2_1948 Depth=3
	v_bfe_u32 v88, v90, 23, 1
; %bb.1966:                             ;   in Loop: Header=BB2_1948 Depth=3
	s_or_b32 exec_lo, exec_lo, s17
	v_lshrrev_b32_e32 v90, 21, v90
	v_min_i32_e32 v91, 31, v88
	v_cmp_gt_i32_e32 vcc_lo, 32, v88
	v_and_b32_sdwa v89, v89, v101 dst_sel:DWORD dst_unused:UNUSED_PAD src0_sel:BYTE_3 src1_sel:DWORD
	v_lshlrev_b32_e32 v91, 2, v91
	v_cndmask_b32_e32 v90, 3, v90, vcc_lo
	v_and_b32_e32 v91, 0xfc, v91
	v_and_b32_e32 v92, 3, v90
	v_or_b32_e32 v88, v88, v90
	v_or3_b32 v89, v91, v89, v92
	v_cmp_ne_u32_e32 vcc_lo, 0, v88
	v_cndmask_b32_e32 v88, 0, v89, vcc_lo
.LBB2_1967:                             ;   in Loop: Header=BB2_1948 Depth=3
	s_or_b32 exec_lo, exec_lo, s22
.LBB2_1968:                             ;   in Loop: Header=BB2_1948 Depth=3
	s_or_b32 exec_lo, exec_lo, s18
	v_cmp_gt_i16_sdwa s18, v12, v100 src0_sel:BYTE_1 src1_sel:DWORD
	s_mov_b32 s17, 0
	s_and_saveexec_b32 s22, s18
	s_xor_b32 s18, exec_lo, s22
	s_cbranch_execz .LBB2_2275
; %bb.1969:                             ;   in Loop: Header=BB2_1948 Depth=3
	v_cmp_eq_u16_sdwa s23, v12, v101 src0_sel:BYTE_1 src1_sel:DWORD
	s_mov_b32 s17, -1
	s_and_saveexec_b32 s22, s23
; %bb.1970:                             ;   in Loop: Header=BB2_1948 Depth=3
	s_xor_b32 s17, exec_lo, -1
; %bb.1971:                             ;   in Loop: Header=BB2_1948 Depth=3
	s_or_b32 exec_lo, exec_lo, s22
	s_and_b32 s17, s17, exec_lo
	s_or_saveexec_b32 s18, s18
	v_mov_b32_e32 v89, 0x7f800001
	s_xor_b32 exec_lo, exec_lo, s18
	s_cbranch_execnz .LBB2_2276
.LBB2_1972:                             ;   in Loop: Header=BB2_1948 Depth=3
	s_or_b32 exec_lo, exec_lo, s18
	s_and_saveexec_b32 s18, s17
	s_cbranch_execz .LBB2_1974
.LBB2_1973:                             ;   in Loop: Header=BB2_1948 Depth=3
	v_and_b32_sdwa v89, v102, v12 dst_sel:DWORD dst_unused:UNUSED_PAD src0_sel:DWORD src1_sel:BYTE_1
	v_and_b32_e32 v90, 3, v89
	v_bfe_u32 v93, v89, 2, 5
	v_ffbh_u32_e32 v91, v90
	v_cmp_eq_u32_e32 vcc_lo, 0, v93
	v_min_u32_e32 v91, 32, v91
	v_subrev_nc_u32_e32 v92, 29, v91
	v_sub_nc_u32_e32 v91, 30, v91
	v_lshlrev_b32_e32 v89, v92, v89
	v_lshlrev_b32_sdwa v92, v103, v12 dst_sel:DWORD dst_unused:UNUSED_PAD src0_sel:DWORD src1_sel:BYTE_1
	v_cndmask_b32_e32 v91, v93, v91, vcc_lo
	v_and_b32_e32 v89, 3, v89
	v_lshl_add_u32 v91, v91, 23, 0x37800000
	v_cndmask_b32_e32 v89, v90, v89, vcc_lo
	v_and_b32_e32 v90, 0x80000000, v92
	v_lshlrev_b32_e32 v89, 21, v89
	v_or3_b32 v89, v90, v91, v89
.LBB2_1974:                             ;   in Loop: Header=BB2_1948 Depth=3
	s_or_b32 exec_lo, exec_lo, s18
	v_cmp_gt_i16_sdwa s18, v8, v100 src0_sel:BYTE_1 src1_sel:DWORD
	s_mov_b32 s17, 0
	s_and_saveexec_b32 s22, s18
	s_xor_b32 s18, exec_lo, s22
	s_cbranch_execz .LBB2_2277
; %bb.1975:                             ;   in Loop: Header=BB2_1948 Depth=3
	v_cmp_eq_u16_sdwa s23, v8, v101 src0_sel:BYTE_1 src1_sel:DWORD
	s_mov_b32 s17, -1
	s_and_saveexec_b32 s22, s23
; %bb.1976:                             ;   in Loop: Header=BB2_1948 Depth=3
	s_xor_b32 s17, exec_lo, -1
; %bb.1977:                             ;   in Loop: Header=BB2_1948 Depth=3
	s_or_b32 exec_lo, exec_lo, s22
	s_and_b32 s17, s17, exec_lo
	s_or_saveexec_b32 s18, s18
	v_mov_b32_e32 v90, 0x7f800001
	s_xor_b32 exec_lo, exec_lo, s18
	s_cbranch_execnz .LBB2_2278
.LBB2_1978:                             ;   in Loop: Header=BB2_1948 Depth=3
	s_or_b32 exec_lo, exec_lo, s18
	s_and_saveexec_b32 s18, s17
	s_cbranch_execz .LBB2_1980
.LBB2_1979:                             ;   in Loop: Header=BB2_1948 Depth=3
	v_and_b32_sdwa v90, v102, v8 dst_sel:DWORD dst_unused:UNUSED_PAD src0_sel:DWORD src1_sel:BYTE_1
	v_and_b32_e32 v91, 3, v90
	v_bfe_u32 v94, v90, 2, 5
	v_ffbh_u32_e32 v92, v91
	v_cmp_eq_u32_e32 vcc_lo, 0, v94
	v_min_u32_e32 v92, 32, v92
	v_subrev_nc_u32_e32 v93, 29, v92
	v_sub_nc_u32_e32 v92, 30, v92
	v_lshlrev_b32_e32 v90, v93, v90
	v_lshlrev_b32_sdwa v93, v103, v8 dst_sel:DWORD dst_unused:UNUSED_PAD src0_sel:DWORD src1_sel:BYTE_1
	v_cndmask_b32_e32 v92, v94, v92, vcc_lo
	v_and_b32_e32 v90, 3, v90
	v_lshl_add_u32 v92, v92, 23, 0x37800000
	v_cndmask_b32_e32 v90, v91, v90, vcc_lo
	v_and_b32_e32 v91, 0x80000000, v93
	v_lshlrev_b32_e32 v90, 21, v90
	v_or3_b32 v90, v91, v92, v90
.LBB2_1980:                             ;   in Loop: Header=BB2_1948 Depth=3
	s_or_b32 exec_lo, exec_lo, s18
	v_mul_f32_e32 v90, v89, v90
	v_and_b32_e32 v89, 0x7f800000, v90
	v_cmp_ne_u32_e32 vcc_lo, 0x7f800000, v89
	v_mov_b32_e32 v89, 0x8000
	s_and_saveexec_b32 s18, vcc_lo
	s_cbranch_execz .LBB2_1988
; %bb.1981:                             ;   in Loop: Header=BB2_1948 Depth=3
	v_mov_b32_e32 v89, 0
	s_mov_b32 s22, exec_lo
	v_cmpx_ne_u32_e32 0, v90
	s_cbranch_execz .LBB2_1987
; %bb.1982:                             ;   in Loop: Header=BB2_1948 Depth=3
	v_bfe_u32 v89, v90, 23, 8
	v_and_b32_e32 v91, 0x7fffff, v90
	v_sub_nc_u32_e32 v92, 0x70, v89
	v_cmp_gt_u32_e32 vcc_lo, 0x71, v89
	v_or_b32_e32 v93, 0x800000, v91
	v_cndmask_b32_e32 v92, 0, v92, vcc_lo
	v_cmp_eq_u32_e32 vcc_lo, 0, v89
	v_add_nc_u32_e32 v89, 0xffffff91, v89
	v_cndmask_b32_e64 v92, v92, 0x6f, vcc_lo
	v_cndmask_b32_e32 v91, v93, v91, vcc_lo
	v_cndmask_b32_e64 v89, v89, 0xffffff92, vcc_lo
	v_lshl_add_u32 v93, 0x200000, v92, -1
	v_lshrrev_b32_e32 v94, v92, v91
	v_lshlrev_b32_e64 v104, v92, 0x100000
	v_add_nc_u32_e32 v92, v92, v89
	v_and_b32_e32 v91, v93, v91
	v_bfe_u32 v95, v94, 21, 1
	v_cmp_eq_u32_e64 s17, v91, v104
	v_add_nc_u32_e32 v93, -1, v95
	v_cndmask_b32_e64 v91, 0, v93, s17
	v_lshrrev_b32_e32 v93, 23, v94
	s_mov_b32 s17, exec_lo
	v_add_nc_u32_e32 v91, v91, v94
	v_xor_b32_e32 v93, 1, v93
	v_and_b32_e32 v89, 0x1fffff, v91
	v_add_nc_u32_e32 v91, v89, v94
                                        ; implicit-def: $vgpr89
	v_cmpx_ne_u32_e64 v92, v93
	s_xor_b32 s17, exec_lo, s17
; %bb.1983:                             ;   in Loop: Header=BB2_1948 Depth=3
	v_cmp_lt_u32_e32 vcc_lo, 0xffffff, v91
	v_sub_nc_u32_e32 v89, v92, v93
	v_cndmask_b32_e64 v92, 0, 1, vcc_lo
	v_add_co_ci_u32_e64 v89, null, 0, v89, vcc_lo
	v_lshrrev_b32_e32 v91, v92, v91
; %bb.1984:                             ;   in Loop: Header=BB2_1948 Depth=3
	s_andn2_saveexec_b32 s17, s17
; %bb.1985:                             ;   in Loop: Header=BB2_1948 Depth=3
	v_bfe_u32 v89, v91, 23, 1
; %bb.1986:                             ;   in Loop: Header=BB2_1948 Depth=3
	s_or_b32 exec_lo, exec_lo, s17
	v_lshrrev_b32_e32 v91, 21, v91
	v_min_i32_e32 v92, 31, v89
	v_cmp_gt_i32_e32 vcc_lo, 32, v89
	v_and_b32_sdwa v90, v90, v101 dst_sel:DWORD dst_unused:UNUSED_PAD src0_sel:BYTE_3 src1_sel:DWORD
	v_lshlrev_b32_e32 v92, 2, v92
	v_cndmask_b32_e32 v91, 3, v91, vcc_lo
	v_and_b32_e32 v92, 0xfc, v92
	v_and_b32_e32 v93, 3, v91
	v_or_b32_e32 v89, v89, v91
	v_or3_b32 v90, v90, v92, v93
	v_cmp_ne_u32_e32 vcc_lo, 0, v89
	v_lshlrev_b32_e32 v90, 8, v90
	v_cndmask_b32_e32 v89, 0, v90, vcc_lo
.LBB2_1987:                             ;   in Loop: Header=BB2_1948 Depth=3
	s_or_b32 exec_lo, exec_lo, s22
.LBB2_1988:                             ;   in Loop: Header=BB2_1948 Depth=3
	s_or_b32 exec_lo, exec_lo, s18
	v_and_b32_sdwa v91, v12, v112 dst_sel:DWORD dst_unused:UNUSED_PAD src0_sel:WORD_1 src1_sel:DWORD
	s_mov_b32 s17, 0
	s_mov_b32 s18, exec_lo
	v_cmpx_lt_i16_e32 0x7f, v91
	s_xor_b32 s18, exec_lo, s18
	s_cbranch_execz .LBB2_2279
; %bb.1989:                             ;   in Loop: Header=BB2_1948 Depth=3
	s_mov_b32 s17, -1
	s_mov_b32 s22, exec_lo
	v_cmpx_eq_u16_e32 0x80, v91
; %bb.1990:                             ;   in Loop: Header=BB2_1948 Depth=3
	s_xor_b32 s17, exec_lo, -1
; %bb.1991:                             ;   in Loop: Header=BB2_1948 Depth=3
	s_or_b32 exec_lo, exec_lo, s22
	s_and_b32 s17, s17, exec_lo
                                        ; implicit-def: $vgpr91
	s_or_saveexec_b32 s18, s18
	v_mov_b32_e32 v90, 0x7f800001
	s_xor_b32 exec_lo, exec_lo, s18
	s_cbranch_execnz .LBB2_2280
.LBB2_1992:                             ;   in Loop: Header=BB2_1948 Depth=3
	s_or_b32 exec_lo, exec_lo, s18
	s_and_saveexec_b32 s18, s17
	s_cbranch_execz .LBB2_1994
.LBB2_1993:                             ;   in Loop: Header=BB2_1948 Depth=3
	v_bfe_u32 v90, v12, 16, 2
	v_bfe_u32 v93, v12, 18, 5
	v_lshlrev_b32_e32 v94, 8, v12
	v_ffbh_u32_e32 v91, v90
	v_cmp_eq_u32_e32 vcc_lo, 0, v93
	v_min_u32_e32 v91, 32, v91
	v_subrev_nc_u32_e32 v92, 29, v91
	v_sub_nc_u32_e32 v91, 30, v91
	v_lshlrev_b32_sdwa v92, v92, v12 dst_sel:DWORD dst_unused:UNUSED_PAD src0_sel:DWORD src1_sel:WORD_1
	v_cndmask_b32_e32 v91, v93, v91, vcc_lo
	v_and_b32_e32 v92, 3, v92
	v_lshl_add_u32 v91, v91, 23, 0x37800000
	v_cndmask_b32_e32 v90, v90, v92, vcc_lo
	v_and_b32_e32 v92, 0x80000000, v94
	v_lshlrev_b32_e32 v90, 21, v90
	v_or3_b32 v90, v92, v91, v90
.LBB2_1994:                             ;   in Loop: Header=BB2_1948 Depth=3
	s_or_b32 exec_lo, exec_lo, s18
	v_and_b32_sdwa v92, v8, v112 dst_sel:DWORD dst_unused:UNUSED_PAD src0_sel:WORD_1 src1_sel:DWORD
	s_mov_b32 s17, 0
	s_mov_b32 s18, exec_lo
	v_cmpx_lt_i16_e32 0x7f, v92
	s_xor_b32 s18, exec_lo, s18
	s_cbranch_execz .LBB2_2281
; %bb.1995:                             ;   in Loop: Header=BB2_1948 Depth=3
	s_mov_b32 s17, -1
	s_mov_b32 s22, exec_lo
	v_cmpx_eq_u16_e32 0x80, v92
; %bb.1996:                             ;   in Loop: Header=BB2_1948 Depth=3
	s_xor_b32 s17, exec_lo, -1
; %bb.1997:                             ;   in Loop: Header=BB2_1948 Depth=3
	s_or_b32 exec_lo, exec_lo, s22
	s_and_b32 s17, s17, exec_lo
                                        ; implicit-def: $vgpr92
	s_or_saveexec_b32 s18, s18
	v_mov_b32_e32 v91, 0x7f800001
	s_xor_b32 exec_lo, exec_lo, s18
	s_cbranch_execnz .LBB2_2282
.LBB2_1998:                             ;   in Loop: Header=BB2_1948 Depth=3
	s_or_b32 exec_lo, exec_lo, s18
	s_and_saveexec_b32 s18, s17
	s_cbranch_execz .LBB2_2000
.LBB2_1999:                             ;   in Loop: Header=BB2_1948 Depth=3
	v_and_b32_sdwa v91, v8, v113 dst_sel:DWORD dst_unused:UNUSED_PAD src0_sel:WORD_1 src1_sel:DWORD
	v_bfe_u32 v94, v8, 18, 5
	v_lshlrev_b32_sdwa v95, v103, v8 dst_sel:DWORD dst_unused:UNUSED_PAD src0_sel:DWORD src1_sel:WORD_1
	v_ffbh_u32_e32 v92, v91
	v_cmp_eq_u32_e32 vcc_lo, 0, v94
	v_min_u32_e32 v92, 32, v92
	v_subrev_nc_u32_e32 v93, 29, v92
	v_sub_nc_u32_e32 v92, 30, v92
	v_lshlrev_b32_sdwa v93, v93, v8 dst_sel:DWORD dst_unused:UNUSED_PAD src0_sel:DWORD src1_sel:WORD_1
	v_cndmask_b32_e32 v92, v94, v92, vcc_lo
	v_and_b32_e32 v93, 3, v93
	v_lshl_add_u32 v92, v92, 23, 0x37800000
	v_cndmask_b32_e32 v91, v91, v93, vcc_lo
	v_and_b32_e32 v93, 0x80000000, v95
	v_lshlrev_b32_e32 v91, 21, v91
	v_or3_b32 v91, v93, v92, v91
.LBB2_2000:                             ;   in Loop: Header=BB2_1948 Depth=3
	s_or_b32 exec_lo, exec_lo, s18
	v_mul_f32_e32 v91, v90, v91
	v_and_b32_e32 v90, 0x7f800000, v91
	v_cmp_ne_u32_e32 vcc_lo, 0x7f800000, v90
	v_mov_b32_e32 v90, 0x80
	s_and_saveexec_b32 s18, vcc_lo
	s_cbranch_execz .LBB2_2008
; %bb.2001:                             ;   in Loop: Header=BB2_1948 Depth=3
	v_mov_b32_e32 v90, 0
	s_mov_b32 s22, exec_lo
	v_cmpx_ne_u32_e32 0, v91
	s_cbranch_execz .LBB2_2007
; %bb.2002:                             ;   in Loop: Header=BB2_1948 Depth=3
	v_bfe_u32 v90, v91, 23, 8
	v_and_b32_e32 v92, 0x7fffff, v91
	v_sub_nc_u32_e32 v93, 0x70, v90
	v_cmp_gt_u32_e32 vcc_lo, 0x71, v90
	v_or_b32_e32 v94, 0x800000, v92
	v_cndmask_b32_e32 v93, 0, v93, vcc_lo
	v_cmp_eq_u32_e32 vcc_lo, 0, v90
	v_add_nc_u32_e32 v90, 0xffffff91, v90
	v_cndmask_b32_e64 v93, v93, 0x6f, vcc_lo
	v_cndmask_b32_e32 v92, v94, v92, vcc_lo
	v_cndmask_b32_e64 v90, v90, 0xffffff92, vcc_lo
	v_lshl_add_u32 v94, 0x200000, v93, -1
	v_lshrrev_b32_e32 v95, v93, v92
	v_lshlrev_b32_e64 v105, v93, 0x100000
	v_add_nc_u32_e32 v93, v93, v90
	v_and_b32_e32 v92, v94, v92
	v_bfe_u32 v104, v95, 21, 1
	v_cmp_eq_u32_e64 s17, v92, v105
	v_add_nc_u32_e32 v94, -1, v104
	v_cndmask_b32_e64 v92, 0, v94, s17
	v_lshrrev_b32_e32 v94, 23, v95
	s_mov_b32 s17, exec_lo
	v_add_nc_u32_e32 v92, v92, v95
	v_xor_b32_e32 v94, 1, v94
	v_and_b32_e32 v90, 0x1fffff, v92
	v_add_nc_u32_e32 v92, v90, v95
                                        ; implicit-def: $vgpr90
	v_cmpx_ne_u32_e64 v93, v94
	s_xor_b32 s17, exec_lo, s17
; %bb.2003:                             ;   in Loop: Header=BB2_1948 Depth=3
	v_cmp_lt_u32_e32 vcc_lo, 0xffffff, v92
	v_sub_nc_u32_e32 v90, v93, v94
	v_cndmask_b32_e64 v93, 0, 1, vcc_lo
	v_add_co_ci_u32_e64 v90, null, 0, v90, vcc_lo
	v_lshrrev_b32_e32 v92, v93, v92
; %bb.2004:                             ;   in Loop: Header=BB2_1948 Depth=3
	s_andn2_saveexec_b32 s17, s17
; %bb.2005:                             ;   in Loop: Header=BB2_1948 Depth=3
	v_bfe_u32 v90, v92, 23, 1
; %bb.2006:                             ;   in Loop: Header=BB2_1948 Depth=3
	s_or_b32 exec_lo, exec_lo, s17
	v_lshrrev_b32_e32 v92, 21, v92
	v_min_i32_e32 v93, 31, v90
	v_cmp_gt_i32_e32 vcc_lo, 32, v90
	v_and_b32_sdwa v91, v91, v101 dst_sel:DWORD dst_unused:UNUSED_PAD src0_sel:BYTE_3 src1_sel:DWORD
	v_lshlrev_b32_e32 v93, 2, v93
	v_cndmask_b32_e32 v92, 3, v92, vcc_lo
	v_and_b32_e32 v93, 0xfc, v93
	v_and_b32_e32 v94, 3, v92
	v_or_b32_e32 v90, v90, v92
	v_or3_b32 v91, v93, v91, v94
	v_cmp_ne_u32_e32 vcc_lo, 0, v90
	v_cndmask_b32_e32 v90, 0, v91, vcc_lo
.LBB2_2007:                             ;   in Loop: Header=BB2_1948 Depth=3
	s_or_b32 exec_lo, exec_lo, s22
.LBB2_2008:                             ;   in Loop: Header=BB2_1948 Depth=3
	s_or_b32 exec_lo, exec_lo, s18
	v_cmp_gt_i16_sdwa s18, v12, v100 src0_sel:BYTE_3 src1_sel:DWORD
	s_mov_b32 s17, 0
	s_and_saveexec_b32 s22, s18
	s_xor_b32 s18, exec_lo, s22
	s_cbranch_execz .LBB2_2283
; %bb.2009:                             ;   in Loop: Header=BB2_1948 Depth=3
	v_cmp_eq_u16_sdwa s23, v12, v101 src0_sel:BYTE_3 src1_sel:DWORD
	s_mov_b32 s17, -1
	s_and_saveexec_b32 s22, s23
; %bb.2010:                             ;   in Loop: Header=BB2_1948 Depth=3
	s_xor_b32 s17, exec_lo, -1
; %bb.2011:                             ;   in Loop: Header=BB2_1948 Depth=3
	s_or_b32 exec_lo, exec_lo, s22
	s_and_b32 s17, s17, exec_lo
	s_or_saveexec_b32 s18, s18
	v_mov_b32_e32 v91, 0x7f800001
	s_xor_b32 exec_lo, exec_lo, s18
	s_cbranch_execnz .LBB2_2284
.LBB2_2012:                             ;   in Loop: Header=BB2_1948 Depth=3
	s_or_b32 exec_lo, exec_lo, s18
	s_and_saveexec_b32 s18, s17
	s_cbranch_execz .LBB2_2014
.LBB2_2013:                             ;   in Loop: Header=BB2_1948 Depth=3
	v_bfe_u32 v91, v12, 24, 2
	v_bfe_u32 v94, v12, 26, 5
	v_ffbh_u32_e32 v92, v91
	v_cmp_eq_u32_e32 vcc_lo, 0, v94
	v_min_u32_e32 v92, 32, v92
	v_subrev_nc_u32_e32 v93, 29, v92
	v_sub_nc_u32_e32 v92, 30, v92
	v_lshlrev_b32_sdwa v93, v93, v12 dst_sel:DWORD dst_unused:UNUSED_PAD src0_sel:DWORD src1_sel:BYTE_3
	v_cndmask_b32_e32 v92, v94, v92, vcc_lo
	v_and_b32_e32 v12, 0x80000000, v12
	v_and_b32_e32 v93, 3, v93
	v_lshl_add_u32 v92, v92, 23, 0x37800000
	v_cndmask_b32_e32 v91, v91, v93, vcc_lo
	v_lshlrev_b32_e32 v91, 21, v91
	v_or3_b32 v91, v12, v92, v91
.LBB2_2014:                             ;   in Loop: Header=BB2_1948 Depth=3
	s_or_b32 exec_lo, exec_lo, s18
	v_cmp_gt_i16_sdwa s18, v8, v100 src0_sel:BYTE_3 src1_sel:DWORD
	s_mov_b32 s17, 0
	s_and_saveexec_b32 s22, s18
	s_xor_b32 s18, exec_lo, s22
	s_cbranch_execz .LBB2_2285
; %bb.2015:                             ;   in Loop: Header=BB2_1948 Depth=3
	v_cmp_eq_u16_sdwa s23, v8, v101 src0_sel:BYTE_3 src1_sel:DWORD
	s_mov_b32 s17, -1
	s_and_saveexec_b32 s22, s23
; %bb.2016:                             ;   in Loop: Header=BB2_1948 Depth=3
	s_xor_b32 s17, exec_lo, -1
; %bb.2017:                             ;   in Loop: Header=BB2_1948 Depth=3
	s_or_b32 exec_lo, exec_lo, s22
	s_and_b32 s17, s17, exec_lo
	s_or_saveexec_b32 s18, s18
	v_mov_b32_e32 v12, 0x7f800001
	s_xor_b32 exec_lo, exec_lo, s18
	s_cbranch_execnz .LBB2_2286
.LBB2_2018:                             ;   in Loop: Header=BB2_1948 Depth=3
	s_or_b32 exec_lo, exec_lo, s18
	s_and_saveexec_b32 s18, s17
	s_cbranch_execz .LBB2_2020
.LBB2_2019:                             ;   in Loop: Header=BB2_1948 Depth=3
	v_and_b32_sdwa v12, v8, v113 dst_sel:DWORD dst_unused:UNUSED_PAD src0_sel:BYTE_3 src1_sel:DWORD
	v_bfe_u32 v94, v8, 26, 5
	v_ffbh_u32_e32 v92, v12
	v_cmp_eq_u32_e32 vcc_lo, 0, v94
	v_min_u32_e32 v92, 32, v92
	v_subrev_nc_u32_e32 v93, 29, v92
	v_sub_nc_u32_e32 v92, 30, v92
	v_lshlrev_b32_sdwa v93, v93, v8 dst_sel:DWORD dst_unused:UNUSED_PAD src0_sel:DWORD src1_sel:BYTE_3
	v_cndmask_b32_e32 v92, v94, v92, vcc_lo
	v_and_b32_e32 v8, 0x80000000, v8
	v_and_b32_e32 v93, 3, v93
	v_lshl_add_u32 v92, v92, 23, 0x37800000
	v_cndmask_b32_e32 v12, v12, v93, vcc_lo
	v_lshlrev_b32_e32 v12, 21, v12
	v_or3_b32 v12, v8, v92, v12
.LBB2_2020:                             ;   in Loop: Header=BB2_1948 Depth=3
	s_or_b32 exec_lo, exec_lo, s18
	v_mul_f32_e32 v12, v91, v12
	v_and_b32_e32 v8, 0x7f800000, v12
	v_cmp_ne_u32_e32 vcc_lo, 0x7f800000, v8
	v_mov_b32_e32 v8, 0x8000
	s_and_saveexec_b32 s18, vcc_lo
	s_cbranch_execz .LBB2_2028
; %bb.2021:                             ;   in Loop: Header=BB2_1948 Depth=3
	v_mov_b32_e32 v8, 0
	s_mov_b32 s22, exec_lo
	v_cmpx_ne_u32_e32 0, v12
	s_cbranch_execz .LBB2_2027
; %bb.2022:                             ;   in Loop: Header=BB2_1948 Depth=3
	v_bfe_u32 v8, v12, 23, 8
	v_and_b32_e32 v91, 0x7fffff, v12
	v_sub_nc_u32_e32 v92, 0x70, v8
	v_cmp_gt_u32_e32 vcc_lo, 0x71, v8
	v_or_b32_e32 v93, 0x800000, v91
	v_cndmask_b32_e32 v92, 0, v92, vcc_lo
	v_cmp_eq_u32_e32 vcc_lo, 0, v8
	v_add_nc_u32_e32 v8, 0xffffff91, v8
	v_cndmask_b32_e64 v92, v92, 0x6f, vcc_lo
	v_cndmask_b32_e32 v91, v93, v91, vcc_lo
	v_cndmask_b32_e64 v8, v8, 0xffffff92, vcc_lo
	v_lshl_add_u32 v93, 0x200000, v92, -1
	v_lshrrev_b32_e32 v94, v92, v91
	v_lshlrev_b32_e64 v104, v92, 0x100000
	v_add_nc_u32_e32 v92, v92, v8
	v_and_b32_e32 v91, v93, v91
	v_bfe_u32 v95, v94, 21, 1
	v_cmp_eq_u32_e64 s17, v91, v104
	v_add_nc_u32_e32 v93, -1, v95
	v_cndmask_b32_e64 v91, 0, v93, s17
	v_lshrrev_b32_e32 v93, 23, v94
	s_mov_b32 s17, exec_lo
	v_add_nc_u32_e32 v91, v91, v94
	v_xor_b32_e32 v93, 1, v93
	v_and_b32_e32 v8, 0x1fffff, v91
	v_add_nc_u32_e32 v91, v8, v94
                                        ; implicit-def: $vgpr8
	v_cmpx_ne_u32_e64 v92, v93
	s_xor_b32 s17, exec_lo, s17
; %bb.2023:                             ;   in Loop: Header=BB2_1948 Depth=3
	v_cmp_lt_u32_e32 vcc_lo, 0xffffff, v91
	v_sub_nc_u32_e32 v8, v92, v93
	v_cndmask_b32_e64 v92, 0, 1, vcc_lo
	v_add_co_ci_u32_e64 v8, null, 0, v8, vcc_lo
	v_lshrrev_b32_e32 v91, v92, v91
; %bb.2024:                             ;   in Loop: Header=BB2_1948 Depth=3
	s_andn2_saveexec_b32 s17, s17
; %bb.2025:                             ;   in Loop: Header=BB2_1948 Depth=3
	v_bfe_u32 v8, v91, 23, 1
; %bb.2026:                             ;   in Loop: Header=BB2_1948 Depth=3
	s_or_b32 exec_lo, exec_lo, s17
	v_lshrrev_b32_e32 v91, 21, v91
	v_min_i32_e32 v92, 31, v8
	v_cmp_gt_i32_e32 vcc_lo, 32, v8
	v_and_b32_sdwa v12, v12, v101 dst_sel:DWORD dst_unused:UNUSED_PAD src0_sel:BYTE_3 src1_sel:DWORD
	v_lshlrev_b32_e32 v92, 2, v92
	v_cndmask_b32_e32 v91, 3, v91, vcc_lo
	v_and_b32_e32 v92, 0xfc, v92
	v_and_b32_e32 v93, 3, v91
	v_or_b32_e32 v8, v8, v91
	v_or3_b32 v12, v12, v92, v93
	v_cmp_ne_u32_e32 vcc_lo, 0, v8
	v_lshlrev_b32_e32 v12, 8, v12
	v_cndmask_b32_e32 v8, 0, v12, vcc_lo
.LBB2_2027:                             ;   in Loop: Header=BB2_1948 Depth=3
	s_or_b32 exec_lo, exec_lo, s22
.LBB2_2028:                             ;   in Loop: Header=BB2_1948 Depth=3
	s_or_b32 exec_lo, exec_lo, s18
	v_cmp_gt_i16_sdwa s18, v13, v100 src0_sel:BYTE_0 src1_sel:DWORD
	s_mov_b32 s17, 0
	s_and_saveexec_b32 s22, s18
	s_xor_b32 s18, exec_lo, s22
	s_cbranch_execz .LBB2_2287
; %bb.2029:                             ;   in Loop: Header=BB2_1948 Depth=3
	v_cmp_eq_u16_sdwa s23, v13, v101 src0_sel:BYTE_0 src1_sel:DWORD
	s_mov_b32 s17, -1
	s_and_saveexec_b32 s22, s23
; %bb.2030:                             ;   in Loop: Header=BB2_1948 Depth=3
	s_xor_b32 s17, exec_lo, -1
; %bb.2031:                             ;   in Loop: Header=BB2_1948 Depth=3
	s_or_b32 exec_lo, exec_lo, s22
	s_and_b32 s17, s17, exec_lo
	s_or_saveexec_b32 s18, s18
	v_mov_b32_e32 v12, 0x7f800001
	s_xor_b32 exec_lo, exec_lo, s18
	s_cbranch_execnz .LBB2_2288
.LBB2_2032:                             ;   in Loop: Header=BB2_1948 Depth=3
	s_or_b32 exec_lo, exec_lo, s18
	s_and_saveexec_b32 s18, s17
	s_cbranch_execz .LBB2_2034
.LBB2_2033:                             ;   in Loop: Header=BB2_1948 Depth=3
	v_and_b32_e32 v12, 3, v13
	v_bfe_u32 v93, v13, 2, 5
	v_lshlrev_b32_e32 v94, 24, v13
	v_ffbh_u32_e32 v91, v12
	v_cmp_eq_u32_e32 vcc_lo, 0, v93
	v_min_u32_e32 v91, 32, v91
	v_subrev_nc_u32_e32 v92, 29, v91
	v_sub_nc_u32_e32 v91, 30, v91
	v_lshlrev_b32_e32 v92, v92, v13
	v_cndmask_b32_e32 v91, v93, v91, vcc_lo
	v_and_b32_e32 v92, 3, v92
	v_lshl_add_u32 v91, v91, 23, 0x37800000
	v_cndmask_b32_e32 v12, v12, v92, vcc_lo
	v_and_b32_e32 v92, 0x80000000, v94
	v_lshlrev_b32_e32 v12, 21, v12
	v_or3_b32 v12, v92, v91, v12
.LBB2_2034:                             ;   in Loop: Header=BB2_1948 Depth=3
	s_or_b32 exec_lo, exec_lo, s18
	v_cmp_gt_i16_sdwa s18, v9, v100 src0_sel:BYTE_0 src1_sel:DWORD
	s_mov_b32 s17, 0
	s_and_saveexec_b32 s22, s18
	s_xor_b32 s18, exec_lo, s22
	s_cbranch_execz .LBB2_2289
; %bb.2035:                             ;   in Loop: Header=BB2_1948 Depth=3
	v_cmp_eq_u16_sdwa s23, v9, v101 src0_sel:BYTE_0 src1_sel:DWORD
	s_mov_b32 s17, -1
	s_and_saveexec_b32 s22, s23
; %bb.2036:                             ;   in Loop: Header=BB2_1948 Depth=3
	s_xor_b32 s17, exec_lo, -1
; %bb.2037:                             ;   in Loop: Header=BB2_1948 Depth=3
	s_or_b32 exec_lo, exec_lo, s22
	s_and_b32 s17, s17, exec_lo
	s_or_saveexec_b32 s18, s18
	v_mov_b32_e32 v91, 0x7f800001
	s_xor_b32 exec_lo, exec_lo, s18
	s_cbranch_execnz .LBB2_2290
.LBB2_2038:                             ;   in Loop: Header=BB2_1948 Depth=3
	s_or_b32 exec_lo, exec_lo, s18
	s_and_saveexec_b32 s18, s17
	s_cbranch_execz .LBB2_2040
.LBB2_2039:                             ;   in Loop: Header=BB2_1948 Depth=3
	v_and_b32_e32 v91, 3, v9
	v_bfe_u32 v94, v9, 2, 5
	v_lshlrev_b32_e32 v95, 24, v9
	v_ffbh_u32_e32 v92, v91
	v_cmp_eq_u32_e32 vcc_lo, 0, v94
	v_min_u32_e32 v92, 32, v92
	v_subrev_nc_u32_e32 v93, 29, v92
	v_sub_nc_u32_e32 v92, 30, v92
	v_lshlrev_b32_e32 v93, v93, v9
	v_cndmask_b32_e32 v92, v94, v92, vcc_lo
	v_and_b32_e32 v93, 3, v93
	v_lshl_add_u32 v92, v92, 23, 0x37800000
	v_cndmask_b32_e32 v91, v91, v93, vcc_lo
	v_and_b32_e32 v93, 0x80000000, v95
	v_lshlrev_b32_e32 v91, 21, v91
	v_or3_b32 v91, v93, v92, v91
.LBB2_2040:                             ;   in Loop: Header=BB2_1948 Depth=3
	s_or_b32 exec_lo, exec_lo, s18
	v_mul_f32_e32 v91, v12, v91
	v_and_b32_e32 v12, 0x7f800000, v91
	v_cmp_ne_u32_e32 vcc_lo, 0x7f800000, v12
	v_mov_b32_e32 v12, 0x80
	s_and_saveexec_b32 s18, vcc_lo
	s_cbranch_execz .LBB2_2048
; %bb.2041:                             ;   in Loop: Header=BB2_1948 Depth=3
	v_mov_b32_e32 v12, 0
	s_mov_b32 s22, exec_lo
	v_cmpx_ne_u32_e32 0, v91
	s_cbranch_execz .LBB2_2047
; %bb.2042:                             ;   in Loop: Header=BB2_1948 Depth=3
	v_bfe_u32 v12, v91, 23, 8
	v_and_b32_e32 v92, 0x7fffff, v91
	v_sub_nc_u32_e32 v93, 0x70, v12
	v_cmp_gt_u32_e32 vcc_lo, 0x71, v12
	v_or_b32_e32 v94, 0x800000, v92
	v_cndmask_b32_e32 v93, 0, v93, vcc_lo
	v_cmp_eq_u32_e32 vcc_lo, 0, v12
	v_add_nc_u32_e32 v12, 0xffffff91, v12
	v_cndmask_b32_e64 v93, v93, 0x6f, vcc_lo
	v_cndmask_b32_e32 v92, v94, v92, vcc_lo
	v_cndmask_b32_e64 v12, v12, 0xffffff92, vcc_lo
	v_lshl_add_u32 v94, 0x200000, v93, -1
	v_lshrrev_b32_e32 v95, v93, v92
	v_lshlrev_b32_e64 v105, v93, 0x100000
	v_add_nc_u32_e32 v93, v93, v12
	v_and_b32_e32 v92, v94, v92
	v_bfe_u32 v104, v95, 21, 1
	v_cmp_eq_u32_e64 s17, v92, v105
	v_add_nc_u32_e32 v94, -1, v104
	v_cndmask_b32_e64 v92, 0, v94, s17
	v_lshrrev_b32_e32 v94, 23, v95
	s_mov_b32 s17, exec_lo
	v_add_nc_u32_e32 v92, v92, v95
	v_xor_b32_e32 v94, 1, v94
	v_and_b32_e32 v12, 0x1fffff, v92
	v_add_nc_u32_e32 v92, v12, v95
                                        ; implicit-def: $vgpr12
	v_cmpx_ne_u32_e64 v93, v94
	s_xor_b32 s17, exec_lo, s17
; %bb.2043:                             ;   in Loop: Header=BB2_1948 Depth=3
	v_cmp_lt_u32_e32 vcc_lo, 0xffffff, v92
	v_sub_nc_u32_e32 v12, v93, v94
	v_cndmask_b32_e64 v93, 0, 1, vcc_lo
	v_add_co_ci_u32_e64 v12, null, 0, v12, vcc_lo
	v_lshrrev_b32_e32 v92, v93, v92
; %bb.2044:                             ;   in Loop: Header=BB2_1948 Depth=3
	s_andn2_saveexec_b32 s17, s17
; %bb.2045:                             ;   in Loop: Header=BB2_1948 Depth=3
	v_bfe_u32 v12, v92, 23, 1
; %bb.2046:                             ;   in Loop: Header=BB2_1948 Depth=3
	s_or_b32 exec_lo, exec_lo, s17
	v_lshrrev_b32_e32 v92, 21, v92
	v_min_i32_e32 v93, 31, v12
	v_cmp_gt_i32_e32 vcc_lo, 32, v12
	v_and_b32_sdwa v91, v91, v101 dst_sel:DWORD dst_unused:UNUSED_PAD src0_sel:BYTE_3 src1_sel:DWORD
	v_lshlrev_b32_e32 v93, 2, v93
	v_cndmask_b32_e32 v92, 3, v92, vcc_lo
	v_and_b32_e32 v93, 0xfc, v93
	v_and_b32_e32 v94, 3, v92
	v_or_b32_e32 v12, v12, v92
	v_or3_b32 v91, v93, v91, v94
	v_cmp_ne_u32_e32 vcc_lo, 0, v12
	v_cndmask_b32_e32 v12, 0, v91, vcc_lo
.LBB2_2047:                             ;   in Loop: Header=BB2_1948 Depth=3
	s_or_b32 exec_lo, exec_lo, s22
.LBB2_2048:                             ;   in Loop: Header=BB2_1948 Depth=3
	s_or_b32 exec_lo, exec_lo, s18
	v_cmp_gt_i16_sdwa s18, v13, v100 src0_sel:BYTE_1 src1_sel:DWORD
	s_mov_b32 s17, 0
	s_and_saveexec_b32 s22, s18
	s_xor_b32 s18, exec_lo, s22
	s_cbranch_execz .LBB2_2291
; %bb.2049:                             ;   in Loop: Header=BB2_1948 Depth=3
	v_cmp_eq_u16_sdwa s23, v13, v101 src0_sel:BYTE_1 src1_sel:DWORD
	s_mov_b32 s17, -1
	s_and_saveexec_b32 s22, s23
; %bb.2050:                             ;   in Loop: Header=BB2_1948 Depth=3
	s_xor_b32 s17, exec_lo, -1
; %bb.2051:                             ;   in Loop: Header=BB2_1948 Depth=3
	s_or_b32 exec_lo, exec_lo, s22
	s_and_b32 s17, s17, exec_lo
	s_or_saveexec_b32 s18, s18
	v_mov_b32_e32 v91, 0x7f800001
	s_xor_b32 exec_lo, exec_lo, s18
	s_cbranch_execnz .LBB2_2292
.LBB2_2052:                             ;   in Loop: Header=BB2_1948 Depth=3
	s_or_b32 exec_lo, exec_lo, s18
	s_and_saveexec_b32 s18, s17
	s_cbranch_execz .LBB2_2054
.LBB2_2053:                             ;   in Loop: Header=BB2_1948 Depth=3
	v_and_b32_sdwa v91, v102, v13 dst_sel:DWORD dst_unused:UNUSED_PAD src0_sel:DWORD src1_sel:BYTE_1
	v_and_b32_e32 v92, 3, v91
	v_bfe_u32 v95, v91, 2, 5
	v_ffbh_u32_e32 v93, v92
	v_cmp_eq_u32_e32 vcc_lo, 0, v95
	v_min_u32_e32 v93, 32, v93
	v_subrev_nc_u32_e32 v94, 29, v93
	v_sub_nc_u32_e32 v93, 30, v93
	v_lshlrev_b32_e32 v91, v94, v91
	v_lshlrev_b32_sdwa v94, v103, v13 dst_sel:DWORD dst_unused:UNUSED_PAD src0_sel:DWORD src1_sel:BYTE_1
	v_cndmask_b32_e32 v93, v95, v93, vcc_lo
	v_and_b32_e32 v91, 3, v91
	v_lshl_add_u32 v93, v93, 23, 0x37800000
	v_cndmask_b32_e32 v91, v92, v91, vcc_lo
	v_and_b32_e32 v92, 0x80000000, v94
	v_lshlrev_b32_e32 v91, 21, v91
	v_or3_b32 v91, v92, v93, v91
.LBB2_2054:                             ;   in Loop: Header=BB2_1948 Depth=3
	s_or_b32 exec_lo, exec_lo, s18
	v_cmp_gt_i16_sdwa s18, v9, v100 src0_sel:BYTE_1 src1_sel:DWORD
	s_mov_b32 s17, 0
	s_and_saveexec_b32 s22, s18
	s_xor_b32 s18, exec_lo, s22
	s_cbranch_execz .LBB2_2293
; %bb.2055:                             ;   in Loop: Header=BB2_1948 Depth=3
	v_cmp_eq_u16_sdwa s23, v9, v101 src0_sel:BYTE_1 src1_sel:DWORD
	s_mov_b32 s17, -1
	s_and_saveexec_b32 s22, s23
; %bb.2056:                             ;   in Loop: Header=BB2_1948 Depth=3
	s_xor_b32 s17, exec_lo, -1
; %bb.2057:                             ;   in Loop: Header=BB2_1948 Depth=3
	s_or_b32 exec_lo, exec_lo, s22
	s_and_b32 s17, s17, exec_lo
	s_or_saveexec_b32 s18, s18
	v_mov_b32_e32 v92, 0x7f800001
	s_xor_b32 exec_lo, exec_lo, s18
	s_cbranch_execnz .LBB2_2294
.LBB2_2058:                             ;   in Loop: Header=BB2_1948 Depth=3
	s_or_b32 exec_lo, exec_lo, s18
	s_and_saveexec_b32 s18, s17
	s_cbranch_execz .LBB2_2060
.LBB2_2059:                             ;   in Loop: Header=BB2_1948 Depth=3
	v_and_b32_sdwa v92, v102, v9 dst_sel:DWORD dst_unused:UNUSED_PAD src0_sel:DWORD src1_sel:BYTE_1
	v_and_b32_e32 v93, 3, v92
	v_bfe_u32 v104, v92, 2, 5
	v_ffbh_u32_e32 v94, v93
	v_cmp_eq_u32_e32 vcc_lo, 0, v104
	v_min_u32_e32 v94, 32, v94
	v_subrev_nc_u32_e32 v95, 29, v94
	v_sub_nc_u32_e32 v94, 30, v94
	v_lshlrev_b32_e32 v92, v95, v92
	v_lshlrev_b32_sdwa v95, v103, v9 dst_sel:DWORD dst_unused:UNUSED_PAD src0_sel:DWORD src1_sel:BYTE_1
	v_cndmask_b32_e32 v94, v104, v94, vcc_lo
	v_and_b32_e32 v92, 3, v92
	v_lshl_add_u32 v94, v94, 23, 0x37800000
	v_cndmask_b32_e32 v92, v93, v92, vcc_lo
	v_and_b32_e32 v93, 0x80000000, v95
	v_lshlrev_b32_e32 v92, 21, v92
	v_or3_b32 v92, v93, v94, v92
.LBB2_2060:                             ;   in Loop: Header=BB2_1948 Depth=3
	s_or_b32 exec_lo, exec_lo, s18
	v_mul_f32_e32 v92, v91, v92
	v_and_b32_e32 v91, 0x7f800000, v92
	v_cmp_ne_u32_e32 vcc_lo, 0x7f800000, v91
	v_mov_b32_e32 v91, 0x8000
	s_and_saveexec_b32 s18, vcc_lo
	s_cbranch_execz .LBB2_2068
; %bb.2061:                             ;   in Loop: Header=BB2_1948 Depth=3
	v_mov_b32_e32 v91, 0
	s_mov_b32 s22, exec_lo
	v_cmpx_ne_u32_e32 0, v92
	s_cbranch_execz .LBB2_2067
; %bb.2062:                             ;   in Loop: Header=BB2_1948 Depth=3
	v_bfe_u32 v91, v92, 23, 8
	v_and_b32_e32 v93, 0x7fffff, v92
	v_sub_nc_u32_e32 v94, 0x70, v91
	v_cmp_gt_u32_e32 vcc_lo, 0x71, v91
	v_or_b32_e32 v95, 0x800000, v93
	v_cndmask_b32_e32 v94, 0, v94, vcc_lo
	v_cmp_eq_u32_e32 vcc_lo, 0, v91
	v_add_nc_u32_e32 v91, 0xffffff91, v91
	v_cndmask_b32_e64 v94, v94, 0x6f, vcc_lo
	v_cndmask_b32_e32 v93, v95, v93, vcc_lo
	v_cndmask_b32_e64 v91, v91, 0xffffff92, vcc_lo
	v_lshl_add_u32 v95, 0x200000, v94, -1
	v_lshrrev_b32_e32 v104, v94, v93
	v_lshlrev_b32_e64 v106, v94, 0x100000
	v_add_nc_u32_e32 v94, v94, v91
	v_and_b32_e32 v93, v95, v93
	v_bfe_u32 v105, v104, 21, 1
	v_cmp_eq_u32_e64 s17, v93, v106
	v_add_nc_u32_e32 v95, -1, v105
	v_cndmask_b32_e64 v93, 0, v95, s17
	v_lshrrev_b32_e32 v95, 23, v104
	s_mov_b32 s17, exec_lo
	v_add_nc_u32_e32 v93, v93, v104
	v_xor_b32_e32 v95, 1, v95
	v_and_b32_e32 v91, 0x1fffff, v93
	v_add_nc_u32_e32 v93, v91, v104
                                        ; implicit-def: $vgpr91
	v_cmpx_ne_u32_e64 v94, v95
	s_xor_b32 s17, exec_lo, s17
; %bb.2063:                             ;   in Loop: Header=BB2_1948 Depth=3
	v_cmp_lt_u32_e32 vcc_lo, 0xffffff, v93
	v_sub_nc_u32_e32 v91, v94, v95
	v_cndmask_b32_e64 v94, 0, 1, vcc_lo
	v_add_co_ci_u32_e64 v91, null, 0, v91, vcc_lo
	v_lshrrev_b32_e32 v93, v94, v93
; %bb.2064:                             ;   in Loop: Header=BB2_1948 Depth=3
	s_andn2_saveexec_b32 s17, s17
; %bb.2065:                             ;   in Loop: Header=BB2_1948 Depth=3
	v_bfe_u32 v91, v93, 23, 1
; %bb.2066:                             ;   in Loop: Header=BB2_1948 Depth=3
	s_or_b32 exec_lo, exec_lo, s17
	v_lshrrev_b32_e32 v93, 21, v93
	v_min_i32_e32 v94, 31, v91
	v_cmp_gt_i32_e32 vcc_lo, 32, v91
	v_and_b32_sdwa v92, v92, v101 dst_sel:DWORD dst_unused:UNUSED_PAD src0_sel:BYTE_3 src1_sel:DWORD
	v_lshlrev_b32_e32 v94, 2, v94
	v_cndmask_b32_e32 v93, 3, v93, vcc_lo
	v_and_b32_e32 v94, 0xfc, v94
	v_and_b32_e32 v95, 3, v93
	v_or_b32_e32 v91, v91, v93
	v_or3_b32 v92, v92, v94, v95
	v_cmp_ne_u32_e32 vcc_lo, 0, v91
	v_lshlrev_b32_e32 v92, 8, v92
	v_cndmask_b32_e32 v91, 0, v92, vcc_lo
.LBB2_2067:                             ;   in Loop: Header=BB2_1948 Depth=3
	s_or_b32 exec_lo, exec_lo, s22
.LBB2_2068:                             ;   in Loop: Header=BB2_1948 Depth=3
	s_or_b32 exec_lo, exec_lo, s18
	v_and_b32_sdwa v93, v13, v112 dst_sel:DWORD dst_unused:UNUSED_PAD src0_sel:WORD_1 src1_sel:DWORD
	s_mov_b32 s17, 0
	s_mov_b32 s18, exec_lo
	v_cmpx_lt_i16_e32 0x7f, v93
	s_xor_b32 s18, exec_lo, s18
	s_cbranch_execz .LBB2_2295
; %bb.2069:                             ;   in Loop: Header=BB2_1948 Depth=3
	s_mov_b32 s17, -1
	s_mov_b32 s22, exec_lo
	v_cmpx_eq_u16_e32 0x80, v93
; %bb.2070:                             ;   in Loop: Header=BB2_1948 Depth=3
	s_xor_b32 s17, exec_lo, -1
; %bb.2071:                             ;   in Loop: Header=BB2_1948 Depth=3
	s_or_b32 exec_lo, exec_lo, s22
	s_and_b32 s17, s17, exec_lo
                                        ; implicit-def: $vgpr93
	s_or_saveexec_b32 s18, s18
	v_mov_b32_e32 v92, 0x7f800001
	s_xor_b32 exec_lo, exec_lo, s18
	s_cbranch_execnz .LBB2_2296
.LBB2_2072:                             ;   in Loop: Header=BB2_1948 Depth=3
	s_or_b32 exec_lo, exec_lo, s18
	s_and_saveexec_b32 s18, s17
	s_cbranch_execz .LBB2_2074
.LBB2_2073:                             ;   in Loop: Header=BB2_1948 Depth=3
	v_bfe_u32 v92, v13, 16, 2
	v_bfe_u32 v95, v13, 18, 5
	v_lshlrev_b32_e32 v104, 8, v13
	v_ffbh_u32_e32 v93, v92
	v_cmp_eq_u32_e32 vcc_lo, 0, v95
	v_min_u32_e32 v93, 32, v93
	v_subrev_nc_u32_e32 v94, 29, v93
	v_sub_nc_u32_e32 v93, 30, v93
	v_lshlrev_b32_sdwa v94, v94, v13 dst_sel:DWORD dst_unused:UNUSED_PAD src0_sel:DWORD src1_sel:WORD_1
	v_cndmask_b32_e32 v93, v95, v93, vcc_lo
	v_and_b32_e32 v94, 3, v94
	v_lshl_add_u32 v93, v93, 23, 0x37800000
	v_cndmask_b32_e32 v92, v92, v94, vcc_lo
	v_and_b32_e32 v94, 0x80000000, v104
	v_lshlrev_b32_e32 v92, 21, v92
	v_or3_b32 v92, v94, v93, v92
.LBB2_2074:                             ;   in Loop: Header=BB2_1948 Depth=3
	s_or_b32 exec_lo, exec_lo, s18
	v_and_b32_sdwa v94, v9, v112 dst_sel:DWORD dst_unused:UNUSED_PAD src0_sel:WORD_1 src1_sel:DWORD
	s_mov_b32 s17, 0
	s_mov_b32 s18, exec_lo
	v_cmpx_lt_i16_e32 0x7f, v94
	s_xor_b32 s18, exec_lo, s18
	s_cbranch_execz .LBB2_2297
; %bb.2075:                             ;   in Loop: Header=BB2_1948 Depth=3
	s_mov_b32 s17, -1
	s_mov_b32 s22, exec_lo
	v_cmpx_eq_u16_e32 0x80, v94
; %bb.2076:                             ;   in Loop: Header=BB2_1948 Depth=3
	s_xor_b32 s17, exec_lo, -1
; %bb.2077:                             ;   in Loop: Header=BB2_1948 Depth=3
	s_or_b32 exec_lo, exec_lo, s22
	s_and_b32 s17, s17, exec_lo
                                        ; implicit-def: $vgpr94
	s_or_saveexec_b32 s18, s18
	v_mov_b32_e32 v93, 0x7f800001
	s_xor_b32 exec_lo, exec_lo, s18
	s_cbranch_execnz .LBB2_2298
.LBB2_2078:                             ;   in Loop: Header=BB2_1948 Depth=3
	s_or_b32 exec_lo, exec_lo, s18
	s_and_saveexec_b32 s18, s17
	s_cbranch_execz .LBB2_2080
.LBB2_2079:                             ;   in Loop: Header=BB2_1948 Depth=3
	v_and_b32_sdwa v93, v9, v113 dst_sel:DWORD dst_unused:UNUSED_PAD src0_sel:WORD_1 src1_sel:DWORD
	v_bfe_u32 v104, v9, 18, 5
	v_lshlrev_b32_sdwa v105, v103, v9 dst_sel:DWORD dst_unused:UNUSED_PAD src0_sel:DWORD src1_sel:WORD_1
	v_ffbh_u32_e32 v94, v93
	v_cmp_eq_u32_e32 vcc_lo, 0, v104
	v_min_u32_e32 v94, 32, v94
	v_subrev_nc_u32_e32 v95, 29, v94
	v_sub_nc_u32_e32 v94, 30, v94
	v_lshlrev_b32_sdwa v95, v95, v9 dst_sel:DWORD dst_unused:UNUSED_PAD src0_sel:DWORD src1_sel:WORD_1
	v_cndmask_b32_e32 v94, v104, v94, vcc_lo
	v_and_b32_e32 v95, 3, v95
	v_lshl_add_u32 v94, v94, 23, 0x37800000
	v_cndmask_b32_e32 v93, v93, v95, vcc_lo
	v_and_b32_e32 v95, 0x80000000, v105
	v_lshlrev_b32_e32 v93, 21, v93
	v_or3_b32 v93, v95, v94, v93
.LBB2_2080:                             ;   in Loop: Header=BB2_1948 Depth=3
	s_or_b32 exec_lo, exec_lo, s18
	v_mul_f32_e32 v93, v92, v93
	v_and_b32_e32 v92, 0x7f800000, v93
	v_cmp_ne_u32_e32 vcc_lo, 0x7f800000, v92
	v_mov_b32_e32 v92, 0x80
	s_and_saveexec_b32 s18, vcc_lo
	s_cbranch_execz .LBB2_2088
; %bb.2081:                             ;   in Loop: Header=BB2_1948 Depth=3
	v_mov_b32_e32 v92, 0
	s_mov_b32 s22, exec_lo
	v_cmpx_ne_u32_e32 0, v93
	s_cbranch_execz .LBB2_2087
; %bb.2082:                             ;   in Loop: Header=BB2_1948 Depth=3
	v_bfe_u32 v92, v93, 23, 8
	v_and_b32_e32 v94, 0x7fffff, v93
	v_sub_nc_u32_e32 v95, 0x70, v92
	v_cmp_gt_u32_e32 vcc_lo, 0x71, v92
	v_or_b32_e32 v104, 0x800000, v94
	v_cndmask_b32_e32 v95, 0, v95, vcc_lo
	v_cmp_eq_u32_e32 vcc_lo, 0, v92
	v_add_nc_u32_e32 v92, 0xffffff91, v92
	v_cndmask_b32_e64 v95, v95, 0x6f, vcc_lo
	v_cndmask_b32_e32 v94, v104, v94, vcc_lo
	v_cndmask_b32_e64 v92, v92, 0xffffff92, vcc_lo
	v_lshl_add_u32 v104, 0x200000, v95, -1
	v_lshrrev_b32_e32 v105, v95, v94
	v_lshlrev_b32_e64 v107, v95, 0x100000
	v_add_nc_u32_e32 v95, v95, v92
	v_and_b32_e32 v94, v104, v94
	v_bfe_u32 v106, v105, 21, 1
	v_cmp_eq_u32_e64 s17, v94, v107
	v_add_nc_u32_e32 v104, -1, v106
	v_cndmask_b32_e64 v94, 0, v104, s17
	v_lshrrev_b32_e32 v104, 23, v105
	s_mov_b32 s17, exec_lo
	v_add_nc_u32_e32 v94, v94, v105
	v_xor_b32_e32 v104, 1, v104
	v_and_b32_e32 v92, 0x1fffff, v94
	v_add_nc_u32_e32 v94, v92, v105
                                        ; implicit-def: $vgpr92
	v_cmpx_ne_u32_e64 v95, v104
	s_xor_b32 s17, exec_lo, s17
; %bb.2083:                             ;   in Loop: Header=BB2_1948 Depth=3
	v_cmp_lt_u32_e32 vcc_lo, 0xffffff, v94
	v_sub_nc_u32_e32 v92, v95, v104
	v_cndmask_b32_e64 v95, 0, 1, vcc_lo
	v_add_co_ci_u32_e64 v92, null, 0, v92, vcc_lo
	v_lshrrev_b32_e32 v94, v95, v94
; %bb.2084:                             ;   in Loop: Header=BB2_1948 Depth=3
	s_andn2_saveexec_b32 s17, s17
; %bb.2085:                             ;   in Loop: Header=BB2_1948 Depth=3
	v_bfe_u32 v92, v94, 23, 1
; %bb.2086:                             ;   in Loop: Header=BB2_1948 Depth=3
	s_or_b32 exec_lo, exec_lo, s17
	v_lshrrev_b32_e32 v94, 21, v94
	v_min_i32_e32 v95, 31, v92
	v_cmp_gt_i32_e32 vcc_lo, 32, v92
	v_and_b32_sdwa v93, v93, v101 dst_sel:DWORD dst_unused:UNUSED_PAD src0_sel:BYTE_3 src1_sel:DWORD
	v_lshlrev_b32_e32 v95, 2, v95
	v_cndmask_b32_e32 v94, 3, v94, vcc_lo
	v_and_b32_e32 v95, 0xfc, v95
	v_and_b32_e32 v104, 3, v94
	v_or_b32_e32 v92, v92, v94
	v_or3_b32 v93, v95, v93, v104
	v_cmp_ne_u32_e32 vcc_lo, 0, v92
	v_cndmask_b32_e32 v92, 0, v93, vcc_lo
.LBB2_2087:                             ;   in Loop: Header=BB2_1948 Depth=3
	s_or_b32 exec_lo, exec_lo, s22
.LBB2_2088:                             ;   in Loop: Header=BB2_1948 Depth=3
	s_or_b32 exec_lo, exec_lo, s18
	v_cmp_gt_i16_sdwa s18, v13, v100 src0_sel:BYTE_3 src1_sel:DWORD
	s_mov_b32 s17, 0
	s_and_saveexec_b32 s22, s18
	s_xor_b32 s18, exec_lo, s22
	s_cbranch_execz .LBB2_2299
; %bb.2089:                             ;   in Loop: Header=BB2_1948 Depth=3
	v_cmp_eq_u16_sdwa s23, v13, v101 src0_sel:BYTE_3 src1_sel:DWORD
	s_mov_b32 s17, -1
	s_and_saveexec_b32 s22, s23
; %bb.2090:                             ;   in Loop: Header=BB2_1948 Depth=3
	s_xor_b32 s17, exec_lo, -1
; %bb.2091:                             ;   in Loop: Header=BB2_1948 Depth=3
	s_or_b32 exec_lo, exec_lo, s22
	s_and_b32 s17, s17, exec_lo
	s_or_saveexec_b32 s18, s18
	v_mov_b32_e32 v93, 0x7f800001
	s_xor_b32 exec_lo, exec_lo, s18
	s_cbranch_execnz .LBB2_2300
.LBB2_2092:                             ;   in Loop: Header=BB2_1948 Depth=3
	s_or_b32 exec_lo, exec_lo, s18
	s_and_saveexec_b32 s18, s17
	s_cbranch_execz .LBB2_2094
.LBB2_2093:                             ;   in Loop: Header=BB2_1948 Depth=3
	v_bfe_u32 v93, v13, 24, 2
	v_bfe_u32 v104, v13, 26, 5
	v_ffbh_u32_e32 v94, v93
	v_cmp_eq_u32_e32 vcc_lo, 0, v104
	v_min_u32_e32 v94, 32, v94
	v_subrev_nc_u32_e32 v95, 29, v94
	v_sub_nc_u32_e32 v94, 30, v94
	v_lshlrev_b32_sdwa v95, v95, v13 dst_sel:DWORD dst_unused:UNUSED_PAD src0_sel:DWORD src1_sel:BYTE_3
	v_cndmask_b32_e32 v94, v104, v94, vcc_lo
	v_and_b32_e32 v13, 0x80000000, v13
	v_and_b32_e32 v95, 3, v95
	v_lshl_add_u32 v94, v94, 23, 0x37800000
	v_cndmask_b32_e32 v93, v93, v95, vcc_lo
	v_lshlrev_b32_e32 v93, 21, v93
	v_or3_b32 v93, v13, v94, v93
.LBB2_2094:                             ;   in Loop: Header=BB2_1948 Depth=3
	s_or_b32 exec_lo, exec_lo, s18
	v_cmp_gt_i16_sdwa s18, v9, v100 src0_sel:BYTE_3 src1_sel:DWORD
	s_mov_b32 s17, 0
	s_and_saveexec_b32 s22, s18
	s_xor_b32 s18, exec_lo, s22
	s_cbranch_execz .LBB2_2301
; %bb.2095:                             ;   in Loop: Header=BB2_1948 Depth=3
	v_cmp_eq_u16_sdwa s23, v9, v101 src0_sel:BYTE_3 src1_sel:DWORD
	s_mov_b32 s17, -1
	s_and_saveexec_b32 s22, s23
; %bb.2096:                             ;   in Loop: Header=BB2_1948 Depth=3
	s_xor_b32 s17, exec_lo, -1
; %bb.2097:                             ;   in Loop: Header=BB2_1948 Depth=3
	s_or_b32 exec_lo, exec_lo, s22
	s_and_b32 s17, s17, exec_lo
	s_or_saveexec_b32 s18, s18
	v_mov_b32_e32 v13, 0x7f800001
	s_xor_b32 exec_lo, exec_lo, s18
	s_cbranch_execnz .LBB2_2302
.LBB2_2098:                             ;   in Loop: Header=BB2_1948 Depth=3
	s_or_b32 exec_lo, exec_lo, s18
	s_and_saveexec_b32 s18, s17
	s_cbranch_execz .LBB2_2100
.LBB2_2099:                             ;   in Loop: Header=BB2_1948 Depth=3
	v_and_b32_sdwa v13, v9, v113 dst_sel:DWORD dst_unused:UNUSED_PAD src0_sel:BYTE_3 src1_sel:DWORD
	v_bfe_u32 v104, v9, 26, 5
	v_ffbh_u32_e32 v94, v13
	v_cmp_eq_u32_e32 vcc_lo, 0, v104
	v_min_u32_e32 v94, 32, v94
	v_subrev_nc_u32_e32 v95, 29, v94
	v_sub_nc_u32_e32 v94, 30, v94
	v_lshlrev_b32_sdwa v95, v95, v9 dst_sel:DWORD dst_unused:UNUSED_PAD src0_sel:DWORD src1_sel:BYTE_3
	v_cndmask_b32_e32 v94, v104, v94, vcc_lo
	v_and_b32_e32 v9, 0x80000000, v9
	v_and_b32_e32 v95, 3, v95
	v_lshl_add_u32 v94, v94, 23, 0x37800000
	v_cndmask_b32_e32 v13, v13, v95, vcc_lo
	v_lshlrev_b32_e32 v13, 21, v13
	v_or3_b32 v13, v9, v94, v13
.LBB2_2100:                             ;   in Loop: Header=BB2_1948 Depth=3
	s_or_b32 exec_lo, exec_lo, s18
	v_mul_f32_e32 v13, v93, v13
	v_and_b32_e32 v9, 0x7f800000, v13
	v_cmp_ne_u32_e32 vcc_lo, 0x7f800000, v9
	v_mov_b32_e32 v9, 0x8000
	s_and_saveexec_b32 s18, vcc_lo
	s_cbranch_execz .LBB2_2108
; %bb.2101:                             ;   in Loop: Header=BB2_1948 Depth=3
	v_mov_b32_e32 v9, 0
	s_mov_b32 s22, exec_lo
	v_cmpx_ne_u32_e32 0, v13
	s_cbranch_execz .LBB2_2107
; %bb.2102:                             ;   in Loop: Header=BB2_1948 Depth=3
	v_bfe_u32 v9, v13, 23, 8
	v_and_b32_e32 v93, 0x7fffff, v13
	v_sub_nc_u32_e32 v94, 0x70, v9
	v_cmp_gt_u32_e32 vcc_lo, 0x71, v9
	v_or_b32_e32 v95, 0x800000, v93
	v_cndmask_b32_e32 v94, 0, v94, vcc_lo
	v_cmp_eq_u32_e32 vcc_lo, 0, v9
	v_add_nc_u32_e32 v9, 0xffffff91, v9
	v_cndmask_b32_e64 v94, v94, 0x6f, vcc_lo
	v_cndmask_b32_e32 v93, v95, v93, vcc_lo
	v_cndmask_b32_e64 v9, v9, 0xffffff92, vcc_lo
	v_lshl_add_u32 v95, 0x200000, v94, -1
	v_lshrrev_b32_e32 v104, v94, v93
	v_lshlrev_b32_e64 v106, v94, 0x100000
	v_add_nc_u32_e32 v94, v94, v9
	v_and_b32_e32 v93, v95, v93
	v_bfe_u32 v105, v104, 21, 1
	v_cmp_eq_u32_e64 s17, v93, v106
	v_add_nc_u32_e32 v95, -1, v105
	v_cndmask_b32_e64 v93, 0, v95, s17
	v_lshrrev_b32_e32 v95, 23, v104
	s_mov_b32 s17, exec_lo
	v_add_nc_u32_e32 v93, v93, v104
	v_xor_b32_e32 v95, 1, v95
	v_and_b32_e32 v9, 0x1fffff, v93
	v_add_nc_u32_e32 v93, v9, v104
                                        ; implicit-def: $vgpr9
	v_cmpx_ne_u32_e64 v94, v95
	s_xor_b32 s17, exec_lo, s17
; %bb.2103:                             ;   in Loop: Header=BB2_1948 Depth=3
	v_cmp_lt_u32_e32 vcc_lo, 0xffffff, v93
	v_sub_nc_u32_e32 v9, v94, v95
	v_cndmask_b32_e64 v94, 0, 1, vcc_lo
	v_add_co_ci_u32_e64 v9, null, 0, v9, vcc_lo
	v_lshrrev_b32_e32 v93, v94, v93
; %bb.2104:                             ;   in Loop: Header=BB2_1948 Depth=3
	s_andn2_saveexec_b32 s17, s17
; %bb.2105:                             ;   in Loop: Header=BB2_1948 Depth=3
	v_bfe_u32 v9, v93, 23, 1
; %bb.2106:                             ;   in Loop: Header=BB2_1948 Depth=3
	s_or_b32 exec_lo, exec_lo, s17
	v_lshrrev_b32_e32 v93, 21, v93
	v_min_i32_e32 v94, 31, v9
	v_cmp_gt_i32_e32 vcc_lo, 32, v9
	v_and_b32_sdwa v13, v13, v101 dst_sel:DWORD dst_unused:UNUSED_PAD src0_sel:BYTE_3 src1_sel:DWORD
	v_lshlrev_b32_e32 v94, 2, v94
	v_cndmask_b32_e32 v93, 3, v93, vcc_lo
	v_and_b32_e32 v94, 0xfc, v94
	v_and_b32_e32 v95, 3, v93
	v_or_b32_e32 v9, v9, v93
	v_or3_b32 v13, v13, v94, v95
	v_cmp_ne_u32_e32 vcc_lo, 0, v9
	v_lshlrev_b32_e32 v13, 8, v13
	v_cndmask_b32_e32 v9, 0, v13, vcc_lo
.LBB2_2107:                             ;   in Loop: Header=BB2_1948 Depth=3
	s_or_b32 exec_lo, exec_lo, s22
.LBB2_2108:                             ;   in Loop: Header=BB2_1948 Depth=3
	s_or_b32 exec_lo, exec_lo, s18
	v_cmp_gt_i16_sdwa s18, v14, v100 src0_sel:BYTE_0 src1_sel:DWORD
	s_mov_b32 s17, 0
	s_and_saveexec_b32 s22, s18
	s_xor_b32 s18, exec_lo, s22
	s_cbranch_execz .LBB2_2303
; %bb.2109:                             ;   in Loop: Header=BB2_1948 Depth=3
	v_cmp_eq_u16_sdwa s23, v14, v101 src0_sel:BYTE_0 src1_sel:DWORD
	s_mov_b32 s17, -1
	s_and_saveexec_b32 s22, s23
; %bb.2110:                             ;   in Loop: Header=BB2_1948 Depth=3
	s_xor_b32 s17, exec_lo, -1
; %bb.2111:                             ;   in Loop: Header=BB2_1948 Depth=3
	s_or_b32 exec_lo, exec_lo, s22
	s_and_b32 s17, s17, exec_lo
	s_or_saveexec_b32 s18, s18
	v_mov_b32_e32 v13, 0x7f800001
	s_xor_b32 exec_lo, exec_lo, s18
	s_cbranch_execnz .LBB2_2304
.LBB2_2112:                             ;   in Loop: Header=BB2_1948 Depth=3
	s_or_b32 exec_lo, exec_lo, s18
	s_and_saveexec_b32 s18, s17
	s_cbranch_execz .LBB2_2114
.LBB2_2113:                             ;   in Loop: Header=BB2_1948 Depth=3
	v_and_b32_e32 v13, 3, v14
	v_bfe_u32 v95, v14, 2, 5
	v_lshlrev_b32_e32 v104, 24, v14
	v_ffbh_u32_e32 v93, v13
	v_cmp_eq_u32_e32 vcc_lo, 0, v95
	v_min_u32_e32 v93, 32, v93
	v_subrev_nc_u32_e32 v94, 29, v93
	v_sub_nc_u32_e32 v93, 30, v93
	v_lshlrev_b32_e32 v94, v94, v14
	v_cndmask_b32_e32 v93, v95, v93, vcc_lo
	v_and_b32_e32 v94, 3, v94
	v_lshl_add_u32 v93, v93, 23, 0x37800000
	v_cndmask_b32_e32 v13, v13, v94, vcc_lo
	v_and_b32_e32 v94, 0x80000000, v104
	v_lshlrev_b32_e32 v13, 21, v13
	v_or3_b32 v13, v94, v93, v13
.LBB2_2114:                             ;   in Loop: Header=BB2_1948 Depth=3
	s_or_b32 exec_lo, exec_lo, s18
	v_cmp_gt_i16_sdwa s18, v10, v100 src0_sel:BYTE_0 src1_sel:DWORD
	s_mov_b32 s17, 0
	s_and_saveexec_b32 s22, s18
	s_xor_b32 s18, exec_lo, s22
	s_cbranch_execz .LBB2_2305
; %bb.2115:                             ;   in Loop: Header=BB2_1948 Depth=3
	v_cmp_eq_u16_sdwa s23, v10, v101 src0_sel:BYTE_0 src1_sel:DWORD
	s_mov_b32 s17, -1
	s_and_saveexec_b32 s22, s23
; %bb.2116:                             ;   in Loop: Header=BB2_1948 Depth=3
	s_xor_b32 s17, exec_lo, -1
; %bb.2117:                             ;   in Loop: Header=BB2_1948 Depth=3
	s_or_b32 exec_lo, exec_lo, s22
	s_and_b32 s17, s17, exec_lo
	s_or_saveexec_b32 s18, s18
	v_mov_b32_e32 v93, 0x7f800001
	s_xor_b32 exec_lo, exec_lo, s18
	s_cbranch_execnz .LBB2_2306
.LBB2_2118:                             ;   in Loop: Header=BB2_1948 Depth=3
	s_or_b32 exec_lo, exec_lo, s18
	s_and_saveexec_b32 s18, s17
	s_cbranch_execz .LBB2_2120
.LBB2_2119:                             ;   in Loop: Header=BB2_1948 Depth=3
	v_and_b32_e32 v93, 3, v10
	v_bfe_u32 v104, v10, 2, 5
	v_lshlrev_b32_e32 v105, 24, v10
	v_ffbh_u32_e32 v94, v93
	v_cmp_eq_u32_e32 vcc_lo, 0, v104
	v_min_u32_e32 v94, 32, v94
	v_subrev_nc_u32_e32 v95, 29, v94
	v_sub_nc_u32_e32 v94, 30, v94
	v_lshlrev_b32_e32 v95, v95, v10
	v_cndmask_b32_e32 v94, v104, v94, vcc_lo
	v_and_b32_e32 v95, 3, v95
	v_lshl_add_u32 v94, v94, 23, 0x37800000
	v_cndmask_b32_e32 v93, v93, v95, vcc_lo
	v_and_b32_e32 v95, 0x80000000, v105
	v_lshlrev_b32_e32 v93, 21, v93
	v_or3_b32 v93, v95, v94, v93
.LBB2_2120:                             ;   in Loop: Header=BB2_1948 Depth=3
	s_or_b32 exec_lo, exec_lo, s18
	v_mul_f32_e32 v93, v13, v93
	v_and_b32_e32 v13, 0x7f800000, v93
	v_cmp_ne_u32_e32 vcc_lo, 0x7f800000, v13
	v_mov_b32_e32 v13, 0x80
	s_and_saveexec_b32 s18, vcc_lo
	s_cbranch_execz .LBB2_2128
; %bb.2121:                             ;   in Loop: Header=BB2_1948 Depth=3
	v_mov_b32_e32 v13, 0
	s_mov_b32 s22, exec_lo
	v_cmpx_ne_u32_e32 0, v93
	s_cbranch_execz .LBB2_2127
; %bb.2122:                             ;   in Loop: Header=BB2_1948 Depth=3
	v_bfe_u32 v13, v93, 23, 8
	v_and_b32_e32 v94, 0x7fffff, v93
	v_sub_nc_u32_e32 v95, 0x70, v13
	v_cmp_gt_u32_e32 vcc_lo, 0x71, v13
	v_or_b32_e32 v104, 0x800000, v94
	v_cndmask_b32_e32 v95, 0, v95, vcc_lo
	v_cmp_eq_u32_e32 vcc_lo, 0, v13
	v_add_nc_u32_e32 v13, 0xffffff91, v13
	v_cndmask_b32_e64 v95, v95, 0x6f, vcc_lo
	v_cndmask_b32_e32 v94, v104, v94, vcc_lo
	v_cndmask_b32_e64 v13, v13, 0xffffff92, vcc_lo
	v_lshl_add_u32 v104, 0x200000, v95, -1
	v_lshrrev_b32_e32 v105, v95, v94
	v_lshlrev_b32_e64 v107, v95, 0x100000
	v_add_nc_u32_e32 v95, v95, v13
	v_and_b32_e32 v94, v104, v94
	v_bfe_u32 v106, v105, 21, 1
	v_cmp_eq_u32_e64 s17, v94, v107
	v_add_nc_u32_e32 v104, -1, v106
	v_cndmask_b32_e64 v94, 0, v104, s17
	v_lshrrev_b32_e32 v104, 23, v105
	s_mov_b32 s17, exec_lo
	v_add_nc_u32_e32 v94, v94, v105
	v_xor_b32_e32 v104, 1, v104
	v_and_b32_e32 v13, 0x1fffff, v94
	v_add_nc_u32_e32 v94, v13, v105
                                        ; implicit-def: $vgpr13
	v_cmpx_ne_u32_e64 v95, v104
	s_xor_b32 s17, exec_lo, s17
; %bb.2123:                             ;   in Loop: Header=BB2_1948 Depth=3
	v_cmp_lt_u32_e32 vcc_lo, 0xffffff, v94
	v_sub_nc_u32_e32 v13, v95, v104
	v_cndmask_b32_e64 v95, 0, 1, vcc_lo
	v_add_co_ci_u32_e64 v13, null, 0, v13, vcc_lo
	v_lshrrev_b32_e32 v94, v95, v94
; %bb.2124:                             ;   in Loop: Header=BB2_1948 Depth=3
	s_andn2_saveexec_b32 s17, s17
; %bb.2125:                             ;   in Loop: Header=BB2_1948 Depth=3
	v_bfe_u32 v13, v94, 23, 1
; %bb.2126:                             ;   in Loop: Header=BB2_1948 Depth=3
	s_or_b32 exec_lo, exec_lo, s17
	v_lshrrev_b32_e32 v94, 21, v94
	v_min_i32_e32 v95, 31, v13
	v_cmp_gt_i32_e32 vcc_lo, 32, v13
	v_and_b32_sdwa v93, v93, v101 dst_sel:DWORD dst_unused:UNUSED_PAD src0_sel:BYTE_3 src1_sel:DWORD
	v_lshlrev_b32_e32 v95, 2, v95
	v_cndmask_b32_e32 v94, 3, v94, vcc_lo
	v_and_b32_e32 v95, 0xfc, v95
	v_and_b32_e32 v104, 3, v94
	v_or_b32_e32 v13, v13, v94
	v_or3_b32 v93, v95, v93, v104
	v_cmp_ne_u32_e32 vcc_lo, 0, v13
	v_cndmask_b32_e32 v13, 0, v93, vcc_lo
.LBB2_2127:                             ;   in Loop: Header=BB2_1948 Depth=3
	s_or_b32 exec_lo, exec_lo, s22
.LBB2_2128:                             ;   in Loop: Header=BB2_1948 Depth=3
	s_or_b32 exec_lo, exec_lo, s18
	v_cmp_gt_i16_sdwa s18, v14, v100 src0_sel:BYTE_1 src1_sel:DWORD
	s_mov_b32 s17, 0
	s_and_saveexec_b32 s22, s18
	s_xor_b32 s18, exec_lo, s22
	s_cbranch_execz .LBB2_2307
; %bb.2129:                             ;   in Loop: Header=BB2_1948 Depth=3
	v_cmp_eq_u16_sdwa s23, v14, v101 src0_sel:BYTE_1 src1_sel:DWORD
	s_mov_b32 s17, -1
	s_and_saveexec_b32 s22, s23
; %bb.2130:                             ;   in Loop: Header=BB2_1948 Depth=3
	s_xor_b32 s17, exec_lo, -1
; %bb.2131:                             ;   in Loop: Header=BB2_1948 Depth=3
	s_or_b32 exec_lo, exec_lo, s22
	s_and_b32 s17, s17, exec_lo
	s_or_saveexec_b32 s18, s18
	v_mov_b32_e32 v93, 0x7f800001
	s_xor_b32 exec_lo, exec_lo, s18
	s_cbranch_execnz .LBB2_2308
.LBB2_2132:                             ;   in Loop: Header=BB2_1948 Depth=3
	s_or_b32 exec_lo, exec_lo, s18
	s_and_saveexec_b32 s18, s17
	s_cbranch_execz .LBB2_2134
.LBB2_2133:                             ;   in Loop: Header=BB2_1948 Depth=3
	v_and_b32_sdwa v93, v102, v14 dst_sel:DWORD dst_unused:UNUSED_PAD src0_sel:DWORD src1_sel:BYTE_1
	v_and_b32_e32 v94, 3, v93
	v_bfe_u32 v105, v93, 2, 5
	v_ffbh_u32_e32 v95, v94
	v_cmp_eq_u32_e32 vcc_lo, 0, v105
	v_min_u32_e32 v95, 32, v95
	v_subrev_nc_u32_e32 v104, 29, v95
	v_sub_nc_u32_e32 v95, 30, v95
	v_lshlrev_b32_e32 v93, v104, v93
	v_lshlrev_b32_sdwa v104, v103, v14 dst_sel:DWORD dst_unused:UNUSED_PAD src0_sel:DWORD src1_sel:BYTE_1
	v_cndmask_b32_e32 v95, v105, v95, vcc_lo
	v_and_b32_e32 v93, 3, v93
	v_lshl_add_u32 v95, v95, 23, 0x37800000
	v_cndmask_b32_e32 v93, v94, v93, vcc_lo
	v_and_b32_e32 v94, 0x80000000, v104
	v_lshlrev_b32_e32 v93, 21, v93
	v_or3_b32 v93, v94, v95, v93
.LBB2_2134:                             ;   in Loop: Header=BB2_1948 Depth=3
	s_or_b32 exec_lo, exec_lo, s18
	v_cmp_gt_i16_sdwa s18, v10, v100 src0_sel:BYTE_1 src1_sel:DWORD
	s_mov_b32 s17, 0
	s_and_saveexec_b32 s22, s18
	s_xor_b32 s18, exec_lo, s22
	s_cbranch_execz .LBB2_2309
; %bb.2135:                             ;   in Loop: Header=BB2_1948 Depth=3
	v_cmp_eq_u16_sdwa s23, v10, v101 src0_sel:BYTE_1 src1_sel:DWORD
	s_mov_b32 s17, -1
	s_and_saveexec_b32 s22, s23
; %bb.2136:                             ;   in Loop: Header=BB2_1948 Depth=3
	s_xor_b32 s17, exec_lo, -1
; %bb.2137:                             ;   in Loop: Header=BB2_1948 Depth=3
	s_or_b32 exec_lo, exec_lo, s22
	s_and_b32 s17, s17, exec_lo
	s_or_saveexec_b32 s18, s18
	v_mov_b32_e32 v94, 0x7f800001
	s_xor_b32 exec_lo, exec_lo, s18
	s_cbranch_execnz .LBB2_2310
.LBB2_2138:                             ;   in Loop: Header=BB2_1948 Depth=3
	s_or_b32 exec_lo, exec_lo, s18
	s_and_saveexec_b32 s18, s17
	s_cbranch_execz .LBB2_2140
.LBB2_2139:                             ;   in Loop: Header=BB2_1948 Depth=3
	v_and_b32_sdwa v94, v102, v10 dst_sel:DWORD dst_unused:UNUSED_PAD src0_sel:DWORD src1_sel:BYTE_1
	v_and_b32_e32 v95, 3, v94
	v_bfe_u32 v106, v94, 2, 5
	v_ffbh_u32_e32 v104, v95
	v_cmp_eq_u32_e32 vcc_lo, 0, v106
	v_min_u32_e32 v104, 32, v104
	v_subrev_nc_u32_e32 v105, 29, v104
	v_sub_nc_u32_e32 v104, 30, v104
	v_lshlrev_b32_e32 v94, v105, v94
	v_lshlrev_b32_sdwa v105, v103, v10 dst_sel:DWORD dst_unused:UNUSED_PAD src0_sel:DWORD src1_sel:BYTE_1
	v_cndmask_b32_e32 v104, v106, v104, vcc_lo
	v_and_b32_e32 v94, 3, v94
	v_lshl_add_u32 v104, v104, 23, 0x37800000
	v_cndmask_b32_e32 v94, v95, v94, vcc_lo
	v_and_b32_e32 v95, 0x80000000, v105
	v_lshlrev_b32_e32 v94, 21, v94
	v_or3_b32 v94, v95, v104, v94
.LBB2_2140:                             ;   in Loop: Header=BB2_1948 Depth=3
	s_or_b32 exec_lo, exec_lo, s18
	v_mul_f32_e32 v94, v93, v94
	v_and_b32_e32 v93, 0x7f800000, v94
	v_cmp_ne_u32_e32 vcc_lo, 0x7f800000, v93
	v_mov_b32_e32 v93, 0x8000
	s_and_saveexec_b32 s18, vcc_lo
	s_cbranch_execz .LBB2_2148
; %bb.2141:                             ;   in Loop: Header=BB2_1948 Depth=3
	v_mov_b32_e32 v93, 0
	s_mov_b32 s22, exec_lo
	v_cmpx_ne_u32_e32 0, v94
	s_cbranch_execz .LBB2_2147
; %bb.2142:                             ;   in Loop: Header=BB2_1948 Depth=3
	v_bfe_u32 v93, v94, 23, 8
	v_and_b32_e32 v95, 0x7fffff, v94
	v_sub_nc_u32_e32 v104, 0x70, v93
	v_cmp_gt_u32_e32 vcc_lo, 0x71, v93
	v_or_b32_e32 v105, 0x800000, v95
	v_cndmask_b32_e32 v104, 0, v104, vcc_lo
	v_cmp_eq_u32_e32 vcc_lo, 0, v93
	v_add_nc_u32_e32 v93, 0xffffff91, v93
	v_cndmask_b32_e64 v104, v104, 0x6f, vcc_lo
	v_cndmask_b32_e32 v95, v105, v95, vcc_lo
	v_cndmask_b32_e64 v93, v93, 0xffffff92, vcc_lo
	v_lshl_add_u32 v105, 0x200000, v104, -1
	v_lshrrev_b32_e32 v106, v104, v95
	v_lshlrev_b32_e64 v108, v104, 0x100000
	v_add_nc_u32_e32 v104, v104, v93
	v_and_b32_e32 v95, v105, v95
	v_bfe_u32 v107, v106, 21, 1
	v_cmp_eq_u32_e64 s17, v95, v108
	v_add_nc_u32_e32 v105, -1, v107
	v_cndmask_b32_e64 v95, 0, v105, s17
	v_lshrrev_b32_e32 v105, 23, v106
	s_mov_b32 s17, exec_lo
	v_add_nc_u32_e32 v95, v95, v106
	v_xor_b32_e32 v105, 1, v105
	v_and_b32_e32 v93, 0x1fffff, v95
	v_add_nc_u32_e32 v95, v93, v106
                                        ; implicit-def: $vgpr93
	v_cmpx_ne_u32_e64 v104, v105
	s_xor_b32 s17, exec_lo, s17
; %bb.2143:                             ;   in Loop: Header=BB2_1948 Depth=3
	v_cmp_lt_u32_e32 vcc_lo, 0xffffff, v95
	v_sub_nc_u32_e32 v93, v104, v105
	v_cndmask_b32_e64 v104, 0, 1, vcc_lo
	v_add_co_ci_u32_e64 v93, null, 0, v93, vcc_lo
	v_lshrrev_b32_e32 v95, v104, v95
; %bb.2144:                             ;   in Loop: Header=BB2_1948 Depth=3
	s_andn2_saveexec_b32 s17, s17
; %bb.2145:                             ;   in Loop: Header=BB2_1948 Depth=3
	v_bfe_u32 v93, v95, 23, 1
; %bb.2146:                             ;   in Loop: Header=BB2_1948 Depth=3
	s_or_b32 exec_lo, exec_lo, s17
	v_lshrrev_b32_e32 v95, 21, v95
	v_min_i32_e32 v104, 31, v93
	v_cmp_gt_i32_e32 vcc_lo, 32, v93
	v_and_b32_sdwa v94, v94, v101 dst_sel:DWORD dst_unused:UNUSED_PAD src0_sel:BYTE_3 src1_sel:DWORD
	v_lshlrev_b32_e32 v104, 2, v104
	v_cndmask_b32_e32 v95, 3, v95, vcc_lo
	v_and_b32_e32 v104, 0xfc, v104
	v_and_b32_e32 v105, 3, v95
	v_or_b32_e32 v93, v93, v95
	v_or3_b32 v94, v94, v104, v105
	v_cmp_ne_u32_e32 vcc_lo, 0, v93
	v_lshlrev_b32_e32 v94, 8, v94
	v_cndmask_b32_e32 v93, 0, v94, vcc_lo
.LBB2_2147:                             ;   in Loop: Header=BB2_1948 Depth=3
	s_or_b32 exec_lo, exec_lo, s22
.LBB2_2148:                             ;   in Loop: Header=BB2_1948 Depth=3
	s_or_b32 exec_lo, exec_lo, s18
	v_and_b32_sdwa v95, v14, v112 dst_sel:DWORD dst_unused:UNUSED_PAD src0_sel:WORD_1 src1_sel:DWORD
	s_mov_b32 s17, 0
	s_mov_b32 s18, exec_lo
	v_cmpx_lt_i16_e32 0x7f, v95
	s_xor_b32 s18, exec_lo, s18
	s_cbranch_execz .LBB2_2311
; %bb.2149:                             ;   in Loop: Header=BB2_1948 Depth=3
	s_mov_b32 s17, -1
	s_mov_b32 s22, exec_lo
	v_cmpx_eq_u16_e32 0x80, v95
; %bb.2150:                             ;   in Loop: Header=BB2_1948 Depth=3
	s_xor_b32 s17, exec_lo, -1
; %bb.2151:                             ;   in Loop: Header=BB2_1948 Depth=3
	s_or_b32 exec_lo, exec_lo, s22
	s_and_b32 s17, s17, exec_lo
                                        ; implicit-def: $vgpr95
	s_or_saveexec_b32 s18, s18
	v_mov_b32_e32 v94, 0x7f800001
	s_xor_b32 exec_lo, exec_lo, s18
	s_cbranch_execnz .LBB2_2312
.LBB2_2152:                             ;   in Loop: Header=BB2_1948 Depth=3
	s_or_b32 exec_lo, exec_lo, s18
	s_and_saveexec_b32 s18, s17
	s_cbranch_execz .LBB2_2154
.LBB2_2153:                             ;   in Loop: Header=BB2_1948 Depth=3
	v_bfe_u32 v94, v14, 16, 2
	v_bfe_u32 v105, v14, 18, 5
	v_lshlrev_b32_e32 v106, 8, v14
	v_ffbh_u32_e32 v95, v94
	v_cmp_eq_u32_e32 vcc_lo, 0, v105
	v_min_u32_e32 v95, 32, v95
	v_subrev_nc_u32_e32 v104, 29, v95
	v_sub_nc_u32_e32 v95, 30, v95
	v_lshlrev_b32_sdwa v104, v104, v14 dst_sel:DWORD dst_unused:UNUSED_PAD src0_sel:DWORD src1_sel:WORD_1
	v_cndmask_b32_e32 v95, v105, v95, vcc_lo
	v_and_b32_e32 v104, 3, v104
	v_lshl_add_u32 v95, v95, 23, 0x37800000
	v_cndmask_b32_e32 v94, v94, v104, vcc_lo
	v_and_b32_e32 v104, 0x80000000, v106
	v_lshlrev_b32_e32 v94, 21, v94
	v_or3_b32 v94, v104, v95, v94
.LBB2_2154:                             ;   in Loop: Header=BB2_1948 Depth=3
	s_or_b32 exec_lo, exec_lo, s18
	v_and_b32_sdwa v104, v10, v112 dst_sel:DWORD dst_unused:UNUSED_PAD src0_sel:WORD_1 src1_sel:DWORD
	s_mov_b32 s17, 0
	s_mov_b32 s18, exec_lo
	v_cmpx_lt_i16_e32 0x7f, v104
	s_xor_b32 s18, exec_lo, s18
	s_cbranch_execz .LBB2_2313
; %bb.2155:                             ;   in Loop: Header=BB2_1948 Depth=3
	s_mov_b32 s17, -1
	s_mov_b32 s22, exec_lo
	v_cmpx_eq_u16_e32 0x80, v104
; %bb.2156:                             ;   in Loop: Header=BB2_1948 Depth=3
	s_xor_b32 s17, exec_lo, -1
; %bb.2157:                             ;   in Loop: Header=BB2_1948 Depth=3
	s_or_b32 exec_lo, exec_lo, s22
	s_and_b32 s17, s17, exec_lo
                                        ; implicit-def: $vgpr104
	s_or_saveexec_b32 s18, s18
	v_mov_b32_e32 v95, 0x7f800001
	s_xor_b32 exec_lo, exec_lo, s18
	s_cbranch_execnz .LBB2_2314
.LBB2_2158:                             ;   in Loop: Header=BB2_1948 Depth=3
	s_or_b32 exec_lo, exec_lo, s18
	s_and_saveexec_b32 s18, s17
	s_cbranch_execz .LBB2_2160
.LBB2_2159:                             ;   in Loop: Header=BB2_1948 Depth=3
	v_and_b32_sdwa v95, v10, v113 dst_sel:DWORD dst_unused:UNUSED_PAD src0_sel:WORD_1 src1_sel:DWORD
	v_bfe_u32 v106, v10, 18, 5
	v_lshlrev_b32_sdwa v107, v103, v10 dst_sel:DWORD dst_unused:UNUSED_PAD src0_sel:DWORD src1_sel:WORD_1
	v_ffbh_u32_e32 v104, v95
	v_cmp_eq_u32_e32 vcc_lo, 0, v106
	v_min_u32_e32 v104, 32, v104
	v_subrev_nc_u32_e32 v105, 29, v104
	v_sub_nc_u32_e32 v104, 30, v104
	v_lshlrev_b32_sdwa v105, v105, v10 dst_sel:DWORD dst_unused:UNUSED_PAD src0_sel:DWORD src1_sel:WORD_1
	v_cndmask_b32_e32 v104, v106, v104, vcc_lo
	v_and_b32_e32 v105, 3, v105
	v_lshl_add_u32 v104, v104, 23, 0x37800000
	v_cndmask_b32_e32 v95, v95, v105, vcc_lo
	v_and_b32_e32 v105, 0x80000000, v107
	v_lshlrev_b32_e32 v95, 21, v95
	v_or3_b32 v95, v105, v104, v95
.LBB2_2160:                             ;   in Loop: Header=BB2_1948 Depth=3
	s_or_b32 exec_lo, exec_lo, s18
	v_mul_f32_e32 v95, v94, v95
	v_and_b32_e32 v94, 0x7f800000, v95
	v_cmp_ne_u32_e32 vcc_lo, 0x7f800000, v94
	v_mov_b32_e32 v94, 0x80
	s_and_saveexec_b32 s18, vcc_lo
	s_cbranch_execz .LBB2_2168
; %bb.2161:                             ;   in Loop: Header=BB2_1948 Depth=3
	v_mov_b32_e32 v94, 0
	s_mov_b32 s22, exec_lo
	v_cmpx_ne_u32_e32 0, v95
	s_cbranch_execz .LBB2_2167
; %bb.2162:                             ;   in Loop: Header=BB2_1948 Depth=3
	v_bfe_u32 v94, v95, 23, 8
	v_and_b32_e32 v104, 0x7fffff, v95
	v_sub_nc_u32_e32 v105, 0x70, v94
	v_cmp_gt_u32_e32 vcc_lo, 0x71, v94
	v_or_b32_e32 v106, 0x800000, v104
	v_cndmask_b32_e32 v105, 0, v105, vcc_lo
	v_cmp_eq_u32_e32 vcc_lo, 0, v94
	v_add_nc_u32_e32 v94, 0xffffff91, v94
	v_cndmask_b32_e64 v105, v105, 0x6f, vcc_lo
	v_cndmask_b32_e32 v104, v106, v104, vcc_lo
	v_cndmask_b32_e64 v94, v94, 0xffffff92, vcc_lo
	v_lshl_add_u32 v106, 0x200000, v105, -1
	v_lshrrev_b32_e32 v107, v105, v104
	v_lshlrev_b32_e64 v109, v105, 0x100000
	v_add_nc_u32_e32 v105, v105, v94
	v_and_b32_e32 v104, v106, v104
	v_bfe_u32 v108, v107, 21, 1
	v_cmp_eq_u32_e64 s17, v104, v109
	v_add_nc_u32_e32 v106, -1, v108
	v_cndmask_b32_e64 v104, 0, v106, s17
	v_lshrrev_b32_e32 v106, 23, v107
	s_mov_b32 s17, exec_lo
	v_add_nc_u32_e32 v104, v104, v107
	v_xor_b32_e32 v106, 1, v106
	v_and_b32_e32 v94, 0x1fffff, v104
	v_add_nc_u32_e32 v104, v94, v107
                                        ; implicit-def: $vgpr94
	v_cmpx_ne_u32_e64 v105, v106
	s_xor_b32 s17, exec_lo, s17
; %bb.2163:                             ;   in Loop: Header=BB2_1948 Depth=3
	v_cmp_lt_u32_e32 vcc_lo, 0xffffff, v104
	v_sub_nc_u32_e32 v94, v105, v106
	v_cndmask_b32_e64 v105, 0, 1, vcc_lo
	v_add_co_ci_u32_e64 v94, null, 0, v94, vcc_lo
	v_lshrrev_b32_e32 v104, v105, v104
; %bb.2164:                             ;   in Loop: Header=BB2_1948 Depth=3
	s_andn2_saveexec_b32 s17, s17
; %bb.2165:                             ;   in Loop: Header=BB2_1948 Depth=3
	v_bfe_u32 v94, v104, 23, 1
; %bb.2166:                             ;   in Loop: Header=BB2_1948 Depth=3
	s_or_b32 exec_lo, exec_lo, s17
	v_lshrrev_b32_e32 v104, 21, v104
	v_min_i32_e32 v105, 31, v94
	v_cmp_gt_i32_e32 vcc_lo, 32, v94
	v_and_b32_sdwa v95, v95, v101 dst_sel:DWORD dst_unused:UNUSED_PAD src0_sel:BYTE_3 src1_sel:DWORD
	v_lshlrev_b32_e32 v105, 2, v105
	v_cndmask_b32_e32 v104, 3, v104, vcc_lo
	v_and_b32_e32 v105, 0xfc, v105
	v_and_b32_e32 v106, 3, v104
	v_or_b32_e32 v94, v94, v104
	v_or3_b32 v95, v105, v95, v106
	v_cmp_ne_u32_e32 vcc_lo, 0, v94
	v_cndmask_b32_e32 v94, 0, v95, vcc_lo
.LBB2_2167:                             ;   in Loop: Header=BB2_1948 Depth=3
	s_or_b32 exec_lo, exec_lo, s22
.LBB2_2168:                             ;   in Loop: Header=BB2_1948 Depth=3
	s_or_b32 exec_lo, exec_lo, s18
	v_cmp_gt_i16_sdwa s18, v14, v100 src0_sel:BYTE_3 src1_sel:DWORD
	s_mov_b32 s17, 0
	s_and_saveexec_b32 s22, s18
	s_xor_b32 s18, exec_lo, s22
	s_cbranch_execz .LBB2_2315
; %bb.2169:                             ;   in Loop: Header=BB2_1948 Depth=3
	v_cmp_eq_u16_sdwa s23, v14, v101 src0_sel:BYTE_3 src1_sel:DWORD
	s_mov_b32 s17, -1
	s_and_saveexec_b32 s22, s23
; %bb.2170:                             ;   in Loop: Header=BB2_1948 Depth=3
	s_xor_b32 s17, exec_lo, -1
; %bb.2171:                             ;   in Loop: Header=BB2_1948 Depth=3
	s_or_b32 exec_lo, exec_lo, s22
	s_and_b32 s17, s17, exec_lo
	s_or_saveexec_b32 s18, s18
	v_mov_b32_e32 v95, 0x7f800001
	s_xor_b32 exec_lo, exec_lo, s18
	s_cbranch_execnz .LBB2_2316
.LBB2_2172:                             ;   in Loop: Header=BB2_1948 Depth=3
	s_or_b32 exec_lo, exec_lo, s18
	s_and_saveexec_b32 s18, s17
	s_cbranch_execz .LBB2_2174
.LBB2_2173:                             ;   in Loop: Header=BB2_1948 Depth=3
	v_bfe_u32 v95, v14, 24, 2
	v_bfe_u32 v106, v14, 26, 5
	v_ffbh_u32_e32 v104, v95
	v_cmp_eq_u32_e32 vcc_lo, 0, v106
	v_min_u32_e32 v104, 32, v104
	v_subrev_nc_u32_e32 v105, 29, v104
	v_sub_nc_u32_e32 v104, 30, v104
	v_lshlrev_b32_sdwa v105, v105, v14 dst_sel:DWORD dst_unused:UNUSED_PAD src0_sel:DWORD src1_sel:BYTE_3
	v_cndmask_b32_e32 v104, v106, v104, vcc_lo
	v_and_b32_e32 v14, 0x80000000, v14
	v_and_b32_e32 v105, 3, v105
	v_lshl_add_u32 v104, v104, 23, 0x37800000
	v_cndmask_b32_e32 v95, v95, v105, vcc_lo
	v_lshlrev_b32_e32 v95, 21, v95
	v_or3_b32 v95, v14, v104, v95
.LBB2_2174:                             ;   in Loop: Header=BB2_1948 Depth=3
	s_or_b32 exec_lo, exec_lo, s18
	v_cmp_gt_i16_sdwa s18, v10, v100 src0_sel:BYTE_3 src1_sel:DWORD
	s_mov_b32 s17, 0
	s_and_saveexec_b32 s22, s18
	s_xor_b32 s18, exec_lo, s22
	s_cbranch_execz .LBB2_2317
; %bb.2175:                             ;   in Loop: Header=BB2_1948 Depth=3
	v_cmp_eq_u16_sdwa s23, v10, v101 src0_sel:BYTE_3 src1_sel:DWORD
	s_mov_b32 s17, -1
	s_and_saveexec_b32 s22, s23
; %bb.2176:                             ;   in Loop: Header=BB2_1948 Depth=3
	s_xor_b32 s17, exec_lo, -1
; %bb.2177:                             ;   in Loop: Header=BB2_1948 Depth=3
	s_or_b32 exec_lo, exec_lo, s22
	s_and_b32 s17, s17, exec_lo
	s_or_saveexec_b32 s18, s18
	v_mov_b32_e32 v14, 0x7f800001
	s_xor_b32 exec_lo, exec_lo, s18
	s_cbranch_execnz .LBB2_2318
.LBB2_2178:                             ;   in Loop: Header=BB2_1948 Depth=3
	s_or_b32 exec_lo, exec_lo, s18
	s_and_saveexec_b32 s18, s17
	s_cbranch_execz .LBB2_2180
.LBB2_2179:                             ;   in Loop: Header=BB2_1948 Depth=3
	v_and_b32_sdwa v14, v10, v113 dst_sel:DWORD dst_unused:UNUSED_PAD src0_sel:BYTE_3 src1_sel:DWORD
	v_bfe_u32 v106, v10, 26, 5
	v_ffbh_u32_e32 v104, v14
	v_cmp_eq_u32_e32 vcc_lo, 0, v106
	v_min_u32_e32 v104, 32, v104
	v_subrev_nc_u32_e32 v105, 29, v104
	v_sub_nc_u32_e32 v104, 30, v104
	v_lshlrev_b32_sdwa v105, v105, v10 dst_sel:DWORD dst_unused:UNUSED_PAD src0_sel:DWORD src1_sel:BYTE_3
	v_cndmask_b32_e32 v104, v106, v104, vcc_lo
	v_and_b32_e32 v10, 0x80000000, v10
	v_and_b32_e32 v105, 3, v105
	v_lshl_add_u32 v104, v104, 23, 0x37800000
	v_cndmask_b32_e32 v14, v14, v105, vcc_lo
	v_lshlrev_b32_e32 v14, 21, v14
	v_or3_b32 v14, v10, v104, v14
.LBB2_2180:                             ;   in Loop: Header=BB2_1948 Depth=3
	s_or_b32 exec_lo, exec_lo, s18
	v_mul_f32_e32 v14, v95, v14
	v_and_b32_e32 v10, 0x7f800000, v14
	v_cmp_ne_u32_e32 vcc_lo, 0x7f800000, v10
	v_mov_b32_e32 v10, 0x8000
	s_and_saveexec_b32 s18, vcc_lo
	s_cbranch_execz .LBB2_2188
; %bb.2181:                             ;   in Loop: Header=BB2_1948 Depth=3
	v_mov_b32_e32 v10, 0
	s_mov_b32 s22, exec_lo
	v_cmpx_ne_u32_e32 0, v14
	s_cbranch_execz .LBB2_2187
; %bb.2182:                             ;   in Loop: Header=BB2_1948 Depth=3
	v_bfe_u32 v10, v14, 23, 8
	v_and_b32_e32 v95, 0x7fffff, v14
	v_sub_nc_u32_e32 v104, 0x70, v10
	v_cmp_gt_u32_e32 vcc_lo, 0x71, v10
	v_or_b32_e32 v105, 0x800000, v95
	v_cndmask_b32_e32 v104, 0, v104, vcc_lo
	v_cmp_eq_u32_e32 vcc_lo, 0, v10
	v_add_nc_u32_e32 v10, 0xffffff91, v10
	v_cndmask_b32_e64 v104, v104, 0x6f, vcc_lo
	v_cndmask_b32_e32 v95, v105, v95, vcc_lo
	v_cndmask_b32_e64 v10, v10, 0xffffff92, vcc_lo
	v_lshl_add_u32 v105, 0x200000, v104, -1
	v_lshrrev_b32_e32 v106, v104, v95
	v_lshlrev_b32_e64 v108, v104, 0x100000
	v_add_nc_u32_e32 v104, v104, v10
	v_and_b32_e32 v95, v105, v95
	v_bfe_u32 v107, v106, 21, 1
	v_cmp_eq_u32_e64 s17, v95, v108
	v_add_nc_u32_e32 v105, -1, v107
	v_cndmask_b32_e64 v95, 0, v105, s17
	v_lshrrev_b32_e32 v105, 23, v106
	s_mov_b32 s17, exec_lo
	v_add_nc_u32_e32 v95, v95, v106
	v_xor_b32_e32 v105, 1, v105
	v_and_b32_e32 v10, 0x1fffff, v95
	v_add_nc_u32_e32 v95, v10, v106
                                        ; implicit-def: $vgpr10
	v_cmpx_ne_u32_e64 v104, v105
	s_xor_b32 s17, exec_lo, s17
; %bb.2183:                             ;   in Loop: Header=BB2_1948 Depth=3
	v_cmp_lt_u32_e32 vcc_lo, 0xffffff, v95
	v_sub_nc_u32_e32 v10, v104, v105
	v_cndmask_b32_e64 v104, 0, 1, vcc_lo
	v_add_co_ci_u32_e64 v10, null, 0, v10, vcc_lo
	v_lshrrev_b32_e32 v95, v104, v95
; %bb.2184:                             ;   in Loop: Header=BB2_1948 Depth=3
	s_andn2_saveexec_b32 s17, s17
; %bb.2185:                             ;   in Loop: Header=BB2_1948 Depth=3
	v_bfe_u32 v10, v95, 23, 1
; %bb.2186:                             ;   in Loop: Header=BB2_1948 Depth=3
	s_or_b32 exec_lo, exec_lo, s17
	v_lshrrev_b32_e32 v95, 21, v95
	v_min_i32_e32 v104, 31, v10
	v_cmp_gt_i32_e32 vcc_lo, 32, v10
	v_and_b32_sdwa v14, v14, v101 dst_sel:DWORD dst_unused:UNUSED_PAD src0_sel:BYTE_3 src1_sel:DWORD
	v_lshlrev_b32_e32 v104, 2, v104
	v_cndmask_b32_e32 v95, 3, v95, vcc_lo
	v_and_b32_e32 v104, 0xfc, v104
	v_and_b32_e32 v105, 3, v95
	v_or_b32_e32 v10, v10, v95
	v_or3_b32 v14, v14, v104, v105
	v_cmp_ne_u32_e32 vcc_lo, 0, v10
	v_lshlrev_b32_e32 v14, 8, v14
	v_cndmask_b32_e32 v10, 0, v14, vcc_lo
.LBB2_2187:                             ;   in Loop: Header=BB2_1948 Depth=3
	s_or_b32 exec_lo, exec_lo, s22
.LBB2_2188:                             ;   in Loop: Header=BB2_1948 Depth=3
	s_or_b32 exec_lo, exec_lo, s18
	v_cmp_gt_i16_sdwa s18, v15, v100 src0_sel:BYTE_0 src1_sel:DWORD
	s_mov_b32 s17, 0
	s_and_saveexec_b32 s22, s18
	s_xor_b32 s18, exec_lo, s22
	s_cbranch_execz .LBB2_2319
; %bb.2189:                             ;   in Loop: Header=BB2_1948 Depth=3
	v_cmp_eq_u16_sdwa s23, v15, v101 src0_sel:BYTE_0 src1_sel:DWORD
	s_mov_b32 s17, -1
	s_and_saveexec_b32 s22, s23
; %bb.2190:                             ;   in Loop: Header=BB2_1948 Depth=3
	s_xor_b32 s17, exec_lo, -1
; %bb.2191:                             ;   in Loop: Header=BB2_1948 Depth=3
	s_or_b32 exec_lo, exec_lo, s22
	s_and_b32 s17, s17, exec_lo
	s_or_saveexec_b32 s18, s18
	v_mov_b32_e32 v14, 0x7f800001
	s_xor_b32 exec_lo, exec_lo, s18
	s_cbranch_execnz .LBB2_2320
.LBB2_2192:                             ;   in Loop: Header=BB2_1948 Depth=3
	s_or_b32 exec_lo, exec_lo, s18
	s_and_saveexec_b32 s18, s17
	s_cbranch_execz .LBB2_2194
.LBB2_2193:                             ;   in Loop: Header=BB2_1948 Depth=3
	v_and_b32_e32 v14, 3, v15
	v_bfe_u32 v105, v15, 2, 5
	v_lshlrev_b32_e32 v106, 24, v15
	v_ffbh_u32_e32 v95, v14
	v_cmp_eq_u32_e32 vcc_lo, 0, v105
	v_min_u32_e32 v95, 32, v95
	v_subrev_nc_u32_e32 v104, 29, v95
	v_sub_nc_u32_e32 v95, 30, v95
	v_lshlrev_b32_e32 v104, v104, v15
	v_cndmask_b32_e32 v95, v105, v95, vcc_lo
	v_and_b32_e32 v104, 3, v104
	v_lshl_add_u32 v95, v95, 23, 0x37800000
	v_cndmask_b32_e32 v14, v14, v104, vcc_lo
	v_and_b32_e32 v104, 0x80000000, v106
	v_lshlrev_b32_e32 v14, 21, v14
	v_or3_b32 v14, v104, v95, v14
.LBB2_2194:                             ;   in Loop: Header=BB2_1948 Depth=3
	s_or_b32 exec_lo, exec_lo, s18
	v_cmp_gt_i16_sdwa s18, v11, v100 src0_sel:BYTE_0 src1_sel:DWORD
	s_mov_b32 s17, 0
	s_and_saveexec_b32 s22, s18
	s_xor_b32 s18, exec_lo, s22
	s_cbranch_execz .LBB2_2321
; %bb.2195:                             ;   in Loop: Header=BB2_1948 Depth=3
	v_cmp_eq_u16_sdwa s23, v11, v101 src0_sel:BYTE_0 src1_sel:DWORD
	s_mov_b32 s17, -1
	s_and_saveexec_b32 s22, s23
; %bb.2196:                             ;   in Loop: Header=BB2_1948 Depth=3
	s_xor_b32 s17, exec_lo, -1
; %bb.2197:                             ;   in Loop: Header=BB2_1948 Depth=3
	s_or_b32 exec_lo, exec_lo, s22
	s_and_b32 s17, s17, exec_lo
	s_or_saveexec_b32 s18, s18
	v_mov_b32_e32 v95, 0x7f800001
	s_xor_b32 exec_lo, exec_lo, s18
	s_cbranch_execnz .LBB2_2322
.LBB2_2198:                             ;   in Loop: Header=BB2_1948 Depth=3
	s_or_b32 exec_lo, exec_lo, s18
	s_and_saveexec_b32 s18, s17
	s_cbranch_execz .LBB2_2200
.LBB2_2199:                             ;   in Loop: Header=BB2_1948 Depth=3
	v_and_b32_e32 v95, 3, v11
	v_bfe_u32 v106, v11, 2, 5
	v_lshlrev_b32_e32 v107, 24, v11
	v_ffbh_u32_e32 v104, v95
	v_cmp_eq_u32_e32 vcc_lo, 0, v106
	v_min_u32_e32 v104, 32, v104
	v_subrev_nc_u32_e32 v105, 29, v104
	v_sub_nc_u32_e32 v104, 30, v104
	v_lshlrev_b32_e32 v105, v105, v11
	v_cndmask_b32_e32 v104, v106, v104, vcc_lo
	v_and_b32_e32 v105, 3, v105
	v_lshl_add_u32 v104, v104, 23, 0x37800000
	v_cndmask_b32_e32 v95, v95, v105, vcc_lo
	v_and_b32_e32 v105, 0x80000000, v107
	v_lshlrev_b32_e32 v95, 21, v95
	v_or3_b32 v95, v105, v104, v95
.LBB2_2200:                             ;   in Loop: Header=BB2_1948 Depth=3
	s_or_b32 exec_lo, exec_lo, s18
	v_mul_f32_e32 v95, v14, v95
	v_and_b32_e32 v14, 0x7f800000, v95
	v_cmp_ne_u32_e32 vcc_lo, 0x7f800000, v14
	v_mov_b32_e32 v14, 0x80
	s_and_saveexec_b32 s18, vcc_lo
	s_cbranch_execz .LBB2_2208
; %bb.2201:                             ;   in Loop: Header=BB2_1948 Depth=3
	v_mov_b32_e32 v14, 0
	s_mov_b32 s22, exec_lo
	v_cmpx_ne_u32_e32 0, v95
	s_cbranch_execz .LBB2_2207
; %bb.2202:                             ;   in Loop: Header=BB2_1948 Depth=3
	v_bfe_u32 v14, v95, 23, 8
	v_and_b32_e32 v104, 0x7fffff, v95
	v_sub_nc_u32_e32 v105, 0x70, v14
	v_cmp_gt_u32_e32 vcc_lo, 0x71, v14
	v_or_b32_e32 v106, 0x800000, v104
	v_cndmask_b32_e32 v105, 0, v105, vcc_lo
	v_cmp_eq_u32_e32 vcc_lo, 0, v14
	v_add_nc_u32_e32 v14, 0xffffff91, v14
	v_cndmask_b32_e64 v105, v105, 0x6f, vcc_lo
	v_cndmask_b32_e32 v104, v106, v104, vcc_lo
	v_cndmask_b32_e64 v14, v14, 0xffffff92, vcc_lo
	v_lshl_add_u32 v106, 0x200000, v105, -1
	v_lshrrev_b32_e32 v107, v105, v104
	v_lshlrev_b32_e64 v109, v105, 0x100000
	v_add_nc_u32_e32 v105, v105, v14
	v_and_b32_e32 v104, v106, v104
	v_bfe_u32 v108, v107, 21, 1
	v_cmp_eq_u32_e64 s17, v104, v109
	v_add_nc_u32_e32 v106, -1, v108
	v_cndmask_b32_e64 v104, 0, v106, s17
	v_lshrrev_b32_e32 v106, 23, v107
	s_mov_b32 s17, exec_lo
	v_add_nc_u32_e32 v104, v104, v107
	v_xor_b32_e32 v106, 1, v106
	v_and_b32_e32 v14, 0x1fffff, v104
	v_add_nc_u32_e32 v104, v14, v107
                                        ; implicit-def: $vgpr14
	v_cmpx_ne_u32_e64 v105, v106
	s_xor_b32 s17, exec_lo, s17
; %bb.2203:                             ;   in Loop: Header=BB2_1948 Depth=3
	v_cmp_lt_u32_e32 vcc_lo, 0xffffff, v104
	v_sub_nc_u32_e32 v14, v105, v106
	v_cndmask_b32_e64 v105, 0, 1, vcc_lo
	v_add_co_ci_u32_e64 v14, null, 0, v14, vcc_lo
	v_lshrrev_b32_e32 v104, v105, v104
; %bb.2204:                             ;   in Loop: Header=BB2_1948 Depth=3
	s_andn2_saveexec_b32 s17, s17
; %bb.2205:                             ;   in Loop: Header=BB2_1948 Depth=3
	v_bfe_u32 v14, v104, 23, 1
; %bb.2206:                             ;   in Loop: Header=BB2_1948 Depth=3
	s_or_b32 exec_lo, exec_lo, s17
	v_lshrrev_b32_e32 v104, 21, v104
	v_min_i32_e32 v105, 31, v14
	v_cmp_gt_i32_e32 vcc_lo, 32, v14
	v_and_b32_sdwa v95, v95, v101 dst_sel:DWORD dst_unused:UNUSED_PAD src0_sel:BYTE_3 src1_sel:DWORD
	v_lshlrev_b32_e32 v105, 2, v105
	v_cndmask_b32_e32 v104, 3, v104, vcc_lo
	v_and_b32_e32 v105, 0xfc, v105
	v_and_b32_e32 v106, 3, v104
	v_or_b32_e32 v14, v14, v104
	v_or3_b32 v95, v105, v95, v106
	v_cmp_ne_u32_e32 vcc_lo, 0, v14
	v_cndmask_b32_e32 v14, 0, v95, vcc_lo
.LBB2_2207:                             ;   in Loop: Header=BB2_1948 Depth=3
	s_or_b32 exec_lo, exec_lo, s22
.LBB2_2208:                             ;   in Loop: Header=BB2_1948 Depth=3
	s_or_b32 exec_lo, exec_lo, s18
	v_cmp_gt_i16_sdwa s18, v15, v100 src0_sel:BYTE_1 src1_sel:DWORD
	s_mov_b32 s17, 0
	s_and_saveexec_b32 s22, s18
	s_xor_b32 s18, exec_lo, s22
	s_cbranch_execz .LBB2_2323
; %bb.2209:                             ;   in Loop: Header=BB2_1948 Depth=3
	v_cmp_eq_u16_sdwa s23, v15, v101 src0_sel:BYTE_1 src1_sel:DWORD
	s_mov_b32 s17, -1
	s_and_saveexec_b32 s22, s23
; %bb.2210:                             ;   in Loop: Header=BB2_1948 Depth=3
	s_xor_b32 s17, exec_lo, -1
; %bb.2211:                             ;   in Loop: Header=BB2_1948 Depth=3
	s_or_b32 exec_lo, exec_lo, s22
	s_and_b32 s17, s17, exec_lo
	s_or_saveexec_b32 s18, s18
	v_mov_b32_e32 v95, 0x7f800001
	s_xor_b32 exec_lo, exec_lo, s18
	s_cbranch_execnz .LBB2_2324
.LBB2_2212:                             ;   in Loop: Header=BB2_1948 Depth=3
	s_or_b32 exec_lo, exec_lo, s18
	s_and_saveexec_b32 s18, s17
	s_cbranch_execz .LBB2_2214
.LBB2_2213:                             ;   in Loop: Header=BB2_1948 Depth=3
	v_and_b32_sdwa v95, v102, v15 dst_sel:DWORD dst_unused:UNUSED_PAD src0_sel:DWORD src1_sel:BYTE_1
	v_and_b32_e32 v104, 3, v95
	v_bfe_u32 v107, v95, 2, 5
	v_ffbh_u32_e32 v105, v104
	v_cmp_eq_u32_e32 vcc_lo, 0, v107
	v_min_u32_e32 v105, 32, v105
	v_subrev_nc_u32_e32 v106, 29, v105
	v_sub_nc_u32_e32 v105, 30, v105
	v_lshlrev_b32_e32 v95, v106, v95
	v_lshlrev_b32_sdwa v106, v103, v15 dst_sel:DWORD dst_unused:UNUSED_PAD src0_sel:DWORD src1_sel:BYTE_1
	v_cndmask_b32_e32 v105, v107, v105, vcc_lo
	v_and_b32_e32 v95, 3, v95
	v_lshl_add_u32 v105, v105, 23, 0x37800000
	v_cndmask_b32_e32 v95, v104, v95, vcc_lo
	v_and_b32_e32 v104, 0x80000000, v106
	v_lshlrev_b32_e32 v95, 21, v95
	v_or3_b32 v95, v104, v105, v95
.LBB2_2214:                             ;   in Loop: Header=BB2_1948 Depth=3
	s_or_b32 exec_lo, exec_lo, s18
	v_cmp_gt_i16_sdwa s18, v11, v100 src0_sel:BYTE_1 src1_sel:DWORD
	s_mov_b32 s17, 0
	s_and_saveexec_b32 s22, s18
	s_xor_b32 s18, exec_lo, s22
	s_cbranch_execz .LBB2_2325
; %bb.2215:                             ;   in Loop: Header=BB2_1948 Depth=3
	v_cmp_eq_u16_sdwa s23, v11, v101 src0_sel:BYTE_1 src1_sel:DWORD
	s_mov_b32 s17, -1
	s_and_saveexec_b32 s22, s23
; %bb.2216:                             ;   in Loop: Header=BB2_1948 Depth=3
	s_xor_b32 s17, exec_lo, -1
; %bb.2217:                             ;   in Loop: Header=BB2_1948 Depth=3
	s_or_b32 exec_lo, exec_lo, s22
	s_and_b32 s17, s17, exec_lo
	s_or_saveexec_b32 s18, s18
	v_mov_b32_e32 v104, 0x7f800001
	s_xor_b32 exec_lo, exec_lo, s18
	s_cbranch_execnz .LBB2_2326
.LBB2_2218:                             ;   in Loop: Header=BB2_1948 Depth=3
	s_or_b32 exec_lo, exec_lo, s18
	s_and_saveexec_b32 s18, s17
	s_cbranch_execz .LBB2_2220
.LBB2_2219:                             ;   in Loop: Header=BB2_1948 Depth=3
	v_and_b32_sdwa v104, v102, v11 dst_sel:DWORD dst_unused:UNUSED_PAD src0_sel:DWORD src1_sel:BYTE_1
	v_and_b32_e32 v105, 3, v104
	v_bfe_u32 v108, v104, 2, 5
	v_ffbh_u32_e32 v106, v105
	v_cmp_eq_u32_e32 vcc_lo, 0, v108
	v_min_u32_e32 v106, 32, v106
	v_subrev_nc_u32_e32 v107, 29, v106
	v_sub_nc_u32_e32 v106, 30, v106
	v_lshlrev_b32_e32 v104, v107, v104
	v_lshlrev_b32_sdwa v107, v103, v11 dst_sel:DWORD dst_unused:UNUSED_PAD src0_sel:DWORD src1_sel:BYTE_1
	v_cndmask_b32_e32 v106, v108, v106, vcc_lo
	v_and_b32_e32 v104, 3, v104
	v_lshl_add_u32 v106, v106, 23, 0x37800000
	v_cndmask_b32_e32 v104, v105, v104, vcc_lo
	v_and_b32_e32 v105, 0x80000000, v107
	v_lshlrev_b32_e32 v104, 21, v104
	v_or3_b32 v104, v105, v106, v104
.LBB2_2220:                             ;   in Loop: Header=BB2_1948 Depth=3
	s_or_b32 exec_lo, exec_lo, s18
	v_mul_f32_e32 v104, v95, v104
	v_and_b32_e32 v95, 0x7f800000, v104
	v_cmp_ne_u32_e32 vcc_lo, 0x7f800000, v95
	v_mov_b32_e32 v95, 0x8000
	s_and_saveexec_b32 s18, vcc_lo
	s_cbranch_execz .LBB2_2228
; %bb.2221:                             ;   in Loop: Header=BB2_1948 Depth=3
	v_mov_b32_e32 v95, 0
	s_mov_b32 s22, exec_lo
	v_cmpx_ne_u32_e32 0, v104
	s_cbranch_execz .LBB2_2227
; %bb.2222:                             ;   in Loop: Header=BB2_1948 Depth=3
	v_bfe_u32 v95, v104, 23, 8
	v_and_b32_e32 v105, 0x7fffff, v104
	v_sub_nc_u32_e32 v106, 0x70, v95
	v_cmp_gt_u32_e32 vcc_lo, 0x71, v95
	v_or_b32_e32 v107, 0x800000, v105
	v_cndmask_b32_e32 v106, 0, v106, vcc_lo
	v_cmp_eq_u32_e32 vcc_lo, 0, v95
	v_add_nc_u32_e32 v95, 0xffffff91, v95
	v_cndmask_b32_e64 v106, v106, 0x6f, vcc_lo
	v_cndmask_b32_e32 v105, v107, v105, vcc_lo
	v_cndmask_b32_e64 v95, v95, 0xffffff92, vcc_lo
	v_lshl_add_u32 v107, 0x200000, v106, -1
	v_lshrrev_b32_e32 v108, v106, v105
	v_lshlrev_b32_e64 v110, v106, 0x100000
	v_add_nc_u32_e32 v106, v106, v95
	v_and_b32_e32 v105, v107, v105
	v_bfe_u32 v109, v108, 21, 1
	v_cmp_eq_u32_e64 s17, v105, v110
	v_add_nc_u32_e32 v107, -1, v109
	v_cndmask_b32_e64 v105, 0, v107, s17
	v_lshrrev_b32_e32 v107, 23, v108
	s_mov_b32 s17, exec_lo
	v_add_nc_u32_e32 v105, v105, v108
	v_xor_b32_e32 v107, 1, v107
	v_and_b32_e32 v95, 0x1fffff, v105
	v_add_nc_u32_e32 v105, v95, v108
                                        ; implicit-def: $vgpr95
	v_cmpx_ne_u32_e64 v106, v107
	s_xor_b32 s17, exec_lo, s17
; %bb.2223:                             ;   in Loop: Header=BB2_1948 Depth=3
	v_cmp_lt_u32_e32 vcc_lo, 0xffffff, v105
	v_sub_nc_u32_e32 v95, v106, v107
	v_cndmask_b32_e64 v106, 0, 1, vcc_lo
	v_add_co_ci_u32_e64 v95, null, 0, v95, vcc_lo
	v_lshrrev_b32_e32 v105, v106, v105
; %bb.2224:                             ;   in Loop: Header=BB2_1948 Depth=3
	s_andn2_saveexec_b32 s17, s17
; %bb.2225:                             ;   in Loop: Header=BB2_1948 Depth=3
	v_bfe_u32 v95, v105, 23, 1
; %bb.2226:                             ;   in Loop: Header=BB2_1948 Depth=3
	s_or_b32 exec_lo, exec_lo, s17
	v_lshrrev_b32_e32 v105, 21, v105
	v_min_i32_e32 v106, 31, v95
	v_cmp_gt_i32_e32 vcc_lo, 32, v95
	v_and_b32_sdwa v104, v104, v101 dst_sel:DWORD dst_unused:UNUSED_PAD src0_sel:BYTE_3 src1_sel:DWORD
	v_lshlrev_b32_e32 v106, 2, v106
	v_cndmask_b32_e32 v105, 3, v105, vcc_lo
	v_and_b32_e32 v106, 0xfc, v106
	v_and_b32_e32 v107, 3, v105
	v_or_b32_e32 v95, v95, v105
	v_or3_b32 v104, v104, v106, v107
	v_cmp_ne_u32_e32 vcc_lo, 0, v95
	v_lshlrev_b32_e32 v104, 8, v104
	v_cndmask_b32_e32 v95, 0, v104, vcc_lo
.LBB2_2227:                             ;   in Loop: Header=BB2_1948 Depth=3
	s_or_b32 exec_lo, exec_lo, s22
.LBB2_2228:                             ;   in Loop: Header=BB2_1948 Depth=3
	s_or_b32 exec_lo, exec_lo, s18
	v_and_b32_sdwa v105, v15, v112 dst_sel:DWORD dst_unused:UNUSED_PAD src0_sel:WORD_1 src1_sel:DWORD
	s_mov_b32 s17, 0
	s_mov_b32 s18, exec_lo
	v_cmpx_lt_i16_e32 0x7f, v105
	s_xor_b32 s18, exec_lo, s18
	s_cbranch_execz .LBB2_2327
; %bb.2229:                             ;   in Loop: Header=BB2_1948 Depth=3
	s_mov_b32 s17, -1
	s_mov_b32 s22, exec_lo
	v_cmpx_eq_u16_e32 0x80, v105
; %bb.2230:                             ;   in Loop: Header=BB2_1948 Depth=3
	s_xor_b32 s17, exec_lo, -1
; %bb.2231:                             ;   in Loop: Header=BB2_1948 Depth=3
	s_or_b32 exec_lo, exec_lo, s22
	s_and_b32 s17, s17, exec_lo
                                        ; implicit-def: $vgpr105
	s_or_saveexec_b32 s18, s18
	v_mov_b32_e32 v104, 0x7f800001
	s_xor_b32 exec_lo, exec_lo, s18
	s_cbranch_execnz .LBB2_2328
.LBB2_2232:                             ;   in Loop: Header=BB2_1948 Depth=3
	s_or_b32 exec_lo, exec_lo, s18
	s_and_saveexec_b32 s18, s17
	s_cbranch_execz .LBB2_2234
.LBB2_2233:                             ;   in Loop: Header=BB2_1948 Depth=3
	v_bfe_u32 v104, v15, 16, 2
	v_bfe_u32 v107, v15, 18, 5
	v_lshlrev_b32_e32 v108, 8, v15
	v_ffbh_u32_e32 v105, v104
	v_cmp_eq_u32_e32 vcc_lo, 0, v107
	v_min_u32_e32 v105, 32, v105
	v_subrev_nc_u32_e32 v106, 29, v105
	v_sub_nc_u32_e32 v105, 30, v105
	v_lshlrev_b32_sdwa v106, v106, v15 dst_sel:DWORD dst_unused:UNUSED_PAD src0_sel:DWORD src1_sel:WORD_1
	v_cndmask_b32_e32 v105, v107, v105, vcc_lo
	v_and_b32_e32 v106, 3, v106
	v_lshl_add_u32 v105, v105, 23, 0x37800000
	v_cndmask_b32_e32 v104, v104, v106, vcc_lo
	v_and_b32_e32 v106, 0x80000000, v108
	v_lshlrev_b32_e32 v104, 21, v104
	v_or3_b32 v104, v106, v105, v104
.LBB2_2234:                             ;   in Loop: Header=BB2_1948 Depth=3
	s_or_b32 exec_lo, exec_lo, s18
	v_and_b32_sdwa v106, v11, v112 dst_sel:DWORD dst_unused:UNUSED_PAD src0_sel:WORD_1 src1_sel:DWORD
	s_mov_b32 s17, 0
	s_mov_b32 s18, exec_lo
	v_cmpx_lt_i16_e32 0x7f, v106
	s_xor_b32 s18, exec_lo, s18
	s_cbranch_execz .LBB2_2329
; %bb.2235:                             ;   in Loop: Header=BB2_1948 Depth=3
	s_mov_b32 s17, -1
	s_mov_b32 s22, exec_lo
	v_cmpx_eq_u16_e32 0x80, v106
; %bb.2236:                             ;   in Loop: Header=BB2_1948 Depth=3
	s_xor_b32 s17, exec_lo, -1
; %bb.2237:                             ;   in Loop: Header=BB2_1948 Depth=3
	s_or_b32 exec_lo, exec_lo, s22
	s_and_b32 s17, s17, exec_lo
                                        ; implicit-def: $vgpr106
	s_or_saveexec_b32 s18, s18
	v_mov_b32_e32 v105, 0x7f800001
	s_xor_b32 exec_lo, exec_lo, s18
	s_cbranch_execnz .LBB2_2330
.LBB2_2238:                             ;   in Loop: Header=BB2_1948 Depth=3
	s_or_b32 exec_lo, exec_lo, s18
	s_and_saveexec_b32 s18, s17
	s_cbranch_execz .LBB2_2240
.LBB2_2239:                             ;   in Loop: Header=BB2_1948 Depth=3
	v_and_b32_sdwa v105, v11, v113 dst_sel:DWORD dst_unused:UNUSED_PAD src0_sel:WORD_1 src1_sel:DWORD
	v_bfe_u32 v108, v11, 18, 5
	v_lshlrev_b32_sdwa v109, v103, v11 dst_sel:DWORD dst_unused:UNUSED_PAD src0_sel:DWORD src1_sel:WORD_1
	v_ffbh_u32_e32 v106, v105
	v_cmp_eq_u32_e32 vcc_lo, 0, v108
	v_min_u32_e32 v106, 32, v106
	v_subrev_nc_u32_e32 v107, 29, v106
	v_sub_nc_u32_e32 v106, 30, v106
	v_lshlrev_b32_sdwa v107, v107, v11 dst_sel:DWORD dst_unused:UNUSED_PAD src0_sel:DWORD src1_sel:WORD_1
	v_cndmask_b32_e32 v106, v108, v106, vcc_lo
	v_and_b32_e32 v107, 3, v107
	v_lshl_add_u32 v106, v106, 23, 0x37800000
	v_cndmask_b32_e32 v105, v105, v107, vcc_lo
	v_and_b32_e32 v107, 0x80000000, v109
	v_lshlrev_b32_e32 v105, 21, v105
	v_or3_b32 v105, v107, v106, v105
.LBB2_2240:                             ;   in Loop: Header=BB2_1948 Depth=3
	s_or_b32 exec_lo, exec_lo, s18
	v_mul_f32_e32 v105, v104, v105
	v_and_b32_e32 v104, 0x7f800000, v105
	v_cmp_ne_u32_e32 vcc_lo, 0x7f800000, v104
	v_mov_b32_e32 v104, 0x80
	s_and_saveexec_b32 s18, vcc_lo
	s_cbranch_execz .LBB2_2248
; %bb.2241:                             ;   in Loop: Header=BB2_1948 Depth=3
	v_mov_b32_e32 v104, 0
	s_mov_b32 s22, exec_lo
	v_cmpx_ne_u32_e32 0, v105
	s_cbranch_execz .LBB2_2247
; %bb.2242:                             ;   in Loop: Header=BB2_1948 Depth=3
	v_bfe_u32 v104, v105, 23, 8
	v_and_b32_e32 v106, 0x7fffff, v105
	v_sub_nc_u32_e32 v107, 0x70, v104
	v_cmp_gt_u32_e32 vcc_lo, 0x71, v104
	v_or_b32_e32 v108, 0x800000, v106
	v_cndmask_b32_e32 v107, 0, v107, vcc_lo
	v_cmp_eq_u32_e32 vcc_lo, 0, v104
	v_add_nc_u32_e32 v104, 0xffffff91, v104
	v_cndmask_b32_e64 v107, v107, 0x6f, vcc_lo
	v_cndmask_b32_e32 v106, v108, v106, vcc_lo
	v_cndmask_b32_e64 v104, v104, 0xffffff92, vcc_lo
	v_lshl_add_u32 v108, 0x200000, v107, -1
	v_lshrrev_b32_e32 v109, v107, v106
	v_lshlrev_b32_e64 v111, v107, 0x100000
	v_add_nc_u32_e32 v107, v107, v104
	v_and_b32_e32 v106, v108, v106
	v_bfe_u32 v110, v109, 21, 1
	v_cmp_eq_u32_e64 s17, v106, v111
	v_add_nc_u32_e32 v108, -1, v110
	v_cndmask_b32_e64 v106, 0, v108, s17
	v_lshrrev_b32_e32 v108, 23, v109
	s_mov_b32 s17, exec_lo
	v_add_nc_u32_e32 v106, v106, v109
	v_xor_b32_e32 v108, 1, v108
	v_and_b32_e32 v104, 0x1fffff, v106
	v_add_nc_u32_e32 v106, v104, v109
                                        ; implicit-def: $vgpr104
	v_cmpx_ne_u32_e64 v107, v108
	s_xor_b32 s17, exec_lo, s17
; %bb.2243:                             ;   in Loop: Header=BB2_1948 Depth=3
	v_cmp_lt_u32_e32 vcc_lo, 0xffffff, v106
	v_sub_nc_u32_e32 v104, v107, v108
	v_cndmask_b32_e64 v107, 0, 1, vcc_lo
	v_add_co_ci_u32_e64 v104, null, 0, v104, vcc_lo
	v_lshrrev_b32_e32 v106, v107, v106
; %bb.2244:                             ;   in Loop: Header=BB2_1948 Depth=3
	s_andn2_saveexec_b32 s17, s17
; %bb.2245:                             ;   in Loop: Header=BB2_1948 Depth=3
	v_bfe_u32 v104, v106, 23, 1
; %bb.2246:                             ;   in Loop: Header=BB2_1948 Depth=3
	s_or_b32 exec_lo, exec_lo, s17
	v_lshrrev_b32_e32 v106, 21, v106
	v_min_i32_e32 v107, 31, v104
	v_cmp_gt_i32_e32 vcc_lo, 32, v104
	v_and_b32_sdwa v105, v105, v101 dst_sel:DWORD dst_unused:UNUSED_PAD src0_sel:BYTE_3 src1_sel:DWORD
	v_lshlrev_b32_e32 v107, 2, v107
	v_cndmask_b32_e32 v106, 3, v106, vcc_lo
	v_and_b32_e32 v107, 0xfc, v107
	v_and_b32_e32 v108, 3, v106
	v_or_b32_e32 v104, v104, v106
	v_or3_b32 v105, v107, v105, v108
	v_cmp_ne_u32_e32 vcc_lo, 0, v104
	v_cndmask_b32_e32 v104, 0, v105, vcc_lo
.LBB2_2247:                             ;   in Loop: Header=BB2_1948 Depth=3
	s_or_b32 exec_lo, exec_lo, s22
.LBB2_2248:                             ;   in Loop: Header=BB2_1948 Depth=3
	s_or_b32 exec_lo, exec_lo, s18
	v_cmp_gt_i16_sdwa s18, v15, v100 src0_sel:BYTE_3 src1_sel:DWORD
	s_mov_b32 s17, 0
	s_and_saveexec_b32 s22, s18
	s_xor_b32 s18, exec_lo, s22
	s_cbranch_execz .LBB2_2331
; %bb.2249:                             ;   in Loop: Header=BB2_1948 Depth=3
	v_cmp_eq_u16_sdwa s23, v15, v101 src0_sel:BYTE_3 src1_sel:DWORD
	s_mov_b32 s17, -1
	s_and_saveexec_b32 s22, s23
; %bb.2250:                             ;   in Loop: Header=BB2_1948 Depth=3
	s_xor_b32 s17, exec_lo, -1
; %bb.2251:                             ;   in Loop: Header=BB2_1948 Depth=3
	s_or_b32 exec_lo, exec_lo, s22
	s_and_b32 s17, s17, exec_lo
	s_or_saveexec_b32 s18, s18
	v_mov_b32_e32 v105, 0x7f800001
	s_xor_b32 exec_lo, exec_lo, s18
	s_cbranch_execnz .LBB2_2332
.LBB2_2252:                             ;   in Loop: Header=BB2_1948 Depth=3
	s_or_b32 exec_lo, exec_lo, s18
	s_and_saveexec_b32 s18, s17
	s_cbranch_execz .LBB2_2254
.LBB2_2253:                             ;   in Loop: Header=BB2_1948 Depth=3
	v_bfe_u32 v105, v15, 24, 2
	v_bfe_u32 v108, v15, 26, 5
	v_ffbh_u32_e32 v106, v105
	v_cmp_eq_u32_e32 vcc_lo, 0, v108
	v_min_u32_e32 v106, 32, v106
	v_subrev_nc_u32_e32 v107, 29, v106
	v_sub_nc_u32_e32 v106, 30, v106
	v_lshlrev_b32_sdwa v107, v107, v15 dst_sel:DWORD dst_unused:UNUSED_PAD src0_sel:DWORD src1_sel:BYTE_3
	v_cndmask_b32_e32 v106, v108, v106, vcc_lo
	v_and_b32_e32 v15, 0x80000000, v15
	v_and_b32_e32 v107, 3, v107
	v_lshl_add_u32 v106, v106, 23, 0x37800000
	v_cndmask_b32_e32 v105, v105, v107, vcc_lo
	v_lshlrev_b32_e32 v105, 21, v105
	v_or3_b32 v105, v15, v106, v105
.LBB2_2254:                             ;   in Loop: Header=BB2_1948 Depth=3
	s_or_b32 exec_lo, exec_lo, s18
	v_cmp_gt_i16_sdwa s18, v11, v100 src0_sel:BYTE_3 src1_sel:DWORD
	s_mov_b32 s17, 0
	s_and_saveexec_b32 s22, s18
	s_xor_b32 s18, exec_lo, s22
	s_cbranch_execz .LBB2_2333
; %bb.2255:                             ;   in Loop: Header=BB2_1948 Depth=3
	v_cmp_eq_u16_sdwa s23, v11, v101 src0_sel:BYTE_3 src1_sel:DWORD
	s_mov_b32 s17, -1
	s_and_saveexec_b32 s22, s23
; %bb.2256:                             ;   in Loop: Header=BB2_1948 Depth=3
	s_xor_b32 s17, exec_lo, -1
; %bb.2257:                             ;   in Loop: Header=BB2_1948 Depth=3
	s_or_b32 exec_lo, exec_lo, s22
	s_and_b32 s17, s17, exec_lo
	s_or_saveexec_b32 s18, s18
	v_mov_b32_e32 v15, 0x7f800001
	s_xor_b32 exec_lo, exec_lo, s18
	s_cbranch_execnz .LBB2_2334
.LBB2_2258:                             ;   in Loop: Header=BB2_1948 Depth=3
	s_or_b32 exec_lo, exec_lo, s18
	s_and_saveexec_b32 s18, s17
	s_cbranch_execz .LBB2_2260
.LBB2_2259:                             ;   in Loop: Header=BB2_1948 Depth=3
	v_and_b32_sdwa v15, v11, v113 dst_sel:DWORD dst_unused:UNUSED_PAD src0_sel:BYTE_3 src1_sel:DWORD
	v_bfe_u32 v108, v11, 26, 5
	v_ffbh_u32_e32 v106, v15
	v_cmp_eq_u32_e32 vcc_lo, 0, v108
	v_min_u32_e32 v106, 32, v106
	v_subrev_nc_u32_e32 v107, 29, v106
	v_sub_nc_u32_e32 v106, 30, v106
	v_lshlrev_b32_sdwa v107, v107, v11 dst_sel:DWORD dst_unused:UNUSED_PAD src0_sel:DWORD src1_sel:BYTE_3
	v_cndmask_b32_e32 v106, v108, v106, vcc_lo
	v_and_b32_e32 v11, 0x80000000, v11
	v_and_b32_e32 v107, 3, v107
	v_lshl_add_u32 v106, v106, 23, 0x37800000
	v_cndmask_b32_e32 v15, v15, v107, vcc_lo
	v_lshlrev_b32_e32 v15, 21, v15
	v_or3_b32 v15, v11, v106, v15
.LBB2_2260:                             ;   in Loop: Header=BB2_1948 Depth=3
	s_or_b32 exec_lo, exec_lo, s18
	v_mul_f32_e32 v11, v105, v15
	v_and_b32_e32 v15, 0x7f800000, v11
	v_cmp_ne_u32_e32 vcc_lo, 0x7f800000, v15
	v_mov_b32_e32 v15, 0x8000
	s_and_saveexec_b32 s18, vcc_lo
	s_cbranch_execz .LBB2_2268
; %bb.2261:                             ;   in Loop: Header=BB2_1948 Depth=3
	v_mov_b32_e32 v15, 0
	s_mov_b32 s22, exec_lo
	v_cmpx_ne_u32_e32 0, v11
	s_cbranch_execz .LBB2_2267
; %bb.2262:                             ;   in Loop: Header=BB2_1948 Depth=3
	v_bfe_u32 v15, v11, 23, 8
	v_and_b32_e32 v105, 0x7fffff, v11
	v_sub_nc_u32_e32 v106, 0x70, v15
	v_cmp_gt_u32_e32 vcc_lo, 0x71, v15
	v_or_b32_e32 v107, 0x800000, v105
	v_cndmask_b32_e32 v106, 0, v106, vcc_lo
	v_cmp_eq_u32_e32 vcc_lo, 0, v15
	v_add_nc_u32_e32 v15, 0xffffff91, v15
	v_cndmask_b32_e64 v106, v106, 0x6f, vcc_lo
	v_cndmask_b32_e32 v105, v107, v105, vcc_lo
	v_cndmask_b32_e64 v15, v15, 0xffffff92, vcc_lo
	v_lshl_add_u32 v107, 0x200000, v106, -1
	v_lshrrev_b32_e32 v108, v106, v105
	v_lshlrev_b32_e64 v110, v106, 0x100000
	v_add_nc_u32_e32 v106, v106, v15
	v_and_b32_e32 v105, v107, v105
	v_bfe_u32 v109, v108, 21, 1
	v_cmp_eq_u32_e64 s17, v105, v110
	v_add_nc_u32_e32 v107, -1, v109
	v_cndmask_b32_e64 v105, 0, v107, s17
	v_lshrrev_b32_e32 v107, 23, v108
	s_mov_b32 s17, exec_lo
	v_add_nc_u32_e32 v105, v105, v108
	v_xor_b32_e32 v107, 1, v107
	v_and_b32_e32 v15, 0x1fffff, v105
	v_add_nc_u32_e32 v105, v15, v108
                                        ; implicit-def: $vgpr15
	v_cmpx_ne_u32_e64 v106, v107
	s_xor_b32 s17, exec_lo, s17
; %bb.2263:                             ;   in Loop: Header=BB2_1948 Depth=3
	v_cmp_lt_u32_e32 vcc_lo, 0xffffff, v105
	v_sub_nc_u32_e32 v15, v106, v107
	v_cndmask_b32_e64 v106, 0, 1, vcc_lo
	v_add_co_ci_u32_e64 v15, null, 0, v15, vcc_lo
	v_lshrrev_b32_e32 v105, v106, v105
; %bb.2264:                             ;   in Loop: Header=BB2_1948 Depth=3
	s_andn2_saveexec_b32 s17, s17
; %bb.2265:                             ;   in Loop: Header=BB2_1948 Depth=3
	v_bfe_u32 v15, v105, 23, 1
; %bb.2266:                             ;   in Loop: Header=BB2_1948 Depth=3
	s_or_b32 exec_lo, exec_lo, s17
	v_lshrrev_b32_e32 v105, 21, v105
	v_min_i32_e32 v106, 31, v15
	v_cmp_gt_i32_e32 vcc_lo, 32, v15
	v_and_b32_sdwa v11, v11, v101 dst_sel:DWORD dst_unused:UNUSED_PAD src0_sel:BYTE_3 src1_sel:DWORD
	v_lshlrev_b32_e32 v106, 2, v106
	v_cndmask_b32_e32 v105, 3, v105, vcc_lo
	v_and_b32_e32 v106, 0xfc, v106
	v_and_b32_e32 v107, 3, v105
	v_or_b32_e32 v15, v15, v105
	v_or3_b32 v11, v11, v106, v107
	v_cmp_ne_u32_e32 vcc_lo, 0, v15
	v_lshlrev_b32_e32 v11, 8, v11
	v_cndmask_b32_e32 v15, 0, v11, vcc_lo
.LBB2_2267:                             ;   in Loop: Header=BB2_1948 Depth=3
	s_or_b32 exec_lo, exec_lo, s22
.LBB2_2268:                             ;   in Loop: Header=BB2_1948 Depth=3
	s_or_b32 exec_lo, exec_lo, s18
	v_or_b32_sdwa v9, v9, v92 dst_sel:WORD_1 dst_unused:UNUSED_PAD src0_sel:DWORD src1_sel:DWORD
	v_or_b32_sdwa v8, v8, v90 dst_sel:WORD_1 dst_unused:UNUSED_PAD src0_sel:DWORD src1_sel:DWORD
	;; [unrolled: 1-line block ×4, first 2 shown]
	s_mov_b64 s[22:23], 0
	v_or3_b32 v9, v91, v12, v9
	v_or3_b32 v8, v89, v88, v8
	;; [unrolled: 1-line block ×4, first 2 shown]
	s_mov_b32 s74, -1
	.p2align	6
.LBB2_2269:                             ;   Parent Loop BB2_47 Depth=1
                                        ;     Parent Loop BB2_1479 Depth=2
                                        ;       Parent Loop BB2_1948 Depth=3
                                        ; =>      This Inner Loop Header: Depth=4
	s_cmp_eq_u32 s22, 1
	s_cselect_b32 vcc_lo, -1, 0
	s_cmp_eq_u32 s22, 0
	v_cndmask_b32_e32 v12, v76, v78, vcc_lo
	v_cndmask_b32_e32 v13, v77, v79, vcc_lo
	s_mov_b64 s[22:23], 1
	v_add_co_u32 v14, s17, 0x200, v12
	v_add_co_ci_u32_e64 v15, null, 0, v13, s17
	s_cselect_b32 s17, -1, 0
	v_cndmask_b32_e32 v78, v78, v14, vcc_lo
	v_cndmask_b32_e64 v76, v76, v14, s17
	v_cndmask_b32_e32 v79, v79, v15, vcc_lo
	v_cndmask_b32_e64 v77, v77, v15, s17
	s_and_b32 s18, exec_lo, s74
	s_mov_b32 s74, 0
	s_mov_b32 vcc_lo, s18
	global_store_dwordx4 v[12:13], v[8:11], off glc slc
	s_cbranch_vccnz .LBB2_2269
; %bb.2270:                             ;   in Loop: Header=BB2_1948 Depth=3
	v_add_co_u32 v70, vcc_lo, v70, v56
	v_sub_nc_u32_e32 v75, v75, v116
	v_add_co_ci_u32_e64 v71, null, v71, v57, vcc_lo
	v_add_co_u32 v80, vcc_lo, v80, v56
	v_add_co_ci_u32_e64 v81, null, v81, v57, vcc_lo
	v_add_co_u32 v76, vcc_lo, v76, v40
	v_add_co_ci_u32_e64 v77, null, v77, v43, vcc_lo
	v_cmp_gt_i32_e32 vcc_lo, 16, v75
	v_add_co_u32 v78, s17, v78, v40
	v_add_co_ci_u32_e64 v79, null, v79, v43, s17
	v_sub_nc_u32_e32 v74, v74, v87
	s_or_b32 s73, vcc_lo, s73
	s_andn2_b32 exec_lo, exec_lo, s73
	s_cbranch_execnz .LBB2_1948
	s_branch .LBB2_2335
.LBB2_2271:                             ;   in Loop: Header=BB2_1948 Depth=3
	s_or_saveexec_b32 s18, s18
	v_mov_b32_e32 v88, 0x7f800001
	s_xor_b32 exec_lo, exec_lo, s18
	s_cbranch_execz .LBB2_1952
.LBB2_2272:                             ;   in Loop: Header=BB2_1948 Depth=3
	v_cmp_ne_u16_sdwa s22, v12, v2 src0_sel:BYTE_0 src1_sel:DWORD
	v_mov_b32_e32 v88, 0
	s_andn2_b32 s17, s17, exec_lo
	s_and_b32 s22, s22, exec_lo
	s_or_b32 s17, s17, s22
	s_or_b32 exec_lo, exec_lo, s18
	s_and_saveexec_b32 s18, s17
	s_cbranch_execnz .LBB2_1953
	s_branch .LBB2_1954
.LBB2_2273:                             ;   in Loop: Header=BB2_1948 Depth=3
	s_or_saveexec_b32 s18, s18
	v_mov_b32_e32 v89, 0x7f800001
	s_xor_b32 exec_lo, exec_lo, s18
	s_cbranch_execz .LBB2_1958
.LBB2_2274:                             ;   in Loop: Header=BB2_1948 Depth=3
	v_cmp_ne_u16_sdwa s22, v8, v2 src0_sel:BYTE_0 src1_sel:DWORD
	v_mov_b32_e32 v89, 0
	s_andn2_b32 s17, s17, exec_lo
	s_and_b32 s22, s22, exec_lo
	s_or_b32 s17, s17, s22
	s_or_b32 exec_lo, exec_lo, s18
	s_and_saveexec_b32 s18, s17
	s_cbranch_execnz .LBB2_1959
	s_branch .LBB2_1960
.LBB2_2275:                             ;   in Loop: Header=BB2_1948 Depth=3
	s_or_saveexec_b32 s18, s18
	v_mov_b32_e32 v89, 0x7f800001
	s_xor_b32 exec_lo, exec_lo, s18
	s_cbranch_execz .LBB2_1972
.LBB2_2276:                             ;   in Loop: Header=BB2_1948 Depth=3
	v_cmp_ne_u16_sdwa s22, v12, v2 src0_sel:BYTE_1 src1_sel:DWORD
	v_mov_b32_e32 v89, 0
	s_andn2_b32 s17, s17, exec_lo
	s_and_b32 s22, s22, exec_lo
	s_or_b32 s17, s17, s22
	s_or_b32 exec_lo, exec_lo, s18
	s_and_saveexec_b32 s18, s17
	s_cbranch_execnz .LBB2_1973
	s_branch .LBB2_1974
.LBB2_2277:                             ;   in Loop: Header=BB2_1948 Depth=3
	s_or_saveexec_b32 s18, s18
	v_mov_b32_e32 v90, 0x7f800001
	s_xor_b32 exec_lo, exec_lo, s18
	s_cbranch_execz .LBB2_1978
.LBB2_2278:                             ;   in Loop: Header=BB2_1948 Depth=3
	v_cmp_ne_u16_sdwa s22, v8, v2 src0_sel:BYTE_1 src1_sel:DWORD
	v_mov_b32_e32 v90, 0
	s_andn2_b32 s17, s17, exec_lo
	s_and_b32 s22, s22, exec_lo
	s_or_b32 s17, s17, s22
	s_or_b32 exec_lo, exec_lo, s18
	s_and_saveexec_b32 s18, s17
	s_cbranch_execnz .LBB2_1979
	s_branch .LBB2_1980
.LBB2_2279:                             ;   in Loop: Header=BB2_1948 Depth=3
	s_or_saveexec_b32 s18, s18
	v_mov_b32_e32 v90, 0x7f800001
	s_xor_b32 exec_lo, exec_lo, s18
	s_cbranch_execz .LBB2_1992
.LBB2_2280:                             ;   in Loop: Header=BB2_1948 Depth=3
	v_cmp_ne_u16_e32 vcc_lo, 0, v91
	v_mov_b32_e32 v90, 0
	s_andn2_b32 s17, s17, exec_lo
	s_and_b32 s22, vcc_lo, exec_lo
	s_or_b32 s17, s17, s22
	s_or_b32 exec_lo, exec_lo, s18
	s_and_saveexec_b32 s18, s17
	s_cbranch_execnz .LBB2_1993
	s_branch .LBB2_1994
.LBB2_2281:                             ;   in Loop: Header=BB2_1948 Depth=3
	s_or_saveexec_b32 s18, s18
	v_mov_b32_e32 v91, 0x7f800001
	s_xor_b32 exec_lo, exec_lo, s18
	s_cbranch_execz .LBB2_1998
.LBB2_2282:                             ;   in Loop: Header=BB2_1948 Depth=3
	v_cmp_ne_u16_e32 vcc_lo, 0, v92
	v_mov_b32_e32 v91, 0
	s_andn2_b32 s17, s17, exec_lo
	s_and_b32 s22, vcc_lo, exec_lo
	s_or_b32 s17, s17, s22
	s_or_b32 exec_lo, exec_lo, s18
	s_and_saveexec_b32 s18, s17
	s_cbranch_execnz .LBB2_1999
	s_branch .LBB2_2000
.LBB2_2283:                             ;   in Loop: Header=BB2_1948 Depth=3
	s_or_saveexec_b32 s18, s18
	v_mov_b32_e32 v91, 0x7f800001
	s_xor_b32 exec_lo, exec_lo, s18
	s_cbranch_execz .LBB2_2012
.LBB2_2284:                             ;   in Loop: Header=BB2_1948 Depth=3
	v_cmp_ne_u16_sdwa s22, v12, v2 src0_sel:BYTE_3 src1_sel:DWORD
	v_mov_b32_e32 v91, 0
	s_andn2_b32 s17, s17, exec_lo
	s_and_b32 s22, s22, exec_lo
	s_or_b32 s17, s17, s22
	s_or_b32 exec_lo, exec_lo, s18
	s_and_saveexec_b32 s18, s17
	s_cbranch_execnz .LBB2_2013
	s_branch .LBB2_2014
.LBB2_2285:                             ;   in Loop: Header=BB2_1948 Depth=3
	s_or_saveexec_b32 s18, s18
	v_mov_b32_e32 v12, 0x7f800001
	s_xor_b32 exec_lo, exec_lo, s18
	s_cbranch_execz .LBB2_2018
.LBB2_2286:                             ;   in Loop: Header=BB2_1948 Depth=3
	v_cmp_ne_u16_sdwa s22, v8, v2 src0_sel:BYTE_3 src1_sel:DWORD
	v_mov_b32_e32 v12, 0
	s_andn2_b32 s17, s17, exec_lo
	s_and_b32 s22, s22, exec_lo
	s_or_b32 s17, s17, s22
	s_or_b32 exec_lo, exec_lo, s18
	s_and_saveexec_b32 s18, s17
	s_cbranch_execnz .LBB2_2019
	s_branch .LBB2_2020
.LBB2_2287:                             ;   in Loop: Header=BB2_1948 Depth=3
	s_or_saveexec_b32 s18, s18
	v_mov_b32_e32 v12, 0x7f800001
	s_xor_b32 exec_lo, exec_lo, s18
	s_cbranch_execz .LBB2_2032
.LBB2_2288:                             ;   in Loop: Header=BB2_1948 Depth=3
	v_cmp_ne_u16_sdwa s22, v13, v2 src0_sel:BYTE_0 src1_sel:DWORD
	v_mov_b32_e32 v12, 0
	s_andn2_b32 s17, s17, exec_lo
	s_and_b32 s22, s22, exec_lo
	s_or_b32 s17, s17, s22
	s_or_b32 exec_lo, exec_lo, s18
	s_and_saveexec_b32 s18, s17
	s_cbranch_execnz .LBB2_2033
	s_branch .LBB2_2034
.LBB2_2289:                             ;   in Loop: Header=BB2_1948 Depth=3
	s_or_saveexec_b32 s18, s18
	v_mov_b32_e32 v91, 0x7f800001
	s_xor_b32 exec_lo, exec_lo, s18
	s_cbranch_execz .LBB2_2038
.LBB2_2290:                             ;   in Loop: Header=BB2_1948 Depth=3
	v_cmp_ne_u16_sdwa s22, v9, v2 src0_sel:BYTE_0 src1_sel:DWORD
	v_mov_b32_e32 v91, 0
	s_andn2_b32 s17, s17, exec_lo
	s_and_b32 s22, s22, exec_lo
	s_or_b32 s17, s17, s22
	s_or_b32 exec_lo, exec_lo, s18
	s_and_saveexec_b32 s18, s17
	s_cbranch_execnz .LBB2_2039
	s_branch .LBB2_2040
.LBB2_2291:                             ;   in Loop: Header=BB2_1948 Depth=3
	s_or_saveexec_b32 s18, s18
	v_mov_b32_e32 v91, 0x7f800001
	s_xor_b32 exec_lo, exec_lo, s18
	s_cbranch_execz .LBB2_2052
.LBB2_2292:                             ;   in Loop: Header=BB2_1948 Depth=3
	v_cmp_ne_u16_sdwa s22, v13, v2 src0_sel:BYTE_1 src1_sel:DWORD
	v_mov_b32_e32 v91, 0
	s_andn2_b32 s17, s17, exec_lo
	s_and_b32 s22, s22, exec_lo
	s_or_b32 s17, s17, s22
	s_or_b32 exec_lo, exec_lo, s18
	s_and_saveexec_b32 s18, s17
	s_cbranch_execnz .LBB2_2053
	s_branch .LBB2_2054
.LBB2_2293:                             ;   in Loop: Header=BB2_1948 Depth=3
	s_or_saveexec_b32 s18, s18
	v_mov_b32_e32 v92, 0x7f800001
	s_xor_b32 exec_lo, exec_lo, s18
	s_cbranch_execz .LBB2_2058
.LBB2_2294:                             ;   in Loop: Header=BB2_1948 Depth=3
	v_cmp_ne_u16_sdwa s22, v9, v2 src0_sel:BYTE_1 src1_sel:DWORD
	v_mov_b32_e32 v92, 0
	s_andn2_b32 s17, s17, exec_lo
	s_and_b32 s22, s22, exec_lo
	s_or_b32 s17, s17, s22
	s_or_b32 exec_lo, exec_lo, s18
	s_and_saveexec_b32 s18, s17
	s_cbranch_execnz .LBB2_2059
	s_branch .LBB2_2060
.LBB2_2295:                             ;   in Loop: Header=BB2_1948 Depth=3
	s_or_saveexec_b32 s18, s18
	v_mov_b32_e32 v92, 0x7f800001
	s_xor_b32 exec_lo, exec_lo, s18
	s_cbranch_execz .LBB2_2072
.LBB2_2296:                             ;   in Loop: Header=BB2_1948 Depth=3
	v_cmp_ne_u16_e32 vcc_lo, 0, v93
	v_mov_b32_e32 v92, 0
	s_andn2_b32 s17, s17, exec_lo
	s_and_b32 s22, vcc_lo, exec_lo
	s_or_b32 s17, s17, s22
	s_or_b32 exec_lo, exec_lo, s18
	s_and_saveexec_b32 s18, s17
	s_cbranch_execnz .LBB2_2073
	s_branch .LBB2_2074
.LBB2_2297:                             ;   in Loop: Header=BB2_1948 Depth=3
	s_or_saveexec_b32 s18, s18
	v_mov_b32_e32 v93, 0x7f800001
	s_xor_b32 exec_lo, exec_lo, s18
	s_cbranch_execz .LBB2_2078
.LBB2_2298:                             ;   in Loop: Header=BB2_1948 Depth=3
	v_cmp_ne_u16_e32 vcc_lo, 0, v94
	v_mov_b32_e32 v93, 0
	s_andn2_b32 s17, s17, exec_lo
	s_and_b32 s22, vcc_lo, exec_lo
	s_or_b32 s17, s17, s22
	s_or_b32 exec_lo, exec_lo, s18
	s_and_saveexec_b32 s18, s17
	s_cbranch_execnz .LBB2_2079
	s_branch .LBB2_2080
.LBB2_2299:                             ;   in Loop: Header=BB2_1948 Depth=3
	s_or_saveexec_b32 s18, s18
	v_mov_b32_e32 v93, 0x7f800001
	s_xor_b32 exec_lo, exec_lo, s18
	s_cbranch_execz .LBB2_2092
.LBB2_2300:                             ;   in Loop: Header=BB2_1948 Depth=3
	v_cmp_ne_u16_sdwa s22, v13, v2 src0_sel:BYTE_3 src1_sel:DWORD
	v_mov_b32_e32 v93, 0
	s_andn2_b32 s17, s17, exec_lo
	s_and_b32 s22, s22, exec_lo
	s_or_b32 s17, s17, s22
	s_or_b32 exec_lo, exec_lo, s18
	s_and_saveexec_b32 s18, s17
	s_cbranch_execnz .LBB2_2093
	s_branch .LBB2_2094
.LBB2_2301:                             ;   in Loop: Header=BB2_1948 Depth=3
	s_or_saveexec_b32 s18, s18
	v_mov_b32_e32 v13, 0x7f800001
	s_xor_b32 exec_lo, exec_lo, s18
	s_cbranch_execz .LBB2_2098
.LBB2_2302:                             ;   in Loop: Header=BB2_1948 Depth=3
	v_cmp_ne_u16_sdwa s22, v9, v2 src0_sel:BYTE_3 src1_sel:DWORD
	v_mov_b32_e32 v13, 0
	s_andn2_b32 s17, s17, exec_lo
	s_and_b32 s22, s22, exec_lo
	s_or_b32 s17, s17, s22
	s_or_b32 exec_lo, exec_lo, s18
	s_and_saveexec_b32 s18, s17
	s_cbranch_execnz .LBB2_2099
	s_branch .LBB2_2100
.LBB2_2303:                             ;   in Loop: Header=BB2_1948 Depth=3
	s_or_saveexec_b32 s18, s18
	v_mov_b32_e32 v13, 0x7f800001
	s_xor_b32 exec_lo, exec_lo, s18
	s_cbranch_execz .LBB2_2112
.LBB2_2304:                             ;   in Loop: Header=BB2_1948 Depth=3
	v_cmp_ne_u16_sdwa s22, v14, v2 src0_sel:BYTE_0 src1_sel:DWORD
	v_mov_b32_e32 v13, 0
	s_andn2_b32 s17, s17, exec_lo
	s_and_b32 s22, s22, exec_lo
	s_or_b32 s17, s17, s22
	s_or_b32 exec_lo, exec_lo, s18
	s_and_saveexec_b32 s18, s17
	s_cbranch_execnz .LBB2_2113
	s_branch .LBB2_2114
.LBB2_2305:                             ;   in Loop: Header=BB2_1948 Depth=3
	s_or_saveexec_b32 s18, s18
	v_mov_b32_e32 v93, 0x7f800001
	s_xor_b32 exec_lo, exec_lo, s18
	s_cbranch_execz .LBB2_2118
.LBB2_2306:                             ;   in Loop: Header=BB2_1948 Depth=3
	v_cmp_ne_u16_sdwa s22, v10, v2 src0_sel:BYTE_0 src1_sel:DWORD
	v_mov_b32_e32 v93, 0
	s_andn2_b32 s17, s17, exec_lo
	s_and_b32 s22, s22, exec_lo
	s_or_b32 s17, s17, s22
	s_or_b32 exec_lo, exec_lo, s18
	s_and_saveexec_b32 s18, s17
	s_cbranch_execnz .LBB2_2119
	s_branch .LBB2_2120
.LBB2_2307:                             ;   in Loop: Header=BB2_1948 Depth=3
	s_or_saveexec_b32 s18, s18
	v_mov_b32_e32 v93, 0x7f800001
	s_xor_b32 exec_lo, exec_lo, s18
	s_cbranch_execz .LBB2_2132
.LBB2_2308:                             ;   in Loop: Header=BB2_1948 Depth=3
	v_cmp_ne_u16_sdwa s22, v14, v2 src0_sel:BYTE_1 src1_sel:DWORD
	v_mov_b32_e32 v93, 0
	s_andn2_b32 s17, s17, exec_lo
	s_and_b32 s22, s22, exec_lo
	s_or_b32 s17, s17, s22
	s_or_b32 exec_lo, exec_lo, s18
	s_and_saveexec_b32 s18, s17
	s_cbranch_execnz .LBB2_2133
	s_branch .LBB2_2134
.LBB2_2309:                             ;   in Loop: Header=BB2_1948 Depth=3
	s_or_saveexec_b32 s18, s18
	v_mov_b32_e32 v94, 0x7f800001
	s_xor_b32 exec_lo, exec_lo, s18
	s_cbranch_execz .LBB2_2138
.LBB2_2310:                             ;   in Loop: Header=BB2_1948 Depth=3
	v_cmp_ne_u16_sdwa s22, v10, v2 src0_sel:BYTE_1 src1_sel:DWORD
	v_mov_b32_e32 v94, 0
	s_andn2_b32 s17, s17, exec_lo
	s_and_b32 s22, s22, exec_lo
	s_or_b32 s17, s17, s22
	s_or_b32 exec_lo, exec_lo, s18
	s_and_saveexec_b32 s18, s17
	s_cbranch_execnz .LBB2_2139
	s_branch .LBB2_2140
.LBB2_2311:                             ;   in Loop: Header=BB2_1948 Depth=3
	s_or_saveexec_b32 s18, s18
	v_mov_b32_e32 v94, 0x7f800001
	s_xor_b32 exec_lo, exec_lo, s18
	s_cbranch_execz .LBB2_2152
.LBB2_2312:                             ;   in Loop: Header=BB2_1948 Depth=3
	v_cmp_ne_u16_e32 vcc_lo, 0, v95
	v_mov_b32_e32 v94, 0
	s_andn2_b32 s17, s17, exec_lo
	s_and_b32 s22, vcc_lo, exec_lo
	s_or_b32 s17, s17, s22
	s_or_b32 exec_lo, exec_lo, s18
	s_and_saveexec_b32 s18, s17
	s_cbranch_execnz .LBB2_2153
	s_branch .LBB2_2154
.LBB2_2313:                             ;   in Loop: Header=BB2_1948 Depth=3
	s_or_saveexec_b32 s18, s18
	v_mov_b32_e32 v95, 0x7f800001
	s_xor_b32 exec_lo, exec_lo, s18
	s_cbranch_execz .LBB2_2158
.LBB2_2314:                             ;   in Loop: Header=BB2_1948 Depth=3
	v_cmp_ne_u16_e32 vcc_lo, 0, v104
	v_mov_b32_e32 v95, 0
	s_andn2_b32 s17, s17, exec_lo
	s_and_b32 s22, vcc_lo, exec_lo
	s_or_b32 s17, s17, s22
	s_or_b32 exec_lo, exec_lo, s18
	s_and_saveexec_b32 s18, s17
	s_cbranch_execnz .LBB2_2159
	s_branch .LBB2_2160
.LBB2_2315:                             ;   in Loop: Header=BB2_1948 Depth=3
	s_or_saveexec_b32 s18, s18
	v_mov_b32_e32 v95, 0x7f800001
	s_xor_b32 exec_lo, exec_lo, s18
	s_cbranch_execz .LBB2_2172
.LBB2_2316:                             ;   in Loop: Header=BB2_1948 Depth=3
	v_cmp_ne_u16_sdwa s22, v14, v2 src0_sel:BYTE_3 src1_sel:DWORD
	v_mov_b32_e32 v95, 0
	s_andn2_b32 s17, s17, exec_lo
	s_and_b32 s22, s22, exec_lo
	s_or_b32 s17, s17, s22
	s_or_b32 exec_lo, exec_lo, s18
	s_and_saveexec_b32 s18, s17
	s_cbranch_execnz .LBB2_2173
	s_branch .LBB2_2174
.LBB2_2317:                             ;   in Loop: Header=BB2_1948 Depth=3
	s_or_saveexec_b32 s18, s18
	v_mov_b32_e32 v14, 0x7f800001
	s_xor_b32 exec_lo, exec_lo, s18
	s_cbranch_execz .LBB2_2178
.LBB2_2318:                             ;   in Loop: Header=BB2_1948 Depth=3
	v_cmp_ne_u16_sdwa s22, v10, v2 src0_sel:BYTE_3 src1_sel:DWORD
	v_mov_b32_e32 v14, 0
	s_andn2_b32 s17, s17, exec_lo
	s_and_b32 s22, s22, exec_lo
	s_or_b32 s17, s17, s22
	s_or_b32 exec_lo, exec_lo, s18
	s_and_saveexec_b32 s18, s17
	s_cbranch_execnz .LBB2_2179
	s_branch .LBB2_2180
.LBB2_2319:                             ;   in Loop: Header=BB2_1948 Depth=3
	s_or_saveexec_b32 s18, s18
	v_mov_b32_e32 v14, 0x7f800001
	s_xor_b32 exec_lo, exec_lo, s18
	s_cbranch_execz .LBB2_2192
.LBB2_2320:                             ;   in Loop: Header=BB2_1948 Depth=3
	v_cmp_ne_u16_sdwa s22, v15, v2 src0_sel:BYTE_0 src1_sel:DWORD
	v_mov_b32_e32 v14, 0
	s_andn2_b32 s17, s17, exec_lo
	s_and_b32 s22, s22, exec_lo
	s_or_b32 s17, s17, s22
	s_or_b32 exec_lo, exec_lo, s18
	s_and_saveexec_b32 s18, s17
	s_cbranch_execnz .LBB2_2193
	s_branch .LBB2_2194
.LBB2_2321:                             ;   in Loop: Header=BB2_1948 Depth=3
	s_or_saveexec_b32 s18, s18
	v_mov_b32_e32 v95, 0x7f800001
	s_xor_b32 exec_lo, exec_lo, s18
	s_cbranch_execz .LBB2_2198
.LBB2_2322:                             ;   in Loop: Header=BB2_1948 Depth=3
	v_cmp_ne_u16_sdwa s22, v11, v2 src0_sel:BYTE_0 src1_sel:DWORD
	v_mov_b32_e32 v95, 0
	s_andn2_b32 s17, s17, exec_lo
	s_and_b32 s22, s22, exec_lo
	s_or_b32 s17, s17, s22
	s_or_b32 exec_lo, exec_lo, s18
	s_and_saveexec_b32 s18, s17
	s_cbranch_execnz .LBB2_2199
	s_branch .LBB2_2200
.LBB2_2323:                             ;   in Loop: Header=BB2_1948 Depth=3
	s_or_saveexec_b32 s18, s18
	v_mov_b32_e32 v95, 0x7f800001
	s_xor_b32 exec_lo, exec_lo, s18
	s_cbranch_execz .LBB2_2212
.LBB2_2324:                             ;   in Loop: Header=BB2_1948 Depth=3
	v_cmp_ne_u16_sdwa s22, v15, v2 src0_sel:BYTE_1 src1_sel:DWORD
	v_mov_b32_e32 v95, 0
	s_andn2_b32 s17, s17, exec_lo
	s_and_b32 s22, s22, exec_lo
	s_or_b32 s17, s17, s22
	s_or_b32 exec_lo, exec_lo, s18
	s_and_saveexec_b32 s18, s17
	s_cbranch_execnz .LBB2_2213
	s_branch .LBB2_2214
.LBB2_2325:                             ;   in Loop: Header=BB2_1948 Depth=3
	s_or_saveexec_b32 s18, s18
	v_mov_b32_e32 v104, 0x7f800001
	s_xor_b32 exec_lo, exec_lo, s18
	s_cbranch_execz .LBB2_2218
.LBB2_2326:                             ;   in Loop: Header=BB2_1948 Depth=3
	v_cmp_ne_u16_sdwa s22, v11, v2 src0_sel:BYTE_1 src1_sel:DWORD
	v_mov_b32_e32 v104, 0
	s_andn2_b32 s17, s17, exec_lo
	s_and_b32 s22, s22, exec_lo
	s_or_b32 s17, s17, s22
	s_or_b32 exec_lo, exec_lo, s18
	s_and_saveexec_b32 s18, s17
	s_cbranch_execnz .LBB2_2219
	s_branch .LBB2_2220
.LBB2_2327:                             ;   in Loop: Header=BB2_1948 Depth=3
	s_or_saveexec_b32 s18, s18
	v_mov_b32_e32 v104, 0x7f800001
	s_xor_b32 exec_lo, exec_lo, s18
	s_cbranch_execz .LBB2_2232
.LBB2_2328:                             ;   in Loop: Header=BB2_1948 Depth=3
	v_cmp_ne_u16_e32 vcc_lo, 0, v105
	v_mov_b32_e32 v104, 0
	s_andn2_b32 s17, s17, exec_lo
	s_and_b32 s22, vcc_lo, exec_lo
	s_or_b32 s17, s17, s22
	s_or_b32 exec_lo, exec_lo, s18
	s_and_saveexec_b32 s18, s17
	s_cbranch_execnz .LBB2_2233
	s_branch .LBB2_2234
.LBB2_2329:                             ;   in Loop: Header=BB2_1948 Depth=3
	s_or_saveexec_b32 s18, s18
	v_mov_b32_e32 v105, 0x7f800001
	s_xor_b32 exec_lo, exec_lo, s18
	s_cbranch_execz .LBB2_2238
.LBB2_2330:                             ;   in Loop: Header=BB2_1948 Depth=3
	v_cmp_ne_u16_e32 vcc_lo, 0, v106
	v_mov_b32_e32 v105, 0
	s_andn2_b32 s17, s17, exec_lo
	s_and_b32 s22, vcc_lo, exec_lo
	s_or_b32 s17, s17, s22
	s_or_b32 exec_lo, exec_lo, s18
	s_and_saveexec_b32 s18, s17
	s_cbranch_execnz .LBB2_2239
	s_branch .LBB2_2240
.LBB2_2331:                             ;   in Loop: Header=BB2_1948 Depth=3
	s_or_saveexec_b32 s18, s18
	v_mov_b32_e32 v105, 0x7f800001
	s_xor_b32 exec_lo, exec_lo, s18
	s_cbranch_execz .LBB2_2252
.LBB2_2332:                             ;   in Loop: Header=BB2_1948 Depth=3
	v_cmp_ne_u16_sdwa s22, v15, v2 src0_sel:BYTE_3 src1_sel:DWORD
	v_mov_b32_e32 v105, 0
	s_andn2_b32 s17, s17, exec_lo
	s_and_b32 s22, s22, exec_lo
	s_or_b32 s17, s17, s22
	s_or_b32 exec_lo, exec_lo, s18
	s_and_saveexec_b32 s18, s17
	s_cbranch_execnz .LBB2_2253
	s_branch .LBB2_2254
.LBB2_2333:                             ;   in Loop: Header=BB2_1948 Depth=3
	s_or_saveexec_b32 s18, s18
	v_mov_b32_e32 v15, 0x7f800001
	s_xor_b32 exec_lo, exec_lo, s18
	s_cbranch_execz .LBB2_2258
.LBB2_2334:                             ;   in Loop: Header=BB2_1948 Depth=3
	v_cmp_ne_u16_sdwa s22, v11, v2 src0_sel:BYTE_3 src1_sel:DWORD
	v_mov_b32_e32 v15, 0
	s_andn2_b32 s17, s17, exec_lo
	s_and_b32 s22, s22, exec_lo
	s_or_b32 s17, s17, s22
	s_or_b32 exec_lo, exec_lo, s18
	s_and_saveexec_b32 s18, s17
	s_cbranch_execnz .LBB2_2259
	s_branch .LBB2_2260
.LBB2_2335:                             ;   in Loop: Header=BB2_1479 Depth=2
	s_or_b32 exec_lo, exec_lo, s73
.LBB2_2336:                             ;   in Loop: Header=BB2_1479 Depth=2
	s_or_b32 exec_lo, exec_lo, s72
	v_and_b32_e32 v9, 15, v62
	v_mov_b32_e32 v70, 0
	s_mov_b32 s17, 0
	s_mov_b32 s18, exec_lo
                                        ; implicit-def: $vgpr80
                                        ; implicit-def: $vgpr8
	v_cndmask_b32_e64 v71, v63, v9, s16
	v_cmpx_ne_u32_e32 0, v71
	s_cbranch_execz .LBB2_2338
; %bb.2337:                             ;   in Loop: Header=BB2_1479 Depth=2
	v_cmp_lt_i32_e32 vcc_lo, 0, v74
	v_sub_nc_u32_e32 v9, v63, v9
	s_mov_b32 s17, exec_lo
	v_cndmask_b32_e32 v8, 0, v87, vcc_lo
	v_cndmask_b32_e64 v9, 0, v9, s16
	v_sub_nc_u32_e32 v8, v8, v74
	v_add3_u32 v70, v72, v61, v9
	v_lshl_add_u32 v80, v8, 5, v73
	v_ashrrev_i32_e32 v8, 31, v80
	v_lshrrev_b32_e32 v8, 27, v8
	v_add_nc_u32_e32 v8, v80, v8
	v_ashrrev_i32_e32 v8, 5, v8
.LBB2_2338:                             ;   in Loop: Header=BB2_1479 Depth=2
	s_or_b32 exec_lo, exec_lo, s18
	s_and_b32 s17, s17, exec_lo
.LBB2_2339:                             ;   in Loop: Header=BB2_1479 Depth=2
	s_or_b32 exec_lo, exec_lo, s19
	s_and_saveexec_b32 s22, s17
	s_cbranch_execz .LBB2_2566
.LBB2_2340:                             ;   in Loop: Header=BB2_1479 Depth=2
	v_ashrrev_i32_e32 v9, 31, v71
	s_mov_b32 s17, exec_lo
	v_add_nc_u32_sdwa v9, v71, v9 dst_sel:DWORD dst_unused:UNUSED_PAD src0_sel:DWORD src1_sel:BYTE_3
	v_ashrrev_i32_e32 v62, 8, v9
	v_ashrrev_i32_e32 v9, 31, v80
	v_sub_nc_u32_e32 v81, v62, v8
	v_lshrrev_b32_e32 v61, 27, v9
	v_cmpx_lt_i32_e32 0, v81
	s_cbranch_execz .LBB2_2536
; %bb.2341:                             ;   in Loop: Header=BB2_1479 Depth=2
	v_add_nc_u32_e32 v9, v80, v61
	s_trap 2
	ds_read_b64 v[14:15], v0
	v_lshlrev_b32_e32 v8, 8, v8
	s_mov_b32 s18, 0
	v_and_b32_e32 v9, 0xffffffe0, v9
	v_sub_nc_u32_e32 v9, v80, v9
	v_add3_u32 v63, v70, v9, v8
	v_ashrrev_i32_e32 v72, 31, v63
	v_add_co_u32 v8, vcc_lo, v63, v66
	v_add_co_ci_u32_e64 v9, null, v72, v67, vcc_lo
	v_add_co_u32 v10, vcc_lo, v63, v68
	v_add_co_ci_u32_e64 v11, null, v72, v69, vcc_lo
	;; [unrolled: 2-line block ×3, first 2 shown]
	s_waitcnt lgkmcnt(0)
	v_add_co_u32 v14, vcc_lo, v14, v63
	v_add_co_ci_u32_e64 v15, null, v15, v72, vcc_lo
	s_branch .LBB2_2345
.LBB2_2342:                             ;   in Loop: Header=BB2_2345 Depth=3
	s_or_b32 exec_lo, exec_lo, s16
	v_lshrrev_b32_e32 v73, 21, v73
	v_cmp_gt_i32_e32 vcc_lo, 32, v69
	v_min_i32_e32 v76, 31, v69
	v_and_b32_sdwa v68, v68, v101 dst_sel:DWORD dst_unused:UNUSED_PAD src0_sel:BYTE_3 src1_sel:DWORD
	v_cndmask_b32_e32 v73, 3, v73, vcc_lo
	v_lshlrev_b32_e32 v76, 2, v76
	v_and_b32_e32 v79, 3, v73
	v_or_b32_e32 v69, v69, v73
	v_or3_b32 v68, v76, v68, v79
	v_cmp_ne_u32_e32 vcc_lo, 0, v69
	v_cndmask_b32_e32 v69, 0, v68, vcc_lo
.LBB2_2343:                             ;   in Loop: Header=BB2_2345 Depth=3
	s_or_b32 exec_lo, exec_lo, s23
.LBB2_2344:                             ;   in Loop: Header=BB2_2345 Depth=3
	s_or_b32 exec_lo, exec_lo, s19
	v_add_co_u32 v12, vcc_lo, v12, v117
	v_sub_nc_u32_e32 v81, v81, v87
	v_add_co_ci_u32_e64 v13, null, 0, v13, vcc_lo
	v_add_co_u32 v14, vcc_lo, v14, v117
	flat_store_byte v[8:9], v63 glc slc
	flat_store_byte v[8:9], v74 offset:32 glc slc
	flat_store_byte v[8:9], v77 offset:64 glc slc
	;; [unrolled: 1-line block ×7, first 2 shown]
	flat_store_byte v[10:11], v63 glc slc
	flat_store_byte v[10:11], v74 offset:32 glc slc
	flat_store_byte v[10:11], v77 offset:64 glc slc
	;; [unrolled: 1-line block ×7, first 2 shown]
	v_add_co_ci_u32_e64 v15, null, 0, v15, vcc_lo
	v_add_co_u32 v8, vcc_lo, v8, v117
	v_add_co_ci_u32_e64 v9, null, 0, v9, vcc_lo
	v_cmp_gt_i32_e32 vcc_lo, 1, v81
	v_add_co_u32 v10, s16, v10, v117
	v_add_co_ci_u32_e64 v11, null, 0, v11, s16
	s_or_b32 s18, vcc_lo, s18
	s_andn2_b32 exec_lo, exec_lo, s18
	s_cbranch_execz .LBB2_2535
.LBB2_2345:                             ;   Parent Loop BB2_47 Depth=1
                                        ;     Parent Loop BB2_1479 Depth=2
                                        ; =>    This Inner Loop Header: Depth=3
	s_clause 0x7
	flat_load_ubyte v93, v[12:13] slc
	flat_load_ubyte v91, v[12:13] offset:32 slc
	flat_load_ubyte v90, v[12:13] offset:64 slc
	;; [unrolled: 1-line block ×7, first 2 shown]
	s_clause 0x7
	flat_load_ubyte v63, v[14:15] slc
	flat_load_ubyte v74, v[14:15] offset:32 slc
	flat_load_ubyte v77, v[14:15] offset:64 slc
	;; [unrolled: 1-line block ×7, first 2 shown]
	s_mov_b32 s16, 0
	s_mov_b32 s19, exec_lo
	s_waitcnt vmcnt(15) lgkmcnt(15)
	v_cmpx_lt_i16_e32 0x7f, v93
	s_xor_b32 s19, exec_lo, s19
	s_cbranch_execz .LBB2_2503
; %bb.2346:                             ;   in Loop: Header=BB2_2345 Depth=3
	s_mov_b32 s16, -1
	s_mov_b32 s23, exec_lo
	v_cmpx_eq_u16_e32 0x80, v93
; %bb.2347:                             ;   in Loop: Header=BB2_2345 Depth=3
	s_xor_b32 s16, exec_lo, -1
; %bb.2348:                             ;   in Loop: Header=BB2_2345 Depth=3
	s_or_b32 exec_lo, exec_lo, s23
	s_and_b32 s16, s16, exec_lo
	s_or_saveexec_b32 s19, s19
	v_mov_b32_e32 v92, 0x7f800001
	s_xor_b32 exec_lo, exec_lo, s19
	s_cbranch_execnz .LBB2_2504
.LBB2_2349:                             ;   in Loop: Header=BB2_2345 Depth=3
	s_or_b32 exec_lo, exec_lo, s19
	s_and_saveexec_b32 s19, s16
	s_cbranch_execz .LBB2_2351
.LBB2_2350:                             ;   in Loop: Header=BB2_2345 Depth=3
	v_and_b32_e32 v92, 0xffff, v93
	v_lshlrev_b32_e32 v93, 24, v93
	v_and_b32_e32 v94, 3, v92
	v_bfe_u32 v105, v92, 2, 5
	v_and_b32_e32 v93, 0x80000000, v93
	v_ffbh_u32_e32 v95, v94
	v_cmp_eq_u32_e32 vcc_lo, 0, v105
	v_min_u32_e32 v95, 32, v95
	v_subrev_nc_u32_e32 v104, 29, v95
	v_sub_nc_u32_e32 v95, 30, v95
	v_lshlrev_b32_e32 v92, v104, v92
	v_cndmask_b32_e32 v95, v105, v95, vcc_lo
	v_and_b32_e32 v92, 3, v92
	v_cndmask_b32_e32 v92, v94, v92, vcc_lo
	v_lshl_add_u32 v94, v95, 23, 0x37800000
	v_lshlrev_b32_e32 v92, 21, v92
	v_or3_b32 v92, v93, v94, v92
.LBB2_2351:                             ;   in Loop: Header=BB2_2345 Depth=3
	s_or_b32 exec_lo, exec_lo, s19
	s_waitcnt vmcnt(7) lgkmcnt(7)
	v_cmp_gt_i16_sdwa s19, v63, v100 src0_sel:BYTE_0 src1_sel:DWORD
	s_mov_b32 s16, 0
	s_and_saveexec_b32 s23, s19
	s_xor_b32 s19, exec_lo, s23
	s_cbranch_execz .LBB2_2505
; %bb.2352:                             ;   in Loop: Header=BB2_2345 Depth=3
	v_cmp_eq_u16_sdwa s72, v63, v101 src0_sel:BYTE_0 src1_sel:DWORD
	s_mov_b32 s16, -1
	s_and_saveexec_b32 s23, s72
; %bb.2353:                             ;   in Loop: Header=BB2_2345 Depth=3
	s_xor_b32 s16, exec_lo, -1
; %bb.2354:                             ;   in Loop: Header=BB2_2345 Depth=3
	s_or_b32 exec_lo, exec_lo, s23
	s_and_b32 s16, s16, exec_lo
	s_or_saveexec_b32 s19, s19
	v_mov_b32_e32 v93, 0x7f800001
	s_xor_b32 exec_lo, exec_lo, s19
	s_cbranch_execnz .LBB2_2506
.LBB2_2355:                             ;   in Loop: Header=BB2_2345 Depth=3
	s_or_b32 exec_lo, exec_lo, s19
	s_and_saveexec_b32 s19, s16
	s_cbranch_execz .LBB2_2357
.LBB2_2356:                             ;   in Loop: Header=BB2_2345 Depth=3
	v_and_b32_e32 v93, 3, v63
	v_lshrrev_b16 v95, 2, v63
	v_ffbh_u32_e32 v94, v93
	v_and_b32_e32 v95, 31, v95
	v_min_u32_e32 v94, 32, v94
	v_cmp_eq_u32_e32 vcc_lo, 0, v95
	v_subrev_nc_u32_e32 v104, 29, v94
	v_sub_nc_u32_e32 v94, 30, v94
	v_lshlrev_b32_e32 v104, v104, v63
	v_lshlrev_b32_e32 v63, 24, v63
	v_cndmask_b32_e32 v94, v95, v94, vcc_lo
	v_and_b32_e32 v104, 3, v104
	v_and_b32_e32 v63, 0x80000000, v63
	v_lshl_add_u32 v94, v94, 23, 0x37800000
	v_cndmask_b32_e32 v93, v93, v104, vcc_lo
	v_lshlrev_b32_e32 v93, 21, v93
	v_or3_b32 v93, v63, v94, v93
.LBB2_2357:                             ;   in Loop: Header=BB2_2345 Depth=3
	s_or_b32 exec_lo, exec_lo, s19
	v_mul_f32_e32 v92, v92, v93
	v_and_b32_e32 v63, 0x7f800000, v92
	v_cmp_ne_u32_e32 vcc_lo, 0x7f800000, v63
	v_mov_b32_e32 v63, 0x80
	s_and_saveexec_b32 s19, vcc_lo
	s_cbranch_execz .LBB2_2365
; %bb.2358:                             ;   in Loop: Header=BB2_2345 Depth=3
	v_mov_b32_e32 v63, 0
	s_mov_b32 s23, exec_lo
	v_cmpx_ne_u32_e32 0, v92
	s_cbranch_execz .LBB2_2364
; %bb.2359:                             ;   in Loop: Header=BB2_2345 Depth=3
	v_bfe_u32 v63, v92, 23, 8
	v_and_b32_e32 v93, 0x7fffff, v92
	v_sub_nc_u32_e32 v94, 0x70, v63
	v_cmp_gt_u32_e32 vcc_lo, 0x71, v63
	v_or_b32_e32 v95, 0x800000, v93
	v_cndmask_b32_e32 v94, 0, v94, vcc_lo
	v_cmp_eq_u32_e32 vcc_lo, 0, v63
	v_add_nc_u32_e32 v63, 0xffffff91, v63
	v_cndmask_b32_e64 v94, v94, 0x6f, vcc_lo
	v_cndmask_b32_e32 v93, v95, v93, vcc_lo
	v_cndmask_b32_e64 v63, v63, 0xffffff92, vcc_lo
	v_lshl_add_u32 v95, 0x200000, v94, -1
	v_lshrrev_b32_e32 v104, v94, v93
	v_lshlrev_b32_e64 v106, v94, 0x100000
	v_add_nc_u32_e32 v94, v94, v63
	v_and_b32_e32 v93, v95, v93
	v_bfe_u32 v105, v104, 21, 1
	v_cmp_eq_u32_e64 s16, v93, v106
	v_add_nc_u32_e32 v95, -1, v105
	v_cndmask_b32_e64 v93, 0, v95, s16
	v_lshrrev_b32_e32 v95, 23, v104
	s_mov_b32 s16, exec_lo
	v_add_nc_u32_e32 v93, v93, v104
	v_xor_b32_e32 v95, 1, v95
	v_and_b32_e32 v63, 0x1fffff, v93
	v_add_nc_u32_e32 v93, v63, v104
                                        ; implicit-def: $vgpr63
	v_cmpx_ne_u32_e64 v94, v95
	s_xor_b32 s16, exec_lo, s16
; %bb.2360:                             ;   in Loop: Header=BB2_2345 Depth=3
	v_cmp_lt_u32_e32 vcc_lo, 0xffffff, v93
	v_sub_nc_u32_e32 v63, v94, v95
	v_cndmask_b32_e64 v94, 0, 1, vcc_lo
	v_add_co_ci_u32_e64 v63, null, 0, v63, vcc_lo
	v_lshrrev_b32_e32 v93, v94, v93
; %bb.2361:                             ;   in Loop: Header=BB2_2345 Depth=3
	s_andn2_saveexec_b32 s16, s16
; %bb.2362:                             ;   in Loop: Header=BB2_2345 Depth=3
	v_bfe_u32 v63, v93, 23, 1
; %bb.2363:                             ;   in Loop: Header=BB2_2345 Depth=3
	s_or_b32 exec_lo, exec_lo, s16
	v_lshrrev_b32_e32 v93, 21, v93
	v_cmp_gt_i32_e32 vcc_lo, 32, v63
	v_min_i32_e32 v94, 31, v63
	v_and_b32_sdwa v92, v92, v101 dst_sel:DWORD dst_unused:UNUSED_PAD src0_sel:BYTE_3 src1_sel:DWORD
	v_cndmask_b32_e32 v93, 3, v93, vcc_lo
	v_lshlrev_b32_e32 v94, 2, v94
	v_and_b32_e32 v95, 3, v93
	v_or_b32_e32 v63, v63, v93
	v_or3_b32 v92, v94, v92, v95
	v_cmp_ne_u32_e32 vcc_lo, 0, v63
	v_cndmask_b32_e32 v63, 0, v92, vcc_lo
.LBB2_2364:                             ;   in Loop: Header=BB2_2345 Depth=3
	s_or_b32 exec_lo, exec_lo, s23
.LBB2_2365:                             ;   in Loop: Header=BB2_2345 Depth=3
	s_or_b32 exec_lo, exec_lo, s19
	v_cmp_gt_i16_sdwa s19, v91, v100 src0_sel:BYTE_0 src1_sel:DWORD
	s_mov_b32 s16, 0
	s_and_saveexec_b32 s23, s19
	s_xor_b32 s19, exec_lo, s23
	s_cbranch_execz .LBB2_2507
; %bb.2366:                             ;   in Loop: Header=BB2_2345 Depth=3
	v_cmp_eq_u16_sdwa s72, v91, v101 src0_sel:BYTE_0 src1_sel:DWORD
	s_mov_b32 s16, -1
	s_and_saveexec_b32 s23, s72
; %bb.2367:                             ;   in Loop: Header=BB2_2345 Depth=3
	s_xor_b32 s16, exec_lo, -1
; %bb.2368:                             ;   in Loop: Header=BB2_2345 Depth=3
	s_or_b32 exec_lo, exec_lo, s23
	s_and_b32 s16, s16, exec_lo
	s_or_saveexec_b32 s19, s19
	v_mov_b32_e32 v92, 0x7f800001
	s_xor_b32 exec_lo, exec_lo, s19
	s_cbranch_execnz .LBB2_2508
.LBB2_2369:                             ;   in Loop: Header=BB2_2345 Depth=3
	s_or_b32 exec_lo, exec_lo, s19
	s_and_saveexec_b32 s19, s16
	s_cbranch_execz .LBB2_2371
.LBB2_2370:                             ;   in Loop: Header=BB2_2345 Depth=3
	v_and_b32_e32 v92, 3, v91
	v_lshrrev_b16 v94, 2, v91
	v_ffbh_u32_e32 v93, v92
	v_and_b32_e32 v94, 31, v94
	v_min_u32_e32 v93, 32, v93
	v_cmp_eq_u32_e32 vcc_lo, 0, v94
	v_subrev_nc_u32_e32 v95, 29, v93
	v_sub_nc_u32_e32 v93, 30, v93
	v_lshlrev_b32_e32 v95, v95, v91
	v_lshlrev_b32_e32 v91, 24, v91
	v_cndmask_b32_e32 v93, v94, v93, vcc_lo
	v_and_b32_e32 v95, 3, v95
	v_and_b32_e32 v91, 0x80000000, v91
	v_lshl_add_u32 v93, v93, 23, 0x37800000
	v_cndmask_b32_e32 v92, v92, v95, vcc_lo
	v_lshlrev_b32_e32 v92, 21, v92
	v_or3_b32 v92, v91, v93, v92
.LBB2_2371:                             ;   in Loop: Header=BB2_2345 Depth=3
	s_or_b32 exec_lo, exec_lo, s19
	s_waitcnt vmcnt(6) lgkmcnt(6)
	v_cmp_gt_i16_sdwa s19, v74, v100 src0_sel:BYTE_0 src1_sel:DWORD
	s_mov_b32 s16, 0
	s_and_saveexec_b32 s23, s19
	s_xor_b32 s19, exec_lo, s23
	s_cbranch_execz .LBB2_2509
; %bb.2372:                             ;   in Loop: Header=BB2_2345 Depth=3
	v_cmp_eq_u16_sdwa s72, v74, v101 src0_sel:BYTE_0 src1_sel:DWORD
	s_mov_b32 s16, -1
	s_and_saveexec_b32 s23, s72
; %bb.2373:                             ;   in Loop: Header=BB2_2345 Depth=3
	s_xor_b32 s16, exec_lo, -1
; %bb.2374:                             ;   in Loop: Header=BB2_2345 Depth=3
	s_or_b32 exec_lo, exec_lo, s23
	s_and_b32 s16, s16, exec_lo
	s_or_saveexec_b32 s19, s19
	v_mov_b32_e32 v91, 0x7f800001
	s_xor_b32 exec_lo, exec_lo, s19
	s_cbranch_execnz .LBB2_2510
.LBB2_2375:                             ;   in Loop: Header=BB2_2345 Depth=3
	s_or_b32 exec_lo, exec_lo, s19
	s_and_saveexec_b32 s19, s16
	s_cbranch_execz .LBB2_2377
.LBB2_2376:                             ;   in Loop: Header=BB2_2345 Depth=3
	v_and_b32_e32 v91, 3, v74
	v_lshrrev_b16 v94, 2, v74
	v_ffbh_u32_e32 v93, v91
	v_and_b32_e32 v94, 31, v94
	v_min_u32_e32 v93, 32, v93
	v_cmp_eq_u32_e32 vcc_lo, 0, v94
	v_subrev_nc_u32_e32 v95, 29, v93
	v_sub_nc_u32_e32 v93, 30, v93
	v_lshlrev_b32_e32 v95, v95, v74
	v_lshlrev_b32_e32 v74, 24, v74
	v_cndmask_b32_e32 v93, v94, v93, vcc_lo
	v_and_b32_e32 v95, 3, v95
	v_and_b32_e32 v74, 0x80000000, v74
	v_lshl_add_u32 v93, v93, 23, 0x37800000
	v_cndmask_b32_e32 v91, v91, v95, vcc_lo
	v_lshlrev_b32_e32 v91, 21, v91
	v_or3_b32 v91, v74, v93, v91
.LBB2_2377:                             ;   in Loop: Header=BB2_2345 Depth=3
	s_or_b32 exec_lo, exec_lo, s19
	v_mul_f32_e32 v91, v92, v91
	v_and_b32_e32 v74, 0x7f800000, v91
	v_cmp_ne_u32_e32 vcc_lo, 0x7f800000, v74
	v_mov_b32_e32 v74, 0x80
	s_and_saveexec_b32 s19, vcc_lo
	s_cbranch_execz .LBB2_2385
; %bb.2378:                             ;   in Loop: Header=BB2_2345 Depth=3
	v_mov_b32_e32 v74, 0
	s_mov_b32 s23, exec_lo
	v_cmpx_ne_u32_e32 0, v91
	s_cbranch_execz .LBB2_2384
; %bb.2379:                             ;   in Loop: Header=BB2_2345 Depth=3
	v_bfe_u32 v74, v91, 23, 8
	v_and_b32_e32 v92, 0x7fffff, v91
	v_sub_nc_u32_e32 v93, 0x70, v74
	v_cmp_gt_u32_e32 vcc_lo, 0x71, v74
	v_or_b32_e32 v94, 0x800000, v92
	v_cndmask_b32_e32 v93, 0, v93, vcc_lo
	v_cmp_eq_u32_e32 vcc_lo, 0, v74
	v_add_nc_u32_e32 v74, 0xffffff91, v74
	v_cndmask_b32_e64 v93, v93, 0x6f, vcc_lo
	v_cndmask_b32_e32 v92, v94, v92, vcc_lo
	v_cndmask_b32_e64 v74, v74, 0xffffff92, vcc_lo
	v_lshl_add_u32 v94, 0x200000, v93, -1
	v_lshrrev_b32_e32 v95, v93, v92
	v_lshlrev_b32_e64 v105, v93, 0x100000
	v_add_nc_u32_e32 v93, v93, v74
	v_and_b32_e32 v92, v94, v92
	v_bfe_u32 v104, v95, 21, 1
	v_cmp_eq_u32_e64 s16, v92, v105
	v_add_nc_u32_e32 v94, -1, v104
	v_cndmask_b32_e64 v92, 0, v94, s16
	v_lshrrev_b32_e32 v94, 23, v95
	s_mov_b32 s16, exec_lo
	v_add_nc_u32_e32 v92, v92, v95
	v_xor_b32_e32 v94, 1, v94
	v_and_b32_e32 v74, 0x1fffff, v92
	v_add_nc_u32_e32 v92, v74, v95
                                        ; implicit-def: $vgpr74
	v_cmpx_ne_u32_e64 v93, v94
	s_xor_b32 s16, exec_lo, s16
; %bb.2380:                             ;   in Loop: Header=BB2_2345 Depth=3
	v_cmp_lt_u32_e32 vcc_lo, 0xffffff, v92
	v_sub_nc_u32_e32 v74, v93, v94
	v_cndmask_b32_e64 v93, 0, 1, vcc_lo
	v_add_co_ci_u32_e64 v74, null, 0, v74, vcc_lo
	v_lshrrev_b32_e32 v92, v93, v92
; %bb.2381:                             ;   in Loop: Header=BB2_2345 Depth=3
	s_andn2_saveexec_b32 s16, s16
; %bb.2382:                             ;   in Loop: Header=BB2_2345 Depth=3
	v_bfe_u32 v74, v92, 23, 1
; %bb.2383:                             ;   in Loop: Header=BB2_2345 Depth=3
	s_or_b32 exec_lo, exec_lo, s16
	v_lshrrev_b32_e32 v92, 21, v92
	v_cmp_gt_i32_e32 vcc_lo, 32, v74
	v_min_i32_e32 v93, 31, v74
	v_and_b32_sdwa v91, v91, v101 dst_sel:DWORD dst_unused:UNUSED_PAD src0_sel:BYTE_3 src1_sel:DWORD
	v_cndmask_b32_e32 v92, 3, v92, vcc_lo
	v_lshlrev_b32_e32 v93, 2, v93
	v_and_b32_e32 v94, 3, v92
	v_or_b32_e32 v74, v74, v92
	v_or3_b32 v91, v93, v91, v94
	v_cmp_ne_u32_e32 vcc_lo, 0, v74
	v_cndmask_b32_e32 v74, 0, v91, vcc_lo
.LBB2_2384:                             ;   in Loop: Header=BB2_2345 Depth=3
	s_or_b32 exec_lo, exec_lo, s23
.LBB2_2385:                             ;   in Loop: Header=BB2_2345 Depth=3
	s_or_b32 exec_lo, exec_lo, s19
	v_cmp_gt_i16_sdwa s19, v90, v100 src0_sel:BYTE_0 src1_sel:DWORD
	s_mov_b32 s16, 0
	s_and_saveexec_b32 s23, s19
	s_xor_b32 s19, exec_lo, s23
	s_cbranch_execz .LBB2_2511
; %bb.2386:                             ;   in Loop: Header=BB2_2345 Depth=3
	v_cmp_eq_u16_sdwa s72, v90, v101 src0_sel:BYTE_0 src1_sel:DWORD
	s_mov_b32 s16, -1
	s_and_saveexec_b32 s23, s72
; %bb.2387:                             ;   in Loop: Header=BB2_2345 Depth=3
	s_xor_b32 s16, exec_lo, -1
; %bb.2388:                             ;   in Loop: Header=BB2_2345 Depth=3
	s_or_b32 exec_lo, exec_lo, s23
	s_and_b32 s16, s16, exec_lo
	s_or_saveexec_b32 s19, s19
	v_mov_b32_e32 v91, 0x7f800001
	s_xor_b32 exec_lo, exec_lo, s19
	s_cbranch_execnz .LBB2_2512
.LBB2_2389:                             ;   in Loop: Header=BB2_2345 Depth=3
	s_or_b32 exec_lo, exec_lo, s19
	s_and_saveexec_b32 s19, s16
	s_cbranch_execz .LBB2_2391
.LBB2_2390:                             ;   in Loop: Header=BB2_2345 Depth=3
	v_and_b32_e32 v91, 3, v90
	v_lshrrev_b16 v93, 2, v90
	v_ffbh_u32_e32 v92, v91
	v_and_b32_e32 v93, 31, v93
	v_min_u32_e32 v92, 32, v92
	v_cmp_eq_u32_e32 vcc_lo, 0, v93
	v_subrev_nc_u32_e32 v94, 29, v92
	v_sub_nc_u32_e32 v92, 30, v92
	v_lshlrev_b32_e32 v94, v94, v90
	v_lshlrev_b32_e32 v90, 24, v90
	v_cndmask_b32_e32 v92, v93, v92, vcc_lo
	v_and_b32_e32 v94, 3, v94
	v_and_b32_e32 v90, 0x80000000, v90
	v_lshl_add_u32 v92, v92, 23, 0x37800000
	v_cndmask_b32_e32 v91, v91, v94, vcc_lo
	v_lshlrev_b32_e32 v91, 21, v91
	v_or3_b32 v91, v90, v92, v91
.LBB2_2391:                             ;   in Loop: Header=BB2_2345 Depth=3
	s_or_b32 exec_lo, exec_lo, s19
	s_waitcnt vmcnt(5) lgkmcnt(5)
	v_cmp_gt_i16_sdwa s19, v77, v100 src0_sel:BYTE_0 src1_sel:DWORD
	s_mov_b32 s16, 0
	s_and_saveexec_b32 s23, s19
	s_xor_b32 s19, exec_lo, s23
	s_cbranch_execz .LBB2_2513
; %bb.2392:                             ;   in Loop: Header=BB2_2345 Depth=3
	v_cmp_eq_u16_sdwa s72, v77, v101 src0_sel:BYTE_0 src1_sel:DWORD
	s_mov_b32 s16, -1
	s_and_saveexec_b32 s23, s72
; %bb.2393:                             ;   in Loop: Header=BB2_2345 Depth=3
	s_xor_b32 s16, exec_lo, -1
; %bb.2394:                             ;   in Loop: Header=BB2_2345 Depth=3
	s_or_b32 exec_lo, exec_lo, s23
	s_and_b32 s16, s16, exec_lo
	s_or_saveexec_b32 s19, s19
	v_mov_b32_e32 v90, 0x7f800001
	s_xor_b32 exec_lo, exec_lo, s19
	s_cbranch_execnz .LBB2_2514
.LBB2_2395:                             ;   in Loop: Header=BB2_2345 Depth=3
	s_or_b32 exec_lo, exec_lo, s19
	s_and_saveexec_b32 s19, s16
	s_cbranch_execz .LBB2_2397
.LBB2_2396:                             ;   in Loop: Header=BB2_2345 Depth=3
	v_and_b32_e32 v90, 3, v77
	v_lshrrev_b16 v93, 2, v77
	v_ffbh_u32_e32 v92, v90
	v_and_b32_e32 v93, 31, v93
	v_min_u32_e32 v92, 32, v92
	v_cmp_eq_u32_e32 vcc_lo, 0, v93
	v_subrev_nc_u32_e32 v94, 29, v92
	v_sub_nc_u32_e32 v92, 30, v92
	v_lshlrev_b32_e32 v94, v94, v77
	v_lshlrev_b32_e32 v77, 24, v77
	v_cndmask_b32_e32 v92, v93, v92, vcc_lo
	v_and_b32_e32 v94, 3, v94
	v_and_b32_e32 v77, 0x80000000, v77
	v_lshl_add_u32 v92, v92, 23, 0x37800000
	v_cndmask_b32_e32 v90, v90, v94, vcc_lo
	v_lshlrev_b32_e32 v90, 21, v90
	v_or3_b32 v90, v77, v92, v90
.LBB2_2397:                             ;   in Loop: Header=BB2_2345 Depth=3
	s_or_b32 exec_lo, exec_lo, s19
	v_mul_f32_e32 v90, v91, v90
	v_and_b32_e32 v77, 0x7f800000, v90
	v_cmp_ne_u32_e32 vcc_lo, 0x7f800000, v77
	v_mov_b32_e32 v77, 0x80
	s_and_saveexec_b32 s19, vcc_lo
	s_cbranch_execz .LBB2_2405
; %bb.2398:                             ;   in Loop: Header=BB2_2345 Depth=3
	v_mov_b32_e32 v77, 0
	s_mov_b32 s23, exec_lo
	v_cmpx_ne_u32_e32 0, v90
	s_cbranch_execz .LBB2_2404
; %bb.2399:                             ;   in Loop: Header=BB2_2345 Depth=3
	v_bfe_u32 v77, v90, 23, 8
	v_and_b32_e32 v91, 0x7fffff, v90
	v_sub_nc_u32_e32 v92, 0x70, v77
	v_cmp_gt_u32_e32 vcc_lo, 0x71, v77
	v_or_b32_e32 v93, 0x800000, v91
	v_cndmask_b32_e32 v92, 0, v92, vcc_lo
	v_cmp_eq_u32_e32 vcc_lo, 0, v77
	v_add_nc_u32_e32 v77, 0xffffff91, v77
	v_cndmask_b32_e64 v92, v92, 0x6f, vcc_lo
	v_cndmask_b32_e32 v91, v93, v91, vcc_lo
	v_cndmask_b32_e64 v77, v77, 0xffffff92, vcc_lo
	v_lshl_add_u32 v93, 0x200000, v92, -1
	v_lshrrev_b32_e32 v94, v92, v91
	v_lshlrev_b32_e64 v104, v92, 0x100000
	v_add_nc_u32_e32 v92, v92, v77
	v_and_b32_e32 v91, v93, v91
	v_bfe_u32 v95, v94, 21, 1
	v_cmp_eq_u32_e64 s16, v91, v104
	v_add_nc_u32_e32 v93, -1, v95
	v_cndmask_b32_e64 v91, 0, v93, s16
	v_lshrrev_b32_e32 v93, 23, v94
	s_mov_b32 s16, exec_lo
	v_add_nc_u32_e32 v91, v91, v94
	v_xor_b32_e32 v93, 1, v93
	v_and_b32_e32 v77, 0x1fffff, v91
	v_add_nc_u32_e32 v91, v77, v94
                                        ; implicit-def: $vgpr77
	v_cmpx_ne_u32_e64 v92, v93
	s_xor_b32 s16, exec_lo, s16
; %bb.2400:                             ;   in Loop: Header=BB2_2345 Depth=3
	v_cmp_lt_u32_e32 vcc_lo, 0xffffff, v91
	v_sub_nc_u32_e32 v77, v92, v93
	v_cndmask_b32_e64 v92, 0, 1, vcc_lo
	v_add_co_ci_u32_e64 v77, null, 0, v77, vcc_lo
	v_lshrrev_b32_e32 v91, v92, v91
; %bb.2401:                             ;   in Loop: Header=BB2_2345 Depth=3
	s_andn2_saveexec_b32 s16, s16
; %bb.2402:                             ;   in Loop: Header=BB2_2345 Depth=3
	v_bfe_u32 v77, v91, 23, 1
; %bb.2403:                             ;   in Loop: Header=BB2_2345 Depth=3
	s_or_b32 exec_lo, exec_lo, s16
	v_lshrrev_b32_e32 v91, 21, v91
	v_cmp_gt_i32_e32 vcc_lo, 32, v77
	v_min_i32_e32 v92, 31, v77
	v_and_b32_sdwa v90, v90, v101 dst_sel:DWORD dst_unused:UNUSED_PAD src0_sel:BYTE_3 src1_sel:DWORD
	v_cndmask_b32_e32 v91, 3, v91, vcc_lo
	v_lshlrev_b32_e32 v92, 2, v92
	v_and_b32_e32 v93, 3, v91
	v_or_b32_e32 v77, v77, v91
	v_or3_b32 v90, v92, v90, v93
	v_cmp_ne_u32_e32 vcc_lo, 0, v77
	v_cndmask_b32_e32 v77, 0, v90, vcc_lo
.LBB2_2404:                             ;   in Loop: Header=BB2_2345 Depth=3
	s_or_b32 exec_lo, exec_lo, s23
.LBB2_2405:                             ;   in Loop: Header=BB2_2345 Depth=3
	s_or_b32 exec_lo, exec_lo, s19
	v_cmp_gt_i16_sdwa s19, v89, v100 src0_sel:BYTE_0 src1_sel:DWORD
	s_mov_b32 s16, 0
	s_and_saveexec_b32 s23, s19
	s_xor_b32 s19, exec_lo, s23
	s_cbranch_execz .LBB2_2515
; %bb.2406:                             ;   in Loop: Header=BB2_2345 Depth=3
	v_cmp_eq_u16_sdwa s72, v89, v101 src0_sel:BYTE_0 src1_sel:DWORD
	s_mov_b32 s16, -1
	s_and_saveexec_b32 s23, s72
; %bb.2407:                             ;   in Loop: Header=BB2_2345 Depth=3
	s_xor_b32 s16, exec_lo, -1
; %bb.2408:                             ;   in Loop: Header=BB2_2345 Depth=3
	s_or_b32 exec_lo, exec_lo, s23
	s_and_b32 s16, s16, exec_lo
	s_or_saveexec_b32 s19, s19
	v_mov_b32_e32 v90, 0x7f800001
	s_xor_b32 exec_lo, exec_lo, s19
	s_cbranch_execnz .LBB2_2516
.LBB2_2409:                             ;   in Loop: Header=BB2_2345 Depth=3
	s_or_b32 exec_lo, exec_lo, s19
	s_and_saveexec_b32 s19, s16
	s_cbranch_execz .LBB2_2411
.LBB2_2410:                             ;   in Loop: Header=BB2_2345 Depth=3
	v_and_b32_e32 v90, 3, v89
	v_lshrrev_b16 v92, 2, v89
	v_ffbh_u32_e32 v91, v90
	v_and_b32_e32 v92, 31, v92
	v_min_u32_e32 v91, 32, v91
	v_cmp_eq_u32_e32 vcc_lo, 0, v92
	v_subrev_nc_u32_e32 v93, 29, v91
	v_sub_nc_u32_e32 v91, 30, v91
	v_lshlrev_b32_e32 v93, v93, v89
	v_lshlrev_b32_e32 v89, 24, v89
	v_cndmask_b32_e32 v91, v92, v91, vcc_lo
	v_and_b32_e32 v93, 3, v93
	v_and_b32_e32 v89, 0x80000000, v89
	v_lshl_add_u32 v91, v91, 23, 0x37800000
	v_cndmask_b32_e32 v90, v90, v93, vcc_lo
	v_lshlrev_b32_e32 v90, 21, v90
	v_or3_b32 v90, v89, v91, v90
.LBB2_2411:                             ;   in Loop: Header=BB2_2345 Depth=3
	s_or_b32 exec_lo, exec_lo, s19
	s_waitcnt vmcnt(4) lgkmcnt(4)
	v_cmp_gt_i16_sdwa s19, v88, v100 src0_sel:BYTE_0 src1_sel:DWORD
	s_mov_b32 s16, 0
	s_and_saveexec_b32 s23, s19
	s_xor_b32 s19, exec_lo, s23
	s_cbranch_execz .LBB2_2517
; %bb.2412:                             ;   in Loop: Header=BB2_2345 Depth=3
	v_cmp_eq_u16_sdwa s72, v88, v101 src0_sel:BYTE_0 src1_sel:DWORD
	s_mov_b32 s16, -1
	s_and_saveexec_b32 s23, s72
; %bb.2413:                             ;   in Loop: Header=BB2_2345 Depth=3
	s_xor_b32 s16, exec_lo, -1
; %bb.2414:                             ;   in Loop: Header=BB2_2345 Depth=3
	s_or_b32 exec_lo, exec_lo, s23
	s_and_b32 s16, s16, exec_lo
	s_or_saveexec_b32 s19, s19
	v_mov_b32_e32 v89, 0x7f800001
	s_xor_b32 exec_lo, exec_lo, s19
	s_cbranch_execnz .LBB2_2518
.LBB2_2415:                             ;   in Loop: Header=BB2_2345 Depth=3
	s_or_b32 exec_lo, exec_lo, s19
	s_and_saveexec_b32 s19, s16
	s_cbranch_execz .LBB2_2417
.LBB2_2416:                             ;   in Loop: Header=BB2_2345 Depth=3
	v_and_b32_e32 v89, 3, v88
	v_lshrrev_b16 v92, 2, v88
	v_ffbh_u32_e32 v91, v89
	v_and_b32_e32 v92, 31, v92
	v_min_u32_e32 v91, 32, v91
	v_cmp_eq_u32_e32 vcc_lo, 0, v92
	v_subrev_nc_u32_e32 v93, 29, v91
	v_sub_nc_u32_e32 v91, 30, v91
	v_lshlrev_b32_e32 v93, v93, v88
	v_lshlrev_b32_e32 v88, 24, v88
	v_cndmask_b32_e32 v91, v92, v91, vcc_lo
	v_and_b32_e32 v93, 3, v93
	v_and_b32_e32 v88, 0x80000000, v88
	v_lshl_add_u32 v91, v91, 23, 0x37800000
	v_cndmask_b32_e32 v89, v89, v93, vcc_lo
	v_lshlrev_b32_e32 v89, 21, v89
	v_or3_b32 v89, v88, v91, v89
.LBB2_2417:                             ;   in Loop: Header=BB2_2345 Depth=3
	s_or_b32 exec_lo, exec_lo, s19
	v_mul_f32_e32 v89, v90, v89
	v_and_b32_e32 v88, 0x7f800000, v89
	v_cmp_ne_u32_e32 vcc_lo, 0x7f800000, v88
	v_mov_b32_e32 v88, 0x80
	s_and_saveexec_b32 s19, vcc_lo
	s_cbranch_execz .LBB2_2425
; %bb.2418:                             ;   in Loop: Header=BB2_2345 Depth=3
	v_mov_b32_e32 v88, 0
	s_mov_b32 s23, exec_lo
	v_cmpx_ne_u32_e32 0, v89
	s_cbranch_execz .LBB2_2424
; %bb.2419:                             ;   in Loop: Header=BB2_2345 Depth=3
	v_bfe_u32 v88, v89, 23, 8
	v_and_b32_e32 v90, 0x7fffff, v89
	v_sub_nc_u32_e32 v91, 0x70, v88
	v_cmp_gt_u32_e32 vcc_lo, 0x71, v88
	v_or_b32_e32 v92, 0x800000, v90
	v_cndmask_b32_e32 v91, 0, v91, vcc_lo
	v_cmp_eq_u32_e32 vcc_lo, 0, v88
	v_add_nc_u32_e32 v88, 0xffffff91, v88
	v_cndmask_b32_e64 v91, v91, 0x6f, vcc_lo
	v_cndmask_b32_e32 v90, v92, v90, vcc_lo
	v_cndmask_b32_e64 v88, v88, 0xffffff92, vcc_lo
	v_lshl_add_u32 v92, 0x200000, v91, -1
	v_lshrrev_b32_e32 v93, v91, v90
	v_lshlrev_b32_e64 v95, v91, 0x100000
	v_add_nc_u32_e32 v91, v91, v88
	v_and_b32_e32 v90, v92, v90
	v_bfe_u32 v94, v93, 21, 1
	v_cmp_eq_u32_e64 s16, v90, v95
	v_add_nc_u32_e32 v92, -1, v94
	v_cndmask_b32_e64 v90, 0, v92, s16
	v_lshrrev_b32_e32 v92, 23, v93
	s_mov_b32 s16, exec_lo
	v_add_nc_u32_e32 v90, v90, v93
	v_xor_b32_e32 v92, 1, v92
	v_and_b32_e32 v88, 0x1fffff, v90
	v_add_nc_u32_e32 v90, v88, v93
                                        ; implicit-def: $vgpr88
	v_cmpx_ne_u32_e64 v91, v92
	s_xor_b32 s16, exec_lo, s16
; %bb.2420:                             ;   in Loop: Header=BB2_2345 Depth=3
	v_cmp_lt_u32_e32 vcc_lo, 0xffffff, v90
	v_sub_nc_u32_e32 v88, v91, v92
	v_cndmask_b32_e64 v91, 0, 1, vcc_lo
	v_add_co_ci_u32_e64 v88, null, 0, v88, vcc_lo
	v_lshrrev_b32_e32 v90, v91, v90
; %bb.2421:                             ;   in Loop: Header=BB2_2345 Depth=3
	s_andn2_saveexec_b32 s16, s16
; %bb.2422:                             ;   in Loop: Header=BB2_2345 Depth=3
	v_bfe_u32 v88, v90, 23, 1
; %bb.2423:                             ;   in Loop: Header=BB2_2345 Depth=3
	s_or_b32 exec_lo, exec_lo, s16
	v_lshrrev_b32_e32 v90, 21, v90
	v_cmp_gt_i32_e32 vcc_lo, 32, v88
	v_min_i32_e32 v91, 31, v88
	v_and_b32_sdwa v89, v89, v101 dst_sel:DWORD dst_unused:UNUSED_PAD src0_sel:BYTE_3 src1_sel:DWORD
	v_cndmask_b32_e32 v90, 3, v90, vcc_lo
	v_lshlrev_b32_e32 v91, 2, v91
	v_and_b32_e32 v92, 3, v90
	v_or_b32_e32 v88, v88, v90
	v_or3_b32 v89, v91, v89, v92
	v_cmp_ne_u32_e32 vcc_lo, 0, v88
	v_cndmask_b32_e32 v88, 0, v89, vcc_lo
.LBB2_2424:                             ;   in Loop: Header=BB2_2345 Depth=3
	s_or_b32 exec_lo, exec_lo, s23
.LBB2_2425:                             ;   in Loop: Header=BB2_2345 Depth=3
	s_or_b32 exec_lo, exec_lo, s19
	v_cmp_gt_i16_sdwa s19, v79, v100 src0_sel:BYTE_0 src1_sel:DWORD
	s_mov_b32 s16, 0
	s_and_saveexec_b32 s23, s19
	s_xor_b32 s19, exec_lo, s23
	s_cbranch_execz .LBB2_2519
; %bb.2426:                             ;   in Loop: Header=BB2_2345 Depth=3
	v_cmp_eq_u16_sdwa s72, v79, v101 src0_sel:BYTE_0 src1_sel:DWORD
	s_mov_b32 s16, -1
	s_and_saveexec_b32 s23, s72
; %bb.2427:                             ;   in Loop: Header=BB2_2345 Depth=3
	s_xor_b32 s16, exec_lo, -1
; %bb.2428:                             ;   in Loop: Header=BB2_2345 Depth=3
	s_or_b32 exec_lo, exec_lo, s23
	s_and_b32 s16, s16, exec_lo
	s_or_saveexec_b32 s19, s19
	v_mov_b32_e32 v89, 0x7f800001
	s_xor_b32 exec_lo, exec_lo, s19
	s_cbranch_execnz .LBB2_2520
.LBB2_2429:                             ;   in Loop: Header=BB2_2345 Depth=3
	s_or_b32 exec_lo, exec_lo, s19
	s_and_saveexec_b32 s19, s16
	s_cbranch_execz .LBB2_2431
.LBB2_2430:                             ;   in Loop: Header=BB2_2345 Depth=3
	v_and_b32_e32 v89, 3, v79
	v_lshrrev_b16 v91, 2, v79
	v_ffbh_u32_e32 v90, v89
	v_and_b32_e32 v91, 31, v91
	v_min_u32_e32 v90, 32, v90
	v_cmp_eq_u32_e32 vcc_lo, 0, v91
	v_subrev_nc_u32_e32 v92, 29, v90
	v_sub_nc_u32_e32 v90, 30, v90
	v_lshlrev_b32_e32 v92, v92, v79
	v_lshlrev_b32_e32 v79, 24, v79
	v_cndmask_b32_e32 v90, v91, v90, vcc_lo
	v_and_b32_e32 v92, 3, v92
	v_and_b32_e32 v79, 0x80000000, v79
	v_lshl_add_u32 v90, v90, 23, 0x37800000
	v_cndmask_b32_e32 v89, v89, v92, vcc_lo
	v_lshlrev_b32_e32 v89, 21, v89
	v_or3_b32 v89, v79, v90, v89
.LBB2_2431:                             ;   in Loop: Header=BB2_2345 Depth=3
	s_or_b32 exec_lo, exec_lo, s19
	s_waitcnt vmcnt(3) lgkmcnt(3)
	v_cmp_gt_i16_sdwa s19, v78, v100 src0_sel:BYTE_0 src1_sel:DWORD
	s_mov_b32 s16, 0
	s_and_saveexec_b32 s23, s19
	s_xor_b32 s19, exec_lo, s23
	s_cbranch_execz .LBB2_2521
; %bb.2432:                             ;   in Loop: Header=BB2_2345 Depth=3
	v_cmp_eq_u16_sdwa s72, v78, v101 src0_sel:BYTE_0 src1_sel:DWORD
	s_mov_b32 s16, -1
	s_and_saveexec_b32 s23, s72
; %bb.2433:                             ;   in Loop: Header=BB2_2345 Depth=3
	s_xor_b32 s16, exec_lo, -1
; %bb.2434:                             ;   in Loop: Header=BB2_2345 Depth=3
	s_or_b32 exec_lo, exec_lo, s23
	s_and_b32 s16, s16, exec_lo
	s_or_saveexec_b32 s19, s19
	v_mov_b32_e32 v79, 0x7f800001
	s_xor_b32 exec_lo, exec_lo, s19
	s_cbranch_execnz .LBB2_2522
.LBB2_2435:                             ;   in Loop: Header=BB2_2345 Depth=3
	s_or_b32 exec_lo, exec_lo, s19
	s_and_saveexec_b32 s19, s16
	s_cbranch_execz .LBB2_2437
.LBB2_2436:                             ;   in Loop: Header=BB2_2345 Depth=3
	v_and_b32_e32 v79, 3, v78
	v_lshrrev_b16 v91, 2, v78
	v_ffbh_u32_e32 v90, v79
	v_and_b32_e32 v91, 31, v91
	v_min_u32_e32 v90, 32, v90
	v_cmp_eq_u32_e32 vcc_lo, 0, v91
	v_subrev_nc_u32_e32 v92, 29, v90
	v_sub_nc_u32_e32 v90, 30, v90
	v_lshlrev_b32_e32 v92, v92, v78
	v_lshlrev_b32_e32 v78, 24, v78
	v_cndmask_b32_e32 v90, v91, v90, vcc_lo
	v_and_b32_e32 v92, 3, v92
	v_and_b32_e32 v78, 0x80000000, v78
	v_lshl_add_u32 v90, v90, 23, 0x37800000
	v_cndmask_b32_e32 v79, v79, v92, vcc_lo
	v_lshlrev_b32_e32 v79, 21, v79
	v_or3_b32 v79, v78, v90, v79
.LBB2_2437:                             ;   in Loop: Header=BB2_2345 Depth=3
	s_or_b32 exec_lo, exec_lo, s19
	v_mul_f32_e32 v79, v89, v79
	v_and_b32_e32 v78, 0x7f800000, v79
	v_cmp_ne_u32_e32 vcc_lo, 0x7f800000, v78
	v_mov_b32_e32 v78, 0x80
	s_and_saveexec_b32 s19, vcc_lo
	s_cbranch_execz .LBB2_2445
; %bb.2438:                             ;   in Loop: Header=BB2_2345 Depth=3
	v_mov_b32_e32 v78, 0
	s_mov_b32 s23, exec_lo
	v_cmpx_ne_u32_e32 0, v79
	s_cbranch_execz .LBB2_2444
; %bb.2439:                             ;   in Loop: Header=BB2_2345 Depth=3
	v_bfe_u32 v78, v79, 23, 8
	v_and_b32_e32 v89, 0x7fffff, v79
	v_sub_nc_u32_e32 v90, 0x70, v78
	v_cmp_gt_u32_e32 vcc_lo, 0x71, v78
	v_or_b32_e32 v91, 0x800000, v89
	v_cndmask_b32_e32 v90, 0, v90, vcc_lo
	v_cmp_eq_u32_e32 vcc_lo, 0, v78
	v_add_nc_u32_e32 v78, 0xffffff91, v78
	v_cndmask_b32_e64 v90, v90, 0x6f, vcc_lo
	v_cndmask_b32_e32 v89, v91, v89, vcc_lo
	v_cndmask_b32_e64 v78, v78, 0xffffff92, vcc_lo
	v_lshl_add_u32 v91, 0x200000, v90, -1
	v_lshrrev_b32_e32 v92, v90, v89
	v_lshlrev_b32_e64 v94, v90, 0x100000
	v_add_nc_u32_e32 v90, v90, v78
	v_and_b32_e32 v89, v91, v89
	v_bfe_u32 v93, v92, 21, 1
	v_cmp_eq_u32_e64 s16, v89, v94
	v_add_nc_u32_e32 v91, -1, v93
	v_cndmask_b32_e64 v89, 0, v91, s16
	v_lshrrev_b32_e32 v91, 23, v92
	s_mov_b32 s16, exec_lo
	v_add_nc_u32_e32 v89, v89, v92
	v_xor_b32_e32 v91, 1, v91
	v_and_b32_e32 v78, 0x1fffff, v89
	v_add_nc_u32_e32 v89, v78, v92
                                        ; implicit-def: $vgpr78
	v_cmpx_ne_u32_e64 v90, v91
	s_xor_b32 s16, exec_lo, s16
; %bb.2440:                             ;   in Loop: Header=BB2_2345 Depth=3
	v_cmp_lt_u32_e32 vcc_lo, 0xffffff, v89
	v_sub_nc_u32_e32 v78, v90, v91
	v_cndmask_b32_e64 v90, 0, 1, vcc_lo
	v_add_co_ci_u32_e64 v78, null, 0, v78, vcc_lo
	v_lshrrev_b32_e32 v89, v90, v89
; %bb.2441:                             ;   in Loop: Header=BB2_2345 Depth=3
	s_andn2_saveexec_b32 s16, s16
; %bb.2442:                             ;   in Loop: Header=BB2_2345 Depth=3
	v_bfe_u32 v78, v89, 23, 1
; %bb.2443:                             ;   in Loop: Header=BB2_2345 Depth=3
	s_or_b32 exec_lo, exec_lo, s16
	v_lshrrev_b32_e32 v89, 21, v89
	v_cmp_gt_i32_e32 vcc_lo, 32, v78
	v_min_i32_e32 v90, 31, v78
	v_and_b32_sdwa v79, v79, v101 dst_sel:DWORD dst_unused:UNUSED_PAD src0_sel:BYTE_3 src1_sel:DWORD
	v_cndmask_b32_e32 v89, 3, v89, vcc_lo
	v_lshlrev_b32_e32 v90, 2, v90
	v_and_b32_e32 v91, 3, v89
	v_or_b32_e32 v78, v78, v89
	v_or3_b32 v79, v90, v79, v91
	v_cmp_ne_u32_e32 vcc_lo, 0, v78
	v_cndmask_b32_e32 v78, 0, v79, vcc_lo
.LBB2_2444:                             ;   in Loop: Header=BB2_2345 Depth=3
	s_or_b32 exec_lo, exec_lo, s23
.LBB2_2445:                             ;   in Loop: Header=BB2_2345 Depth=3
	s_or_b32 exec_lo, exec_lo, s19
	v_cmp_gt_i16_sdwa s19, v76, v100 src0_sel:BYTE_0 src1_sel:DWORD
	s_mov_b32 s16, 0
	s_and_saveexec_b32 s23, s19
	s_xor_b32 s19, exec_lo, s23
	s_cbranch_execz .LBB2_2523
; %bb.2446:                             ;   in Loop: Header=BB2_2345 Depth=3
	v_cmp_eq_u16_sdwa s72, v76, v101 src0_sel:BYTE_0 src1_sel:DWORD
	s_mov_b32 s16, -1
	s_and_saveexec_b32 s23, s72
; %bb.2447:                             ;   in Loop: Header=BB2_2345 Depth=3
	s_xor_b32 s16, exec_lo, -1
; %bb.2448:                             ;   in Loop: Header=BB2_2345 Depth=3
	s_or_b32 exec_lo, exec_lo, s23
	s_and_b32 s16, s16, exec_lo
	s_or_saveexec_b32 s19, s19
	v_mov_b32_e32 v79, 0x7f800001
	s_xor_b32 exec_lo, exec_lo, s19
	s_cbranch_execnz .LBB2_2524
.LBB2_2449:                             ;   in Loop: Header=BB2_2345 Depth=3
	s_or_b32 exec_lo, exec_lo, s19
	s_and_saveexec_b32 s19, s16
	s_cbranch_execz .LBB2_2451
.LBB2_2450:                             ;   in Loop: Header=BB2_2345 Depth=3
	v_and_b32_e32 v79, 3, v76
	v_lshrrev_b16 v90, 2, v76
	v_ffbh_u32_e32 v89, v79
	v_and_b32_e32 v90, 31, v90
	v_min_u32_e32 v89, 32, v89
	v_cmp_eq_u32_e32 vcc_lo, 0, v90
	v_subrev_nc_u32_e32 v91, 29, v89
	v_sub_nc_u32_e32 v89, 30, v89
	v_lshlrev_b32_e32 v91, v91, v76
	v_lshlrev_b32_e32 v76, 24, v76
	v_cndmask_b32_e32 v89, v90, v89, vcc_lo
	v_and_b32_e32 v91, 3, v91
	v_and_b32_e32 v76, 0x80000000, v76
	v_lshl_add_u32 v89, v89, 23, 0x37800000
	v_cndmask_b32_e32 v79, v79, v91, vcc_lo
	v_lshlrev_b32_e32 v79, 21, v79
	v_or3_b32 v79, v76, v89, v79
.LBB2_2451:                             ;   in Loop: Header=BB2_2345 Depth=3
	s_or_b32 exec_lo, exec_lo, s19
	s_waitcnt vmcnt(2) lgkmcnt(2)
	v_cmp_gt_i16_sdwa s19, v75, v100 src0_sel:BYTE_0 src1_sel:DWORD
	s_mov_b32 s16, 0
	s_and_saveexec_b32 s23, s19
	s_xor_b32 s19, exec_lo, s23
	s_cbranch_execz .LBB2_2525
; %bb.2452:                             ;   in Loop: Header=BB2_2345 Depth=3
	v_cmp_eq_u16_sdwa s72, v75, v101 src0_sel:BYTE_0 src1_sel:DWORD
	s_mov_b32 s16, -1
	s_and_saveexec_b32 s23, s72
; %bb.2453:                             ;   in Loop: Header=BB2_2345 Depth=3
	s_xor_b32 s16, exec_lo, -1
; %bb.2454:                             ;   in Loop: Header=BB2_2345 Depth=3
	s_or_b32 exec_lo, exec_lo, s23
	s_and_b32 s16, s16, exec_lo
	s_or_saveexec_b32 s19, s19
	v_mov_b32_e32 v76, 0x7f800001
	s_xor_b32 exec_lo, exec_lo, s19
	s_cbranch_execnz .LBB2_2526
.LBB2_2455:                             ;   in Loop: Header=BB2_2345 Depth=3
	s_or_b32 exec_lo, exec_lo, s19
	s_and_saveexec_b32 s19, s16
	s_cbranch_execz .LBB2_2457
.LBB2_2456:                             ;   in Loop: Header=BB2_2345 Depth=3
	v_and_b32_e32 v76, 3, v75
	v_lshrrev_b16 v90, 2, v75
	v_ffbh_u32_e32 v89, v76
	v_and_b32_e32 v90, 31, v90
	v_min_u32_e32 v89, 32, v89
	v_cmp_eq_u32_e32 vcc_lo, 0, v90
	v_subrev_nc_u32_e32 v91, 29, v89
	v_sub_nc_u32_e32 v89, 30, v89
	v_lshlrev_b32_e32 v91, v91, v75
	v_lshlrev_b32_e32 v75, 24, v75
	v_cndmask_b32_e32 v89, v90, v89, vcc_lo
	v_and_b32_e32 v91, 3, v91
	v_and_b32_e32 v75, 0x80000000, v75
	v_lshl_add_u32 v89, v89, 23, 0x37800000
	v_cndmask_b32_e32 v76, v76, v91, vcc_lo
	v_lshlrev_b32_e32 v76, 21, v76
	v_or3_b32 v76, v75, v89, v76
.LBB2_2457:                             ;   in Loop: Header=BB2_2345 Depth=3
	s_or_b32 exec_lo, exec_lo, s19
	v_mul_f32_e32 v76, v79, v76
	v_and_b32_e32 v75, 0x7f800000, v76
	v_cmp_ne_u32_e32 vcc_lo, 0x7f800000, v75
	v_mov_b32_e32 v75, 0x80
	s_and_saveexec_b32 s19, vcc_lo
	s_cbranch_execz .LBB2_2465
; %bb.2458:                             ;   in Loop: Header=BB2_2345 Depth=3
	v_mov_b32_e32 v75, 0
	s_mov_b32 s23, exec_lo
	v_cmpx_ne_u32_e32 0, v76
	s_cbranch_execz .LBB2_2464
; %bb.2459:                             ;   in Loop: Header=BB2_2345 Depth=3
	v_bfe_u32 v75, v76, 23, 8
	v_and_b32_e32 v79, 0x7fffff, v76
	v_sub_nc_u32_e32 v89, 0x70, v75
	v_cmp_gt_u32_e32 vcc_lo, 0x71, v75
	v_or_b32_e32 v90, 0x800000, v79
	v_cndmask_b32_e32 v89, 0, v89, vcc_lo
	v_cmp_eq_u32_e32 vcc_lo, 0, v75
	v_add_nc_u32_e32 v75, 0xffffff91, v75
	v_cndmask_b32_e64 v89, v89, 0x6f, vcc_lo
	v_cndmask_b32_e32 v79, v90, v79, vcc_lo
	v_cndmask_b32_e64 v75, v75, 0xffffff92, vcc_lo
	v_lshl_add_u32 v90, 0x200000, v89, -1
	v_lshrrev_b32_e32 v91, v89, v79
	v_lshlrev_b32_e64 v93, v89, 0x100000
	v_add_nc_u32_e32 v89, v89, v75
	v_and_b32_e32 v79, v90, v79
	v_bfe_u32 v92, v91, 21, 1
	v_cmp_eq_u32_e64 s16, v79, v93
	v_add_nc_u32_e32 v90, -1, v92
	v_cndmask_b32_e64 v79, 0, v90, s16
	v_lshrrev_b32_e32 v90, 23, v91
	s_mov_b32 s16, exec_lo
	v_add_nc_u32_e32 v79, v79, v91
	v_xor_b32_e32 v90, 1, v90
	v_and_b32_e32 v75, 0x1fffff, v79
	v_add_nc_u32_e32 v79, v75, v91
                                        ; implicit-def: $vgpr75
	v_cmpx_ne_u32_e64 v89, v90
	s_xor_b32 s16, exec_lo, s16
; %bb.2460:                             ;   in Loop: Header=BB2_2345 Depth=3
	v_cmp_lt_u32_e32 vcc_lo, 0xffffff, v79
	v_sub_nc_u32_e32 v75, v89, v90
	v_cndmask_b32_e64 v89, 0, 1, vcc_lo
	v_add_co_ci_u32_e64 v75, null, 0, v75, vcc_lo
	v_lshrrev_b32_e32 v79, v89, v79
; %bb.2461:                             ;   in Loop: Header=BB2_2345 Depth=3
	s_andn2_saveexec_b32 s16, s16
; %bb.2462:                             ;   in Loop: Header=BB2_2345 Depth=3
	v_bfe_u32 v75, v79, 23, 1
; %bb.2463:                             ;   in Loop: Header=BB2_2345 Depth=3
	s_or_b32 exec_lo, exec_lo, s16
	v_lshrrev_b32_e32 v79, 21, v79
	v_cmp_gt_i32_e32 vcc_lo, 32, v75
	v_min_i32_e32 v89, 31, v75
	v_and_b32_sdwa v76, v76, v101 dst_sel:DWORD dst_unused:UNUSED_PAD src0_sel:BYTE_3 src1_sel:DWORD
	v_cndmask_b32_e32 v79, 3, v79, vcc_lo
	v_lshlrev_b32_e32 v89, 2, v89
	v_and_b32_e32 v90, 3, v79
	v_or_b32_e32 v75, v75, v79
	v_or3_b32 v76, v89, v76, v90
	v_cmp_ne_u32_e32 vcc_lo, 0, v75
	v_cndmask_b32_e32 v75, 0, v76, vcc_lo
.LBB2_2464:                             ;   in Loop: Header=BB2_2345 Depth=3
	s_or_b32 exec_lo, exec_lo, s23
.LBB2_2465:                             ;   in Loop: Header=BB2_2345 Depth=3
	s_or_b32 exec_lo, exec_lo, s19
	v_cmp_gt_i16_sdwa s19, v73, v100 src0_sel:BYTE_0 src1_sel:DWORD
	s_mov_b32 s16, 0
	s_and_saveexec_b32 s23, s19
	s_xor_b32 s19, exec_lo, s23
	s_cbranch_execz .LBB2_2527
; %bb.2466:                             ;   in Loop: Header=BB2_2345 Depth=3
	v_cmp_eq_u16_sdwa s72, v73, v101 src0_sel:BYTE_0 src1_sel:DWORD
	s_mov_b32 s16, -1
	s_and_saveexec_b32 s23, s72
; %bb.2467:                             ;   in Loop: Header=BB2_2345 Depth=3
	s_xor_b32 s16, exec_lo, -1
; %bb.2468:                             ;   in Loop: Header=BB2_2345 Depth=3
	s_or_b32 exec_lo, exec_lo, s23
	s_and_b32 s16, s16, exec_lo
	s_or_saveexec_b32 s19, s19
	v_mov_b32_e32 v76, 0x7f800001
	s_xor_b32 exec_lo, exec_lo, s19
	s_cbranch_execnz .LBB2_2528
.LBB2_2469:                             ;   in Loop: Header=BB2_2345 Depth=3
	s_or_b32 exec_lo, exec_lo, s19
	s_and_saveexec_b32 s19, s16
	s_cbranch_execz .LBB2_2471
.LBB2_2470:                             ;   in Loop: Header=BB2_2345 Depth=3
	v_and_b32_e32 v76, 3, v73
	v_lshrrev_b16 v89, 2, v73
	v_ffbh_u32_e32 v79, v76
	v_and_b32_e32 v89, 31, v89
	v_min_u32_e32 v79, 32, v79
	v_cmp_eq_u32_e32 vcc_lo, 0, v89
	v_subrev_nc_u32_e32 v90, 29, v79
	v_sub_nc_u32_e32 v79, 30, v79
	v_lshlrev_b32_e32 v90, v90, v73
	v_lshlrev_b32_e32 v73, 24, v73
	v_cndmask_b32_e32 v79, v89, v79, vcc_lo
	v_and_b32_e32 v90, 3, v90
	v_and_b32_e32 v73, 0x80000000, v73
	v_lshl_add_u32 v79, v79, 23, 0x37800000
	v_cndmask_b32_e32 v76, v76, v90, vcc_lo
	v_lshlrev_b32_e32 v76, 21, v76
	v_or3_b32 v76, v73, v79, v76
.LBB2_2471:                             ;   in Loop: Header=BB2_2345 Depth=3
	s_or_b32 exec_lo, exec_lo, s19
	s_waitcnt vmcnt(1) lgkmcnt(1)
	v_cmp_gt_i16_sdwa s19, v72, v100 src0_sel:BYTE_0 src1_sel:DWORD
	s_mov_b32 s16, 0
	s_and_saveexec_b32 s23, s19
	s_xor_b32 s19, exec_lo, s23
	s_cbranch_execz .LBB2_2529
; %bb.2472:                             ;   in Loop: Header=BB2_2345 Depth=3
	v_cmp_eq_u16_sdwa s72, v72, v101 src0_sel:BYTE_0 src1_sel:DWORD
	s_mov_b32 s16, -1
	s_and_saveexec_b32 s23, s72
; %bb.2473:                             ;   in Loop: Header=BB2_2345 Depth=3
	s_xor_b32 s16, exec_lo, -1
; %bb.2474:                             ;   in Loop: Header=BB2_2345 Depth=3
	s_or_b32 exec_lo, exec_lo, s23
	s_and_b32 s16, s16, exec_lo
	s_or_saveexec_b32 s19, s19
	v_mov_b32_e32 v73, 0x7f800001
	s_xor_b32 exec_lo, exec_lo, s19
	s_cbranch_execnz .LBB2_2530
.LBB2_2475:                             ;   in Loop: Header=BB2_2345 Depth=3
	s_or_b32 exec_lo, exec_lo, s19
	s_and_saveexec_b32 s19, s16
	s_cbranch_execz .LBB2_2477
.LBB2_2476:                             ;   in Loop: Header=BB2_2345 Depth=3
	v_and_b32_e32 v73, 3, v72
	v_lshrrev_b16 v89, 2, v72
	v_ffbh_u32_e32 v79, v73
	v_and_b32_e32 v89, 31, v89
	v_min_u32_e32 v79, 32, v79
	v_cmp_eq_u32_e32 vcc_lo, 0, v89
	v_subrev_nc_u32_e32 v90, 29, v79
	v_sub_nc_u32_e32 v79, 30, v79
	v_lshlrev_b32_e32 v90, v90, v72
	v_lshlrev_b32_e32 v72, 24, v72
	v_cndmask_b32_e32 v79, v89, v79, vcc_lo
	v_and_b32_e32 v90, 3, v90
	v_and_b32_e32 v72, 0x80000000, v72
	v_lshl_add_u32 v79, v79, 23, 0x37800000
	v_cndmask_b32_e32 v73, v73, v90, vcc_lo
	v_lshlrev_b32_e32 v73, 21, v73
	v_or3_b32 v73, v72, v79, v73
.LBB2_2477:                             ;   in Loop: Header=BB2_2345 Depth=3
	s_or_b32 exec_lo, exec_lo, s19
	v_mul_f32_e32 v73, v76, v73
	v_and_b32_e32 v72, 0x7f800000, v73
	v_cmp_ne_u32_e32 vcc_lo, 0x7f800000, v72
	v_mov_b32_e32 v72, 0x80
	s_and_saveexec_b32 s19, vcc_lo
	s_cbranch_execz .LBB2_2485
; %bb.2478:                             ;   in Loop: Header=BB2_2345 Depth=3
	v_mov_b32_e32 v72, 0
	s_mov_b32 s23, exec_lo
	v_cmpx_ne_u32_e32 0, v73
	s_cbranch_execz .LBB2_2484
; %bb.2479:                             ;   in Loop: Header=BB2_2345 Depth=3
	v_bfe_u32 v72, v73, 23, 8
	v_and_b32_e32 v76, 0x7fffff, v73
	v_sub_nc_u32_e32 v79, 0x70, v72
	v_cmp_gt_u32_e32 vcc_lo, 0x71, v72
	v_or_b32_e32 v89, 0x800000, v76
	v_cndmask_b32_e32 v79, 0, v79, vcc_lo
	v_cmp_eq_u32_e32 vcc_lo, 0, v72
	v_add_nc_u32_e32 v72, 0xffffff91, v72
	v_cndmask_b32_e64 v79, v79, 0x6f, vcc_lo
	v_cndmask_b32_e32 v76, v89, v76, vcc_lo
	v_cndmask_b32_e64 v72, v72, 0xffffff92, vcc_lo
	v_lshl_add_u32 v89, 0x200000, v79, -1
	v_lshrrev_b32_e32 v90, v79, v76
	v_lshlrev_b32_e64 v92, v79, 0x100000
	v_add_nc_u32_e32 v79, v79, v72
	v_and_b32_e32 v76, v89, v76
	v_bfe_u32 v91, v90, 21, 1
	v_cmp_eq_u32_e64 s16, v76, v92
	v_add_nc_u32_e32 v89, -1, v91
	v_cndmask_b32_e64 v76, 0, v89, s16
	v_lshrrev_b32_e32 v89, 23, v90
	s_mov_b32 s16, exec_lo
	v_add_nc_u32_e32 v76, v76, v90
	v_xor_b32_e32 v89, 1, v89
	v_and_b32_e32 v72, 0x1fffff, v76
	v_add_nc_u32_e32 v76, v72, v90
                                        ; implicit-def: $vgpr72
	v_cmpx_ne_u32_e64 v79, v89
	s_xor_b32 s16, exec_lo, s16
; %bb.2480:                             ;   in Loop: Header=BB2_2345 Depth=3
	v_cmp_lt_u32_e32 vcc_lo, 0xffffff, v76
	v_sub_nc_u32_e32 v72, v79, v89
	v_cndmask_b32_e64 v79, 0, 1, vcc_lo
	v_add_co_ci_u32_e64 v72, null, 0, v72, vcc_lo
	v_lshrrev_b32_e32 v76, v79, v76
; %bb.2481:                             ;   in Loop: Header=BB2_2345 Depth=3
	s_andn2_saveexec_b32 s16, s16
; %bb.2482:                             ;   in Loop: Header=BB2_2345 Depth=3
	v_bfe_u32 v72, v76, 23, 1
; %bb.2483:                             ;   in Loop: Header=BB2_2345 Depth=3
	s_or_b32 exec_lo, exec_lo, s16
	v_lshrrev_b32_e32 v76, 21, v76
	v_cmp_gt_i32_e32 vcc_lo, 32, v72
	v_min_i32_e32 v79, 31, v72
	v_and_b32_sdwa v73, v73, v101 dst_sel:DWORD dst_unused:UNUSED_PAD src0_sel:BYTE_3 src1_sel:DWORD
	v_cndmask_b32_e32 v76, 3, v76, vcc_lo
	v_lshlrev_b32_e32 v79, 2, v79
	v_and_b32_e32 v89, 3, v76
	v_or_b32_e32 v72, v72, v76
	v_or3_b32 v73, v79, v73, v89
	v_cmp_ne_u32_e32 vcc_lo, 0, v72
	v_cndmask_b32_e32 v72, 0, v73, vcc_lo
.LBB2_2484:                             ;   in Loop: Header=BB2_2345 Depth=3
	s_or_b32 exec_lo, exec_lo, s23
.LBB2_2485:                             ;   in Loop: Header=BB2_2345 Depth=3
	s_or_b32 exec_lo, exec_lo, s19
	v_cmp_gt_i16_sdwa s19, v69, v100 src0_sel:BYTE_0 src1_sel:DWORD
	s_mov_b32 s16, 0
	s_and_saveexec_b32 s23, s19
	s_xor_b32 s19, exec_lo, s23
	s_cbranch_execz .LBB2_2531
; %bb.2486:                             ;   in Loop: Header=BB2_2345 Depth=3
	v_cmp_eq_u16_sdwa s72, v69, v101 src0_sel:BYTE_0 src1_sel:DWORD
	s_mov_b32 s16, -1
	s_and_saveexec_b32 s23, s72
; %bb.2487:                             ;   in Loop: Header=BB2_2345 Depth=3
	s_xor_b32 s16, exec_lo, -1
; %bb.2488:                             ;   in Loop: Header=BB2_2345 Depth=3
	s_or_b32 exec_lo, exec_lo, s23
	s_and_b32 s16, s16, exec_lo
	s_or_saveexec_b32 s19, s19
	v_mov_b32_e32 v73, 0x7f800001
	s_xor_b32 exec_lo, exec_lo, s19
	s_cbranch_execnz .LBB2_2532
.LBB2_2489:                             ;   in Loop: Header=BB2_2345 Depth=3
	s_or_b32 exec_lo, exec_lo, s19
	s_and_saveexec_b32 s19, s16
	s_cbranch_execz .LBB2_2491
.LBB2_2490:                             ;   in Loop: Header=BB2_2345 Depth=3
	v_and_b32_e32 v73, 3, v69
	v_lshrrev_b16 v79, 2, v69
	v_ffbh_u32_e32 v76, v73
	v_and_b32_e32 v79, 31, v79
	v_min_u32_e32 v76, 32, v76
	v_cmp_eq_u32_e32 vcc_lo, 0, v79
	v_subrev_nc_u32_e32 v89, 29, v76
	v_sub_nc_u32_e32 v76, 30, v76
	v_lshlrev_b32_e32 v89, v89, v69
	v_lshlrev_b32_e32 v69, 24, v69
	v_cndmask_b32_e32 v76, v79, v76, vcc_lo
	v_and_b32_e32 v89, 3, v89
	v_and_b32_e32 v69, 0x80000000, v69
	v_lshl_add_u32 v76, v76, 23, 0x37800000
	v_cndmask_b32_e32 v73, v73, v89, vcc_lo
	v_lshlrev_b32_e32 v73, 21, v73
	v_or3_b32 v73, v69, v76, v73
.LBB2_2491:                             ;   in Loop: Header=BB2_2345 Depth=3
	s_or_b32 exec_lo, exec_lo, s19
	s_waitcnt vmcnt(0) lgkmcnt(0)
	v_cmp_gt_i16_sdwa s19, v68, v100 src0_sel:BYTE_0 src1_sel:DWORD
	s_mov_b32 s16, 0
	s_and_saveexec_b32 s23, s19
	s_xor_b32 s19, exec_lo, s23
	s_cbranch_execz .LBB2_2533
; %bb.2492:                             ;   in Loop: Header=BB2_2345 Depth=3
	v_cmp_eq_u16_sdwa s72, v68, v101 src0_sel:BYTE_0 src1_sel:DWORD
	s_mov_b32 s16, -1
	s_and_saveexec_b32 s23, s72
; %bb.2493:                             ;   in Loop: Header=BB2_2345 Depth=3
	s_xor_b32 s16, exec_lo, -1
; %bb.2494:                             ;   in Loop: Header=BB2_2345 Depth=3
	s_or_b32 exec_lo, exec_lo, s23
	s_and_b32 s16, s16, exec_lo
	s_or_saveexec_b32 s19, s19
	v_mov_b32_e32 v69, 0x7f800001
	s_xor_b32 exec_lo, exec_lo, s19
	s_cbranch_execnz .LBB2_2534
.LBB2_2495:                             ;   in Loop: Header=BB2_2345 Depth=3
	s_or_b32 exec_lo, exec_lo, s19
	s_and_saveexec_b32 s19, s16
	s_cbranch_execz .LBB2_2497
.LBB2_2496:                             ;   in Loop: Header=BB2_2345 Depth=3
	v_and_b32_e32 v69, 3, v68
	v_lshrrev_b16 v79, 2, v68
	v_ffbh_u32_e32 v76, v69
	v_and_b32_e32 v79, 31, v79
	v_min_u32_e32 v76, 32, v76
	v_cmp_eq_u32_e32 vcc_lo, 0, v79
	v_subrev_nc_u32_e32 v89, 29, v76
	v_sub_nc_u32_e32 v76, 30, v76
	v_lshlrev_b32_e32 v89, v89, v68
	v_lshlrev_b32_e32 v68, 24, v68
	v_cndmask_b32_e32 v76, v79, v76, vcc_lo
	v_and_b32_e32 v89, 3, v89
	v_and_b32_e32 v68, 0x80000000, v68
	v_lshl_add_u32 v76, v76, 23, 0x37800000
	v_cndmask_b32_e32 v69, v69, v89, vcc_lo
	v_lshlrev_b32_e32 v69, 21, v69
	v_or3_b32 v69, v68, v76, v69
.LBB2_2497:                             ;   in Loop: Header=BB2_2345 Depth=3
	s_or_b32 exec_lo, exec_lo, s19
	v_mul_f32_e32 v68, v73, v69
	v_and_b32_e32 v69, 0x7f800000, v68
	v_cmp_ne_u32_e32 vcc_lo, 0x7f800000, v69
	v_mov_b32_e32 v69, 0x80
	s_and_saveexec_b32 s19, vcc_lo
	s_cbranch_execz .LBB2_2344
; %bb.2498:                             ;   in Loop: Header=BB2_2345 Depth=3
	v_mov_b32_e32 v69, 0
	s_mov_b32 s23, exec_lo
	v_cmpx_ne_u32_e32 0, v68
	s_cbranch_execz .LBB2_2343
; %bb.2499:                             ;   in Loop: Header=BB2_2345 Depth=3
	v_bfe_u32 v69, v68, 23, 8
	v_and_b32_e32 v73, 0x7fffff, v68
	v_sub_nc_u32_e32 v76, 0x70, v69
	v_cmp_gt_u32_e32 vcc_lo, 0x71, v69
	v_or_b32_e32 v79, 0x800000, v73
	v_cndmask_b32_e32 v76, 0, v76, vcc_lo
	v_cmp_eq_u32_e32 vcc_lo, 0, v69
	v_add_nc_u32_e32 v69, 0xffffff91, v69
	v_cndmask_b32_e64 v76, v76, 0x6f, vcc_lo
	v_cndmask_b32_e32 v73, v79, v73, vcc_lo
	v_cndmask_b32_e64 v69, v69, 0xffffff92, vcc_lo
	v_lshl_add_u32 v79, 0x200000, v76, -1
	v_lshrrev_b32_e32 v89, v76, v73
	v_lshlrev_b32_e64 v91, v76, 0x100000
	v_add_nc_u32_e32 v76, v76, v69
	v_and_b32_e32 v73, v79, v73
	v_bfe_u32 v90, v89, 21, 1
	v_cmp_eq_u32_e64 s16, v73, v91
	v_add_nc_u32_e32 v79, -1, v90
	v_cndmask_b32_e64 v73, 0, v79, s16
	v_lshrrev_b32_e32 v79, 23, v89
	s_mov_b32 s16, exec_lo
	v_add_nc_u32_e32 v73, v73, v89
	v_xor_b32_e32 v79, 1, v79
	v_and_b32_e32 v69, 0x1fffff, v73
	v_add_nc_u32_e32 v73, v69, v89
                                        ; implicit-def: $vgpr69
	v_cmpx_ne_u32_e64 v76, v79
	s_xor_b32 s16, exec_lo, s16
; %bb.2500:                             ;   in Loop: Header=BB2_2345 Depth=3
	v_cmp_lt_u32_e32 vcc_lo, 0xffffff, v73
	v_sub_nc_u32_e32 v69, v76, v79
	v_cndmask_b32_e64 v76, 0, 1, vcc_lo
	v_add_co_ci_u32_e64 v69, null, 0, v69, vcc_lo
	v_lshrrev_b32_e32 v73, v76, v73
; %bb.2501:                             ;   in Loop: Header=BB2_2345 Depth=3
	s_andn2_saveexec_b32 s16, s16
	s_cbranch_execz .LBB2_2342
; %bb.2502:                             ;   in Loop: Header=BB2_2345 Depth=3
	v_bfe_u32 v69, v73, 23, 1
	s_branch .LBB2_2342
.LBB2_2503:                             ;   in Loop: Header=BB2_2345 Depth=3
	s_or_saveexec_b32 s19, s19
	v_mov_b32_e32 v92, 0x7f800001
	s_xor_b32 exec_lo, exec_lo, s19
	s_cbranch_execz .LBB2_2349
.LBB2_2504:                             ;   in Loop: Header=BB2_2345 Depth=3
	v_cmp_ne_u16_e32 vcc_lo, 0, v93
	v_mov_b32_e32 v92, 0
	s_andn2_b32 s16, s16, exec_lo
	s_and_b32 s23, vcc_lo, exec_lo
	s_or_b32 s16, s16, s23
	s_or_b32 exec_lo, exec_lo, s19
	s_and_saveexec_b32 s19, s16
	s_cbranch_execnz .LBB2_2350
	s_branch .LBB2_2351
.LBB2_2505:                             ;   in Loop: Header=BB2_2345 Depth=3
	s_or_saveexec_b32 s19, s19
	v_mov_b32_e32 v93, 0x7f800001
	s_xor_b32 exec_lo, exec_lo, s19
	s_cbranch_execz .LBB2_2355
.LBB2_2506:                             ;   in Loop: Header=BB2_2345 Depth=3
	v_cmp_ne_u16_sdwa s23, v63, v2 src0_sel:BYTE_0 src1_sel:DWORD
	v_mov_b32_e32 v93, 0
	s_andn2_b32 s16, s16, exec_lo
	s_and_b32 s23, s23, exec_lo
	s_or_b32 s16, s16, s23
	s_or_b32 exec_lo, exec_lo, s19
	s_and_saveexec_b32 s19, s16
	s_cbranch_execnz .LBB2_2356
	s_branch .LBB2_2357
.LBB2_2507:                             ;   in Loop: Header=BB2_2345 Depth=3
	s_or_saveexec_b32 s19, s19
	v_mov_b32_e32 v92, 0x7f800001
	s_xor_b32 exec_lo, exec_lo, s19
	s_cbranch_execz .LBB2_2369
.LBB2_2508:                             ;   in Loop: Header=BB2_2345 Depth=3
	v_cmp_ne_u16_sdwa s23, v91, v2 src0_sel:BYTE_0 src1_sel:DWORD
	v_mov_b32_e32 v92, 0
	s_andn2_b32 s16, s16, exec_lo
	s_and_b32 s23, s23, exec_lo
	s_or_b32 s16, s16, s23
	s_or_b32 exec_lo, exec_lo, s19
	s_and_saveexec_b32 s19, s16
	s_cbranch_execnz .LBB2_2370
	s_branch .LBB2_2371
.LBB2_2509:                             ;   in Loop: Header=BB2_2345 Depth=3
	s_or_saveexec_b32 s19, s19
	v_mov_b32_e32 v91, 0x7f800001
	s_xor_b32 exec_lo, exec_lo, s19
	s_cbranch_execz .LBB2_2375
.LBB2_2510:                             ;   in Loop: Header=BB2_2345 Depth=3
	v_cmp_ne_u16_sdwa s23, v74, v2 src0_sel:BYTE_0 src1_sel:DWORD
	v_mov_b32_e32 v91, 0
	s_andn2_b32 s16, s16, exec_lo
	s_and_b32 s23, s23, exec_lo
	s_or_b32 s16, s16, s23
	s_or_b32 exec_lo, exec_lo, s19
	s_and_saveexec_b32 s19, s16
	s_cbranch_execnz .LBB2_2376
	s_branch .LBB2_2377
.LBB2_2511:                             ;   in Loop: Header=BB2_2345 Depth=3
	s_or_saveexec_b32 s19, s19
	v_mov_b32_e32 v91, 0x7f800001
	s_xor_b32 exec_lo, exec_lo, s19
	s_cbranch_execz .LBB2_2389
.LBB2_2512:                             ;   in Loop: Header=BB2_2345 Depth=3
	v_cmp_ne_u16_sdwa s23, v90, v2 src0_sel:BYTE_0 src1_sel:DWORD
	v_mov_b32_e32 v91, 0
	s_andn2_b32 s16, s16, exec_lo
	s_and_b32 s23, s23, exec_lo
	s_or_b32 s16, s16, s23
	s_or_b32 exec_lo, exec_lo, s19
	s_and_saveexec_b32 s19, s16
	s_cbranch_execnz .LBB2_2390
	s_branch .LBB2_2391
.LBB2_2513:                             ;   in Loop: Header=BB2_2345 Depth=3
	s_or_saveexec_b32 s19, s19
	v_mov_b32_e32 v90, 0x7f800001
	s_xor_b32 exec_lo, exec_lo, s19
	s_cbranch_execz .LBB2_2395
.LBB2_2514:                             ;   in Loop: Header=BB2_2345 Depth=3
	v_cmp_ne_u16_sdwa s23, v77, v2 src0_sel:BYTE_0 src1_sel:DWORD
	v_mov_b32_e32 v90, 0
	s_andn2_b32 s16, s16, exec_lo
	s_and_b32 s23, s23, exec_lo
	s_or_b32 s16, s16, s23
	s_or_b32 exec_lo, exec_lo, s19
	s_and_saveexec_b32 s19, s16
	s_cbranch_execnz .LBB2_2396
	s_branch .LBB2_2397
.LBB2_2515:                             ;   in Loop: Header=BB2_2345 Depth=3
	s_or_saveexec_b32 s19, s19
	v_mov_b32_e32 v90, 0x7f800001
	s_xor_b32 exec_lo, exec_lo, s19
	s_cbranch_execz .LBB2_2409
.LBB2_2516:                             ;   in Loop: Header=BB2_2345 Depth=3
	v_cmp_ne_u16_sdwa s23, v89, v2 src0_sel:BYTE_0 src1_sel:DWORD
	v_mov_b32_e32 v90, 0
	s_andn2_b32 s16, s16, exec_lo
	s_and_b32 s23, s23, exec_lo
	s_or_b32 s16, s16, s23
	s_or_b32 exec_lo, exec_lo, s19
	s_and_saveexec_b32 s19, s16
	s_cbranch_execnz .LBB2_2410
	s_branch .LBB2_2411
.LBB2_2517:                             ;   in Loop: Header=BB2_2345 Depth=3
	s_or_saveexec_b32 s19, s19
	v_mov_b32_e32 v89, 0x7f800001
	s_xor_b32 exec_lo, exec_lo, s19
	s_cbranch_execz .LBB2_2415
.LBB2_2518:                             ;   in Loop: Header=BB2_2345 Depth=3
	v_cmp_ne_u16_sdwa s23, v88, v2 src0_sel:BYTE_0 src1_sel:DWORD
	v_mov_b32_e32 v89, 0
	s_andn2_b32 s16, s16, exec_lo
	s_and_b32 s23, s23, exec_lo
	s_or_b32 s16, s16, s23
	s_or_b32 exec_lo, exec_lo, s19
	s_and_saveexec_b32 s19, s16
	s_cbranch_execnz .LBB2_2416
	s_branch .LBB2_2417
.LBB2_2519:                             ;   in Loop: Header=BB2_2345 Depth=3
	s_or_saveexec_b32 s19, s19
	v_mov_b32_e32 v89, 0x7f800001
	s_xor_b32 exec_lo, exec_lo, s19
	s_cbranch_execz .LBB2_2429
.LBB2_2520:                             ;   in Loop: Header=BB2_2345 Depth=3
	v_cmp_ne_u16_sdwa s23, v79, v2 src0_sel:BYTE_0 src1_sel:DWORD
	v_mov_b32_e32 v89, 0
	s_andn2_b32 s16, s16, exec_lo
	s_and_b32 s23, s23, exec_lo
	s_or_b32 s16, s16, s23
	s_or_b32 exec_lo, exec_lo, s19
	s_and_saveexec_b32 s19, s16
	s_cbranch_execnz .LBB2_2430
	s_branch .LBB2_2431
.LBB2_2521:                             ;   in Loop: Header=BB2_2345 Depth=3
	s_or_saveexec_b32 s19, s19
	v_mov_b32_e32 v79, 0x7f800001
	s_xor_b32 exec_lo, exec_lo, s19
	s_cbranch_execz .LBB2_2435
.LBB2_2522:                             ;   in Loop: Header=BB2_2345 Depth=3
	v_cmp_ne_u16_sdwa s23, v78, v2 src0_sel:BYTE_0 src1_sel:DWORD
	v_mov_b32_e32 v79, 0
	s_andn2_b32 s16, s16, exec_lo
	s_and_b32 s23, s23, exec_lo
	s_or_b32 s16, s16, s23
	s_or_b32 exec_lo, exec_lo, s19
	s_and_saveexec_b32 s19, s16
	s_cbranch_execnz .LBB2_2436
	s_branch .LBB2_2437
.LBB2_2523:                             ;   in Loop: Header=BB2_2345 Depth=3
	s_or_saveexec_b32 s19, s19
	v_mov_b32_e32 v79, 0x7f800001
	s_xor_b32 exec_lo, exec_lo, s19
	s_cbranch_execz .LBB2_2449
.LBB2_2524:                             ;   in Loop: Header=BB2_2345 Depth=3
	v_cmp_ne_u16_sdwa s23, v76, v2 src0_sel:BYTE_0 src1_sel:DWORD
	v_mov_b32_e32 v79, 0
	s_andn2_b32 s16, s16, exec_lo
	s_and_b32 s23, s23, exec_lo
	s_or_b32 s16, s16, s23
	s_or_b32 exec_lo, exec_lo, s19
	s_and_saveexec_b32 s19, s16
	s_cbranch_execnz .LBB2_2450
	s_branch .LBB2_2451
.LBB2_2525:                             ;   in Loop: Header=BB2_2345 Depth=3
	s_or_saveexec_b32 s19, s19
	v_mov_b32_e32 v76, 0x7f800001
	s_xor_b32 exec_lo, exec_lo, s19
	s_cbranch_execz .LBB2_2455
.LBB2_2526:                             ;   in Loop: Header=BB2_2345 Depth=3
	v_cmp_ne_u16_sdwa s23, v75, v2 src0_sel:BYTE_0 src1_sel:DWORD
	v_mov_b32_e32 v76, 0
	s_andn2_b32 s16, s16, exec_lo
	s_and_b32 s23, s23, exec_lo
	s_or_b32 s16, s16, s23
	s_or_b32 exec_lo, exec_lo, s19
	s_and_saveexec_b32 s19, s16
	s_cbranch_execnz .LBB2_2456
	s_branch .LBB2_2457
.LBB2_2527:                             ;   in Loop: Header=BB2_2345 Depth=3
	s_or_saveexec_b32 s19, s19
	v_mov_b32_e32 v76, 0x7f800001
	s_xor_b32 exec_lo, exec_lo, s19
	s_cbranch_execz .LBB2_2469
.LBB2_2528:                             ;   in Loop: Header=BB2_2345 Depth=3
	v_cmp_ne_u16_sdwa s23, v73, v2 src0_sel:BYTE_0 src1_sel:DWORD
	v_mov_b32_e32 v76, 0
	s_andn2_b32 s16, s16, exec_lo
	s_and_b32 s23, s23, exec_lo
	s_or_b32 s16, s16, s23
	s_or_b32 exec_lo, exec_lo, s19
	s_and_saveexec_b32 s19, s16
	s_cbranch_execnz .LBB2_2470
	s_branch .LBB2_2471
.LBB2_2529:                             ;   in Loop: Header=BB2_2345 Depth=3
	s_or_saveexec_b32 s19, s19
	v_mov_b32_e32 v73, 0x7f800001
	s_xor_b32 exec_lo, exec_lo, s19
	s_cbranch_execz .LBB2_2475
.LBB2_2530:                             ;   in Loop: Header=BB2_2345 Depth=3
	v_cmp_ne_u16_sdwa s23, v72, v2 src0_sel:BYTE_0 src1_sel:DWORD
	v_mov_b32_e32 v73, 0
	s_andn2_b32 s16, s16, exec_lo
	s_and_b32 s23, s23, exec_lo
	s_or_b32 s16, s16, s23
	s_or_b32 exec_lo, exec_lo, s19
	s_and_saveexec_b32 s19, s16
	s_cbranch_execnz .LBB2_2476
	s_branch .LBB2_2477
.LBB2_2531:                             ;   in Loop: Header=BB2_2345 Depth=3
	s_or_saveexec_b32 s19, s19
	v_mov_b32_e32 v73, 0x7f800001
	s_xor_b32 exec_lo, exec_lo, s19
	s_cbranch_execz .LBB2_2489
.LBB2_2532:                             ;   in Loop: Header=BB2_2345 Depth=3
	v_cmp_ne_u16_sdwa s23, v69, v2 src0_sel:BYTE_0 src1_sel:DWORD
	v_mov_b32_e32 v73, 0
	s_andn2_b32 s16, s16, exec_lo
	s_and_b32 s23, s23, exec_lo
	s_or_b32 s16, s16, s23
	s_or_b32 exec_lo, exec_lo, s19
	s_and_saveexec_b32 s19, s16
	s_cbranch_execnz .LBB2_2490
	s_branch .LBB2_2491
.LBB2_2533:                             ;   in Loop: Header=BB2_2345 Depth=3
	s_or_saveexec_b32 s19, s19
	v_mov_b32_e32 v69, 0x7f800001
	s_xor_b32 exec_lo, exec_lo, s19
	s_cbranch_execz .LBB2_2495
.LBB2_2534:                             ;   in Loop: Header=BB2_2345 Depth=3
	v_cmp_ne_u16_sdwa s23, v68, v2 src0_sel:BYTE_0 src1_sel:DWORD
	v_mov_b32_e32 v69, 0
	s_andn2_b32 s16, s16, exec_lo
	s_and_b32 s23, s23, exec_lo
	s_or_b32 s16, s16, s23
	s_or_b32 exec_lo, exec_lo, s19
	s_and_saveexec_b32 s19, s16
	s_cbranch_execnz .LBB2_2496
	s_branch .LBB2_2497
.LBB2_2535:                             ;   in Loop: Header=BB2_1479 Depth=2
	s_or_b32 exec_lo, exec_lo, s18
.LBB2_2536:                             ;   in Loop: Header=BB2_1479 Depth=2
	s_or_b32 exec_lo, exec_lo, s17
	v_lshlrev_b32_e32 v8, 8, v62
	v_cmp_ne_u32_e32 vcc_lo, v71, v8
	s_and_b32 exec_lo, exec_lo, vcc_lo
	s_cbranch_execz .LBB2_2566
; %bb.2537:                             ;   in Loop: Header=BB2_1479 Depth=2
	v_add_nc_u32_e32 v9, v80, v61
	v_lshlrev_b32_e32 v10, 5, v81
	v_and_b32_e32 v9, 0xffffffe0, v9
	v_sub_nc_u32_e32 v9, v80, v9
	v_sub_nc_u32_e32 v9, v9, v10
	v_add_nc_u32_e32 v8, v8, v9
	v_sub_nc_u32_e32 v68, v71, v8
	v_cmp_lt_i32_e32 vcc_lo, 0, v68
	s_and_b32 exec_lo, exec_lo, vcc_lo
	s_cbranch_execz .LBB2_2566
; %bb.2538:                             ;   in Loop: Header=BB2_1479 Depth=2
	s_trap 2
	ds_read_b128 v[9:12], v0
	v_add_nc_u32_e32 v13, v8, v70
	s_mov_b32 s23, 0
	v_ashrrev_i32_e32 v14, 31, v13
	s_waitcnt lgkmcnt(0)
	v_add_co_u32 v8, vcc_lo, v9, v13
	v_add_co_ci_u32_e64 v9, null, v10, v14, vcc_lo
	v_add_co_u32 v10, vcc_lo, v11, v13
	v_add_co_ci_u32_e64 v11, null, v12, v14, vcc_lo
	v_mov_b32_e32 v13, v9
	v_mov_b32_e32 v12, v8
	;; [unrolled: 1-line block ×4, first 2 shown]
.LBB2_2539:                             ;   Parent Loop BB2_47 Depth=1
                                        ;     Parent Loop BB2_1479 Depth=2
                                        ; =>    This Loop Header: Depth=3
                                        ;         Child Loop BB2_2560 Depth 4
	flat_load_ubyte v71, v[12:13] slc
	flat_load_ubyte v69, v[14:15] slc
	s_mov_b32 s16, 0
	s_mov_b32 s17, exec_lo
	s_waitcnt vmcnt(1) lgkmcnt(1)
	v_cmpx_lt_i16_e32 0x7f, v71
	s_xor_b32 s17, exec_lo, s17
	s_cbranch_execz .LBB2_2562
; %bb.2540:                             ;   in Loop: Header=BB2_2539 Depth=3
	s_mov_b32 s16, -1
	s_mov_b32 s18, exec_lo
	v_cmpx_eq_u16_e32 0x80, v71
; %bb.2541:                             ;   in Loop: Header=BB2_2539 Depth=3
	s_xor_b32 s16, exec_lo, -1
; %bb.2542:                             ;   in Loop: Header=BB2_2539 Depth=3
	s_or_b32 exec_lo, exec_lo, s18
	s_and_b32 s16, s16, exec_lo
	s_or_saveexec_b32 s17, s17
	v_mov_b32_e32 v70, 0x7f800001
	s_xor_b32 exec_lo, exec_lo, s17
	s_cbranch_execnz .LBB2_2563
.LBB2_2543:                             ;   in Loop: Header=BB2_2539 Depth=3
	s_or_b32 exec_lo, exec_lo, s17
	s_and_saveexec_b32 s17, s16
	s_cbranch_execz .LBB2_2545
.LBB2_2544:                             ;   in Loop: Header=BB2_2539 Depth=3
	v_and_b32_e32 v70, 0xffff, v71
	v_lshlrev_b32_e32 v71, 24, v71
	v_and_b32_e32 v80, 3, v70
	v_bfe_u32 v62, v70, 2, 5
	v_and_b32_e32 v71, 0x80000000, v71
	v_ffbh_u32_e32 v81, v80
	v_cmp_eq_u32_e32 vcc_lo, 0, v62
	v_min_u32_e32 v81, 32, v81
	v_subrev_nc_u32_e32 v61, 29, v81
	v_sub_nc_u32_e32 v81, 30, v81
	v_lshlrev_b32_e32 v70, v61, v70
	v_cndmask_b32_e32 v81, v62, v81, vcc_lo
	v_and_b32_e32 v70, 3, v70
	v_cndmask_b32_e32 v70, v80, v70, vcc_lo
	v_lshl_add_u32 v80, v81, 23, 0x37800000
	v_lshlrev_b32_e32 v70, 21, v70
	v_or3_b32 v70, v71, v80, v70
.LBB2_2545:                             ;   in Loop: Header=BB2_2539 Depth=3
	s_or_b32 exec_lo, exec_lo, s17
	s_waitcnt vmcnt(0) lgkmcnt(0)
	v_cmp_gt_i16_sdwa s17, v69, v100 src0_sel:BYTE_0 src1_sel:DWORD
	s_mov_b32 s16, 0
	s_and_saveexec_b32 s18, s17
	s_xor_b32 s17, exec_lo, s18
	s_cbranch_execz .LBB2_2564
; %bb.2546:                             ;   in Loop: Header=BB2_2539 Depth=3
	v_cmp_eq_u16_sdwa s19, v69, v101 src0_sel:BYTE_0 src1_sel:DWORD
	s_mov_b32 s16, -1
	s_and_saveexec_b32 s18, s19
; %bb.2547:                             ;   in Loop: Header=BB2_2539 Depth=3
	s_xor_b32 s16, exec_lo, -1
; %bb.2548:                             ;   in Loop: Header=BB2_2539 Depth=3
	s_or_b32 exec_lo, exec_lo, s18
	s_and_b32 s16, s16, exec_lo
	s_or_saveexec_b32 s17, s17
	v_mov_b32_e32 v71, 0x7f800001
	s_xor_b32 exec_lo, exec_lo, s17
	s_cbranch_execnz .LBB2_2565
.LBB2_2549:                             ;   in Loop: Header=BB2_2539 Depth=3
	s_or_b32 exec_lo, exec_lo, s17
	s_and_saveexec_b32 s17, s16
	s_cbranch_execz .LBB2_2551
.LBB2_2550:                             ;   in Loop: Header=BB2_2539 Depth=3
	v_and_b32_e32 v71, 3, v69
	v_lshrrev_b16 v81, 2, v69
	v_ffbh_u32_e32 v80, v71
	v_and_b32_e32 v81, 31, v81
	v_min_u32_e32 v80, 32, v80
	v_cmp_eq_u32_e32 vcc_lo, 0, v81
	v_subrev_nc_u32_e32 v61, 29, v80
	v_sub_nc_u32_e32 v80, 30, v80
	v_lshlrev_b32_e32 v61, v61, v69
	v_lshlrev_b32_e32 v69, 24, v69
	v_cndmask_b32_e32 v80, v81, v80, vcc_lo
	v_and_b32_e32 v61, 3, v61
	v_and_b32_e32 v69, 0x80000000, v69
	v_lshl_add_u32 v80, v80, 23, 0x37800000
	v_cndmask_b32_e32 v71, v71, v61, vcc_lo
	v_lshlrev_b32_e32 v71, 21, v71
	v_or3_b32 v71, v69, v80, v71
.LBB2_2551:                             ;   in Loop: Header=BB2_2539 Depth=3
	s_or_b32 exec_lo, exec_lo, s17
	v_mul_f32_e32 v69, v70, v71
	v_and_b32_e32 v70, 0x7f800000, v69
	v_cmp_ne_u32_e32 vcc_lo, 0x7f800000, v70
	v_mov_b32_e32 v70, 0x80
	s_and_saveexec_b32 s17, vcc_lo
	s_cbranch_execz .LBB2_2559
; %bb.2552:                             ;   in Loop: Header=BB2_2539 Depth=3
	v_mov_b32_e32 v70, 0
	s_mov_b32 s18, exec_lo
	v_cmpx_ne_u32_e32 0, v69
	s_cbranch_execz .LBB2_2558
; %bb.2553:                             ;   in Loop: Header=BB2_2539 Depth=3
	v_bfe_u32 v70, v69, 23, 8
	v_and_b32_e32 v71, 0x7fffff, v69
	v_sub_nc_u32_e32 v80, 0x70, v70
	v_cmp_gt_u32_e32 vcc_lo, 0x71, v70
	v_or_b32_e32 v81, 0x800000, v71
	v_cndmask_b32_e32 v80, 0, v80, vcc_lo
	v_cmp_eq_u32_e32 vcc_lo, 0, v70
	v_add_nc_u32_e32 v70, 0xffffff91, v70
	v_cndmask_b32_e64 v80, v80, 0x6f, vcc_lo
	v_cndmask_b32_e32 v71, v81, v71, vcc_lo
	v_cndmask_b32_e64 v70, v70, 0xffffff92, vcc_lo
	v_lshl_add_u32 v81, 0x200000, v80, -1
	v_lshrrev_b32_e32 v61, v80, v71
	v_lshlrev_b32_e64 v63, v80, 0x100000
	v_add_nc_u32_e32 v80, v80, v70
	v_and_b32_e32 v71, v81, v71
	v_bfe_u32 v62, v61, 21, 1
	v_cmp_eq_u32_e64 s16, v71, v63
	v_add_nc_u32_e32 v81, -1, v62
	v_cndmask_b32_e64 v71, 0, v81, s16
	v_lshrrev_b32_e32 v81, 23, v61
	s_mov_b32 s16, exec_lo
	v_add_nc_u32_e32 v71, v71, v61
	v_xor_b32_e32 v81, 1, v81
	v_and_b32_e32 v70, 0x1fffff, v71
	v_add_nc_u32_e32 v71, v70, v61
                                        ; implicit-def: $vgpr70
	v_cmpx_ne_u32_e64 v80, v81
	s_xor_b32 s16, exec_lo, s16
; %bb.2554:                             ;   in Loop: Header=BB2_2539 Depth=3
	v_cmp_lt_u32_e32 vcc_lo, 0xffffff, v71
	v_sub_nc_u32_e32 v70, v80, v81
	v_cndmask_b32_e64 v80, 0, 1, vcc_lo
	v_add_co_ci_u32_e64 v70, null, 0, v70, vcc_lo
	v_lshrrev_b32_e32 v71, v80, v71
; %bb.2555:                             ;   in Loop: Header=BB2_2539 Depth=3
	s_andn2_saveexec_b32 s16, s16
; %bb.2556:                             ;   in Loop: Header=BB2_2539 Depth=3
	v_bfe_u32 v70, v71, 23, 1
; %bb.2557:                             ;   in Loop: Header=BB2_2539 Depth=3
	s_or_b32 exec_lo, exec_lo, s16
	v_lshrrev_b32_e32 v71, 21, v71
	v_cmp_gt_i32_e32 vcc_lo, 32, v70
	v_min_i32_e32 v80, 31, v70
	v_and_b32_sdwa v69, v69, v101 dst_sel:DWORD dst_unused:UNUSED_PAD src0_sel:BYTE_3 src1_sel:DWORD
	v_cndmask_b32_e32 v71, 3, v71, vcc_lo
	v_lshlrev_b32_e32 v80, 2, v80
	v_and_b32_e32 v81, 3, v71
	v_or_b32_e32 v70, v70, v71
	v_or3_b32 v69, v80, v69, v81
	v_cmp_ne_u32_e32 vcc_lo, 0, v70
	v_cndmask_b32_e32 v70, 0, v69, vcc_lo
.LBB2_2558:                             ;   in Loop: Header=BB2_2539 Depth=3
	s_or_b32 exec_lo, exec_lo, s18
.LBB2_2559:                             ;   in Loop: Header=BB2_2539 Depth=3
	s_or_b32 exec_lo, exec_lo, s17
	s_mov_b64 s[18:19], 0
	s_mov_b32 s72, -1
	.p2align	6
.LBB2_2560:                             ;   Parent Loop BB2_47 Depth=1
                                        ;     Parent Loop BB2_1479 Depth=2
                                        ;       Parent Loop BB2_2539 Depth=3
                                        ; =>      This Inner Loop Header: Depth=4
	s_cmp_eq_u32 s18, 1
	s_cselect_b32 vcc_lo, -1, 0
	s_cmp_eq_u32 s18, 0
	v_cndmask_b32_e32 v80, v8, v10, vcc_lo
	v_cndmask_b32_e32 v81, v9, v11, vcc_lo
	s_mov_b64 s[18:19], 1
	v_add_co_u32 v69, s16, v80, 32
	v_add_co_ci_u32_e64 v71, null, 0, v81, s16
	s_cselect_b32 s16, -1, 0
	v_cndmask_b32_e32 v10, v10, v69, vcc_lo
	v_cndmask_b32_e64 v8, v8, v69, s16
	v_cndmask_b32_e32 v11, v11, v71, vcc_lo
	v_cndmask_b32_e64 v9, v9, v71, s16
	s_and_b32 s17, exec_lo, s72
	s_mov_b32 s72, 0
	s_mov_b32 vcc_lo, s17
	flat_store_byte v[80:81], v70 glc slc
	s_cbranch_vccnz .LBB2_2560
; %bb.2561:                             ;   in Loop: Header=BB2_2539 Depth=3
	v_add_co_u32 v12, vcc_lo, v12, v44
	v_sub_nc_u32_e32 v68, v68, v96
	v_add_co_ci_u32_e64 v13, null, v13, v45, vcc_lo
	v_add_co_u32 v14, vcc_lo, v14, v44
	v_add_co_ci_u32_e64 v15, null, v15, v45, vcc_lo
	v_add_co_u32 v8, vcc_lo, v8, v119
	v_add_co_ci_u32_e64 v9, null, v9, v41, vcc_lo
	v_cmp_gt_i32_e32 vcc_lo, 1, v68
	v_add_co_u32 v10, s16, v10, v119
	v_add_co_ci_u32_e64 v11, null, v11, v41, s16
	s_or_b32 s23, vcc_lo, s23
	s_andn2_b32 exec_lo, exec_lo, s23
	s_cbranch_execnz .LBB2_2539
	s_branch .LBB2_2566
.LBB2_2562:                             ;   in Loop: Header=BB2_2539 Depth=3
	s_or_saveexec_b32 s17, s17
	v_mov_b32_e32 v70, 0x7f800001
	s_xor_b32 exec_lo, exec_lo, s17
	s_cbranch_execz .LBB2_2543
.LBB2_2563:                             ;   in Loop: Header=BB2_2539 Depth=3
	v_cmp_ne_u16_e32 vcc_lo, 0, v71
	v_mov_b32_e32 v70, 0
	s_andn2_b32 s16, s16, exec_lo
	s_and_b32 s18, vcc_lo, exec_lo
	s_or_b32 s16, s16, s18
	s_or_b32 exec_lo, exec_lo, s17
	s_and_saveexec_b32 s17, s16
	s_cbranch_execnz .LBB2_2544
	s_branch .LBB2_2545
.LBB2_2564:                             ;   in Loop: Header=BB2_2539 Depth=3
	s_or_saveexec_b32 s17, s17
	v_mov_b32_e32 v71, 0x7f800001
	s_xor_b32 exec_lo, exec_lo, s17
	s_cbranch_execz .LBB2_2549
.LBB2_2565:                             ;   in Loop: Header=BB2_2539 Depth=3
	v_cmp_ne_u16_sdwa s18, v69, v2 src0_sel:BYTE_0 src1_sel:DWORD
	v_mov_b32_e32 v71, 0
	s_andn2_b32 s16, s16, exec_lo
	s_and_b32 s18, s18, exec_lo
	s_or_b32 s16, s16, s18
	s_or_b32 exec_lo, exec_lo, s17
	s_and_saveexec_b32 s17, s16
	s_cbranch_execnz .LBB2_2550
	s_branch .LBB2_2551
.LBB2_2566:                             ;   in Loop: Header=BB2_1479 Depth=2
	s_or_b32 exec_lo, exec_lo, s22
	s_mov_b32 s16, 0
.LBB2_2567:                             ;   in Loop: Header=BB2_1479 Depth=2
	s_and_b32 vcc_lo, exec_lo, s16
	s_cbranch_vccz .LBB2_3580
; %bb.2568:                             ;   in Loop: Header=BB2_1479 Depth=2
	s_mov_b32 s16, -1
	s_and_saveexec_b32 s17, s15
	s_cbranch_execz .LBB2_2570
; %bb.2569:                             ;   in Loop: Header=BB2_1479 Depth=2
	ds_read_b32 v8, v0 offset:720
	s_waitcnt lgkmcnt(0)
	v_and_b32_e32 v8, 15, v8
	v_cmp_eq_u32_e32 vcc_lo, 0, v8
	s_orn2_b32 s16, vcc_lo, exec_lo
.LBB2_2570:                             ;   in Loop: Header=BB2_1479 Depth=2
	s_or_b32 exec_lo, exec_lo, s17
	s_and_saveexec_b32 s17, s13
	s_cbranch_execz .LBB2_2572
; %bb.2571:                             ;   in Loop: Header=BB2_1479 Depth=2
	ds_read_b32 v8, v0 offset:784
	s_waitcnt lgkmcnt(0)
	v_and_b32_e32 v8, 15, v8
	v_cmp_eq_u32_e32 vcc_lo, 0, v8
	s_and_b32 s18, s16, vcc_lo
	s_andn2_b32 s16, s16, exec_lo
	s_and_b32 s18, s18, exec_lo
	s_or_b32 s16, s16, s18
.LBB2_2572:                             ;   in Loop: Header=BB2_1479 Depth=2
	s_or_b32 exec_lo, exec_lo, s17
	s_xor_b32 s16, s16, -1
	v_mov_b32_e32 v14, 0
	v_cndmask_b32_e64 v8, 0, 1, s16
	v_mov_b32_e32 v15, v55
	v_mov_b32_e32 v68, v0
	s_mov_b32 s19, -1
	v_cmp_ne_u32_e32 vcc_lo, 0, v8
	v_mov_b32_e32 v8, v42
	s_cbranch_vccz .LBB2_2574
; %bb.2573:                             ;   in Loop: Header=BB2_1479 Depth=2
	s_and_saveexec_b32 s17, s19
	s_cbranch_execnz .LBB2_3355
	s_branch .LBB2_3579
.LBB2_2574:                             ;   in Loop: Header=BB2_1479 Depth=2
	v_ashrrev_i32_e32 v8, 31, v55
	v_sub_nc_u32_e32 v62, v55, v97
	s_mov_b32 s18, exec_lo
	v_lshrrev_b32_e32 v8, 23, v8
	v_add_nc_u32_e32 v8, v55, v8
	v_and_b32_e32 v61, 0xfffffe00, v8
	v_ashrrev_i32_e32 v8, 9, v8
	v_sub_nc_u32_e32 v63, v55, v61
	v_cmp_lt_i32_e32 vcc_lo, 15, v63
	v_add_co_ci_u32_e64 v72, null, v8, v47, vcc_lo
	v_cmpx_lt_i32_e32 15, v62
	s_cbranch_execz .LBB2_2962
; %bb.2575:                             ;   in Loop: Header=BB2_1479 Depth=2
	s_trap 2
	ds_read_b64 v[8:9], v0
	v_add_co_u32 v68, s16, v64, v97
	v_add_co_ci_u32_e64 v69, null, v65, v118, s16
	s_mov_b32 s19, 0
	s_waitcnt lgkmcnt(0)
	v_add_co_u32 v70, s16, v8, v97
	v_add_co_ci_u32_e64 v71, null, v9, v118, s16
	v_add_co_u32 v80, s16, v66, v97
	v_add_co_ci_u32_e64 v81, null, v67, v118, s16
	s_branch .LBB2_2579
.LBB2_2576:                             ;   in Loop: Header=BB2_2579 Depth=3
	s_or_b32 exec_lo, exec_lo, s16
	v_lshrrev_b32_e32 v90, 21, v90
	v_min_i32_e32 v91, 31, v15
	v_cmp_gt_i32_e64 s16, 32, v15
	v_and_b32_sdwa v11, v11, v101 dst_sel:DWORD dst_unused:UNUSED_PAD src0_sel:BYTE_3 src1_sel:DWORD
	v_lshlrev_b32_e32 v91, 2, v91
	v_cndmask_b32_e64 v90, 3, v90, s16
	v_and_b32_e32 v91, 0xfc, v91
	v_and_b32_e32 v92, 3, v90
	v_or_b32_e32 v15, v15, v90
	v_or3_b32 v11, v11, v91, v92
	v_cmp_ne_u32_e64 s16, 0, v15
	v_lshlrev_b32_e32 v11, 8, v11
	v_cndmask_b32_e64 v15, 0, v11, s16
.LBB2_2577:                             ;   in Loop: Header=BB2_2579 Depth=3
	s_or_b32 exec_lo, exec_lo, s23
.LBB2_2578:                             ;   in Loop: Header=BB2_2579 Depth=3
	s_or_b32 exec_lo, exec_lo, s22
	v_or_b32_sdwa v9, v9, v77 dst_sel:WORD_1 dst_unused:UNUSED_PAD src0_sel:DWORD src1_sel:DWORD
	v_or_b32_sdwa v8, v8, v75 dst_sel:WORD_1 dst_unused:UNUSED_PAD src0_sel:DWORD src1_sel:DWORD
	v_or_b32_sdwa v10, v10, v79 dst_sel:WORD_1 dst_unused:UNUSED_PAD src0_sel:DWORD src1_sel:DWORD
	v_or_b32_sdwa v11, v15, v89 dst_sel:WORD_1 dst_unused:UNUSED_PAD src0_sel:DWORD src1_sel:DWORD
	v_sub_nc_u32_e32 v62, v62, v116
	v_or3_b32 v9, v76, v12, v9
	v_or3_b32 v8, v74, v73, v8
	;; [unrolled: 1-line block ×4, first 2 shown]
	v_add_co_u32 v68, s16, v68, v116
	v_add_co_ci_u32_e64 v69, null, 0, v69, s16
	v_add_co_u32 v70, s16, v70, v116
	global_store_dwordx4 v[80:81], v[8:11], off glc slc
	v_add_co_ci_u32_e64 v71, null, 0, v71, s16
	v_cmp_gt_i32_e64 s16, 16, v62
	v_add_co_u32 v80, s17, v80, v116
	v_add_co_ci_u32_e64 v81, null, 0, v81, s17
	v_sub_nc_u32_e32 v72, v72, v87
	s_or_b32 s19, s16, s19
	s_andn2_b32 exec_lo, exec_lo, s19
	s_cbranch_execz .LBB2_2961
.LBB2_2579:                             ;   Parent Loop BB2_47 Depth=1
                                        ;     Parent Loop BB2_1479 Depth=2
                                        ; =>    This Inner Loop Header: Depth=3
	global_load_dwordx4 v[12:15], v[68:69], off slc
	global_load_dwordx4 v[8:11], v[70:71], off slc
	s_mov_b32 s16, 0
	s_waitcnt vmcnt(1)
	v_cmp_gt_i16_sdwa s17, v12, v100 src0_sel:BYTE_0 src1_sel:DWORD
	s_and_saveexec_b32 s22, s17
	s_xor_b32 s17, exec_lo, s22
	s_cbranch_execz .LBB2_2897
; %bb.2580:                             ;   in Loop: Header=BB2_2579 Depth=3
	v_cmp_eq_u16_sdwa s23, v12, v101 src0_sel:BYTE_0 src1_sel:DWORD
	s_mov_b32 s16, -1
	s_and_saveexec_b32 s22, s23
; %bb.2581:                             ;   in Loop: Header=BB2_2579 Depth=3
	s_xor_b32 s16, exec_lo, -1
; %bb.2582:                             ;   in Loop: Header=BB2_2579 Depth=3
	s_or_b32 exec_lo, exec_lo, s22
	s_and_b32 s16, s16, exec_lo
	s_or_saveexec_b32 s17, s17
	v_mov_b32_e32 v73, 0x7f800001
	s_xor_b32 exec_lo, exec_lo, s17
	s_cbranch_execnz .LBB2_2898
.LBB2_2583:                             ;   in Loop: Header=BB2_2579 Depth=3
	s_or_b32 exec_lo, exec_lo, s17
	s_and_saveexec_b32 s17, s16
	s_cbranch_execz .LBB2_2585
.LBB2_2584:                             ;   in Loop: Header=BB2_2579 Depth=3
	v_and_b32_e32 v73, 3, v12
	v_bfe_u32 v76, v12, 2, 5
	v_lshlrev_b32_e32 v77, 24, v12
	v_ffbh_u32_e32 v74, v73
	v_cmp_eq_u32_e64 s16, 0, v76
	v_min_u32_e32 v74, 32, v74
	v_subrev_nc_u32_e32 v75, 29, v74
	v_sub_nc_u32_e32 v74, 30, v74
	v_lshlrev_b32_e32 v75, v75, v12
	v_cndmask_b32_e64 v74, v76, v74, s16
	v_and_b32_e32 v75, 3, v75
	v_lshl_add_u32 v74, v74, 23, 0x37800000
	v_cndmask_b32_e64 v73, v73, v75, s16
	v_and_b32_e32 v75, 0x80000000, v77
	v_lshlrev_b32_e32 v73, 21, v73
	v_or3_b32 v73, v75, v74, v73
.LBB2_2585:                             ;   in Loop: Header=BB2_2579 Depth=3
	s_or_b32 exec_lo, exec_lo, s17
	s_waitcnt vmcnt(0)
	v_cmp_gt_i16_sdwa s17, v8, v100 src0_sel:BYTE_0 src1_sel:DWORD
	s_mov_b32 s16, 0
	s_and_saveexec_b32 s22, s17
	s_xor_b32 s17, exec_lo, s22
	s_cbranch_execz .LBB2_2899
; %bb.2586:                             ;   in Loop: Header=BB2_2579 Depth=3
	v_cmp_eq_u16_sdwa s23, v8, v101 src0_sel:BYTE_0 src1_sel:DWORD
	s_mov_b32 s16, -1
	s_and_saveexec_b32 s22, s23
; %bb.2587:                             ;   in Loop: Header=BB2_2579 Depth=3
	s_xor_b32 s16, exec_lo, -1
; %bb.2588:                             ;   in Loop: Header=BB2_2579 Depth=3
	s_or_b32 exec_lo, exec_lo, s22
	s_and_b32 s16, s16, exec_lo
	s_or_saveexec_b32 s17, s17
	v_mov_b32_e32 v74, 0x7f800001
	s_xor_b32 exec_lo, exec_lo, s17
	s_cbranch_execnz .LBB2_2900
.LBB2_2589:                             ;   in Loop: Header=BB2_2579 Depth=3
	s_or_b32 exec_lo, exec_lo, s17
	s_and_saveexec_b32 s17, s16
	s_cbranch_execz .LBB2_2591
.LBB2_2590:                             ;   in Loop: Header=BB2_2579 Depth=3
	v_and_b32_e32 v74, 3, v8
	v_bfe_u32 v77, v8, 2, 5
	v_lshlrev_b32_e32 v78, 24, v8
	v_ffbh_u32_e32 v75, v74
	v_cmp_eq_u32_e64 s16, 0, v77
	v_min_u32_e32 v75, 32, v75
	v_subrev_nc_u32_e32 v76, 29, v75
	v_sub_nc_u32_e32 v75, 30, v75
	v_lshlrev_b32_e32 v76, v76, v8
	v_cndmask_b32_e64 v75, v77, v75, s16
	v_and_b32_e32 v76, 3, v76
	v_lshl_add_u32 v75, v75, 23, 0x37800000
	v_cndmask_b32_e64 v74, v74, v76, s16
	v_and_b32_e32 v76, 0x80000000, v78
	v_lshlrev_b32_e32 v74, 21, v74
	v_or3_b32 v74, v76, v75, v74
.LBB2_2591:                             ;   in Loop: Header=BB2_2579 Depth=3
	s_or_b32 exec_lo, exec_lo, s17
	v_mul_f32_e32 v74, v73, v74
	v_and_b32_e32 v73, 0x7f800000, v74
	v_cmp_ne_u32_e64 s16, 0x7f800000, v73
	v_mov_b32_e32 v73, 0x80
	s_and_saveexec_b32 s22, s16
	s_cbranch_execz .LBB2_2599
; %bb.2592:                             ;   in Loop: Header=BB2_2579 Depth=3
	v_mov_b32_e32 v73, 0
	s_mov_b32 s23, exec_lo
	v_cmpx_ne_u32_e32 0, v74
	s_cbranch_execz .LBB2_2598
; %bb.2593:                             ;   in Loop: Header=BB2_2579 Depth=3
	v_bfe_u32 v73, v74, 23, 8
	v_and_b32_e32 v75, 0x7fffff, v74
	v_sub_nc_u32_e32 v76, 0x70, v73
	v_cmp_gt_u32_e64 s16, 0x71, v73
	v_or_b32_e32 v77, 0x800000, v75
	v_cndmask_b32_e64 v76, 0, v76, s16
	v_cmp_eq_u32_e64 s16, 0, v73
	v_add_nc_u32_e32 v73, 0xffffff91, v73
	v_cndmask_b32_e64 v76, v76, 0x6f, s16
	v_cndmask_b32_e64 v75, v77, v75, s16
	;; [unrolled: 1-line block ×3, first 2 shown]
	v_lshl_add_u32 v77, 0x200000, v76, -1
	v_lshrrev_b32_e32 v78, v76, v75
	v_lshlrev_b32_e64 v88, v76, 0x100000
	v_add_nc_u32_e32 v76, v76, v73
	v_and_b32_e32 v75, v77, v75
	v_bfe_u32 v79, v78, 21, 1
	v_cmp_eq_u32_e64 s17, v75, v88
	v_add_nc_u32_e32 v77, -1, v79
	v_cndmask_b32_e64 v75, 0, v77, s17
	v_lshrrev_b32_e32 v77, 23, v78
	s_mov_b32 s17, exec_lo
	v_add_nc_u32_e32 v75, v75, v78
	v_xor_b32_e32 v77, 1, v77
	v_and_b32_e32 v73, 0x1fffff, v75
	v_add_nc_u32_e32 v75, v73, v78
                                        ; implicit-def: $vgpr73
	v_cmpx_ne_u32_e64 v76, v77
	s_xor_b32 s17, exec_lo, s17
; %bb.2594:                             ;   in Loop: Header=BB2_2579 Depth=3
	v_cmp_lt_u32_e64 s16, 0xffffff, v75
	v_sub_nc_u32_e32 v73, v76, v77
	v_cndmask_b32_e64 v76, 0, 1, s16
	v_add_co_ci_u32_e64 v73, null, 0, v73, s16
	v_lshrrev_b32_e32 v75, v76, v75
; %bb.2595:                             ;   in Loop: Header=BB2_2579 Depth=3
	s_andn2_saveexec_b32 s16, s17
; %bb.2596:                             ;   in Loop: Header=BB2_2579 Depth=3
	v_bfe_u32 v73, v75, 23, 1
; %bb.2597:                             ;   in Loop: Header=BB2_2579 Depth=3
	s_or_b32 exec_lo, exec_lo, s16
	v_lshrrev_b32_e32 v75, 21, v75
	v_min_i32_e32 v76, 31, v73
	v_cmp_gt_i32_e64 s16, 32, v73
	v_and_b32_sdwa v74, v74, v101 dst_sel:DWORD dst_unused:UNUSED_PAD src0_sel:BYTE_3 src1_sel:DWORD
	v_lshlrev_b32_e32 v76, 2, v76
	v_cndmask_b32_e64 v75, 3, v75, s16
	v_and_b32_e32 v76, 0xfc, v76
	v_and_b32_e32 v77, 3, v75
	v_or_b32_e32 v73, v73, v75
	v_or3_b32 v74, v76, v74, v77
	v_cmp_ne_u32_e64 s16, 0, v73
	v_cndmask_b32_e64 v73, 0, v74, s16
.LBB2_2598:                             ;   in Loop: Header=BB2_2579 Depth=3
	s_or_b32 exec_lo, exec_lo, s23
.LBB2_2599:                             ;   in Loop: Header=BB2_2579 Depth=3
	s_or_b32 exec_lo, exec_lo, s22
	v_cmp_gt_i16_sdwa s17, v12, v100 src0_sel:BYTE_1 src1_sel:DWORD
	s_mov_b32 s16, 0
	s_and_saveexec_b32 s22, s17
	s_xor_b32 s17, exec_lo, s22
	s_cbranch_execz .LBB2_2901
; %bb.2600:                             ;   in Loop: Header=BB2_2579 Depth=3
	v_cmp_eq_u16_sdwa s23, v12, v101 src0_sel:BYTE_1 src1_sel:DWORD
	s_mov_b32 s16, -1
	s_and_saveexec_b32 s22, s23
; %bb.2601:                             ;   in Loop: Header=BB2_2579 Depth=3
	s_xor_b32 s16, exec_lo, -1
; %bb.2602:                             ;   in Loop: Header=BB2_2579 Depth=3
	s_or_b32 exec_lo, exec_lo, s22
	s_and_b32 s16, s16, exec_lo
	s_or_saveexec_b32 s17, s17
	v_mov_b32_e32 v74, 0x7f800001
	s_xor_b32 exec_lo, exec_lo, s17
	s_cbranch_execnz .LBB2_2902
.LBB2_2603:                             ;   in Loop: Header=BB2_2579 Depth=3
	s_or_b32 exec_lo, exec_lo, s17
	s_and_saveexec_b32 s17, s16
	s_cbranch_execz .LBB2_2605
.LBB2_2604:                             ;   in Loop: Header=BB2_2579 Depth=3
	v_and_b32_sdwa v74, v102, v12 dst_sel:DWORD dst_unused:UNUSED_PAD src0_sel:DWORD src1_sel:BYTE_1
	v_and_b32_e32 v75, 3, v74
	v_bfe_u32 v78, v74, 2, 5
	v_ffbh_u32_e32 v76, v75
	v_cmp_eq_u32_e64 s16, 0, v78
	v_min_u32_e32 v76, 32, v76
	v_subrev_nc_u32_e32 v77, 29, v76
	v_sub_nc_u32_e32 v76, 30, v76
	v_lshlrev_b32_e32 v74, v77, v74
	v_lshlrev_b32_sdwa v77, v103, v12 dst_sel:DWORD dst_unused:UNUSED_PAD src0_sel:DWORD src1_sel:BYTE_1
	v_cndmask_b32_e64 v76, v78, v76, s16
	v_and_b32_e32 v74, 3, v74
	v_lshl_add_u32 v76, v76, 23, 0x37800000
	v_cndmask_b32_e64 v74, v75, v74, s16
	v_and_b32_e32 v75, 0x80000000, v77
	v_lshlrev_b32_e32 v74, 21, v74
	v_or3_b32 v74, v75, v76, v74
.LBB2_2605:                             ;   in Loop: Header=BB2_2579 Depth=3
	s_or_b32 exec_lo, exec_lo, s17
	v_cmp_gt_i16_sdwa s17, v8, v100 src0_sel:BYTE_1 src1_sel:DWORD
	s_mov_b32 s16, 0
	s_and_saveexec_b32 s22, s17
	s_xor_b32 s17, exec_lo, s22
	s_cbranch_execz .LBB2_2903
; %bb.2606:                             ;   in Loop: Header=BB2_2579 Depth=3
	v_cmp_eq_u16_sdwa s23, v8, v101 src0_sel:BYTE_1 src1_sel:DWORD
	s_mov_b32 s16, -1
	s_and_saveexec_b32 s22, s23
; %bb.2607:                             ;   in Loop: Header=BB2_2579 Depth=3
	s_xor_b32 s16, exec_lo, -1
; %bb.2608:                             ;   in Loop: Header=BB2_2579 Depth=3
	s_or_b32 exec_lo, exec_lo, s22
	s_and_b32 s16, s16, exec_lo
	s_or_saveexec_b32 s17, s17
	v_mov_b32_e32 v75, 0x7f800001
	s_xor_b32 exec_lo, exec_lo, s17
	s_cbranch_execnz .LBB2_2904
.LBB2_2609:                             ;   in Loop: Header=BB2_2579 Depth=3
	s_or_b32 exec_lo, exec_lo, s17
	s_and_saveexec_b32 s17, s16
	s_cbranch_execz .LBB2_2611
.LBB2_2610:                             ;   in Loop: Header=BB2_2579 Depth=3
	v_and_b32_sdwa v75, v102, v8 dst_sel:DWORD dst_unused:UNUSED_PAD src0_sel:DWORD src1_sel:BYTE_1
	v_and_b32_e32 v76, 3, v75
	v_bfe_u32 v79, v75, 2, 5
	v_ffbh_u32_e32 v77, v76
	v_cmp_eq_u32_e64 s16, 0, v79
	v_min_u32_e32 v77, 32, v77
	v_subrev_nc_u32_e32 v78, 29, v77
	v_sub_nc_u32_e32 v77, 30, v77
	v_lshlrev_b32_e32 v75, v78, v75
	v_lshlrev_b32_sdwa v78, v103, v8 dst_sel:DWORD dst_unused:UNUSED_PAD src0_sel:DWORD src1_sel:BYTE_1
	v_cndmask_b32_e64 v77, v79, v77, s16
	v_and_b32_e32 v75, 3, v75
	v_lshl_add_u32 v77, v77, 23, 0x37800000
	v_cndmask_b32_e64 v75, v76, v75, s16
	v_and_b32_e32 v76, 0x80000000, v78
	v_lshlrev_b32_e32 v75, 21, v75
	v_or3_b32 v75, v76, v77, v75
.LBB2_2611:                             ;   in Loop: Header=BB2_2579 Depth=3
	s_or_b32 exec_lo, exec_lo, s17
	v_mul_f32_e32 v75, v74, v75
	v_and_b32_e32 v74, 0x7f800000, v75
	v_cmp_ne_u32_e64 s16, 0x7f800000, v74
	v_mov_b32_e32 v74, 0x8000
	s_and_saveexec_b32 s22, s16
	s_cbranch_execz .LBB2_2619
; %bb.2612:                             ;   in Loop: Header=BB2_2579 Depth=3
	v_mov_b32_e32 v74, 0
	s_mov_b32 s23, exec_lo
	v_cmpx_ne_u32_e32 0, v75
	s_cbranch_execz .LBB2_2618
; %bb.2613:                             ;   in Loop: Header=BB2_2579 Depth=3
	v_bfe_u32 v74, v75, 23, 8
	v_and_b32_e32 v76, 0x7fffff, v75
	v_sub_nc_u32_e32 v77, 0x70, v74
	v_cmp_gt_u32_e64 s16, 0x71, v74
	v_or_b32_e32 v78, 0x800000, v76
	v_cndmask_b32_e64 v77, 0, v77, s16
	v_cmp_eq_u32_e64 s16, 0, v74
	v_add_nc_u32_e32 v74, 0xffffff91, v74
	v_cndmask_b32_e64 v77, v77, 0x6f, s16
	v_cndmask_b32_e64 v76, v78, v76, s16
	;; [unrolled: 1-line block ×3, first 2 shown]
	v_lshl_add_u32 v78, 0x200000, v77, -1
	v_lshrrev_b32_e32 v79, v77, v76
	v_lshlrev_b32_e64 v89, v77, 0x100000
	v_add_nc_u32_e32 v77, v77, v74
	v_and_b32_e32 v76, v78, v76
	v_bfe_u32 v88, v79, 21, 1
	v_cmp_eq_u32_e64 s17, v76, v89
	v_add_nc_u32_e32 v78, -1, v88
	v_cndmask_b32_e64 v76, 0, v78, s17
	v_lshrrev_b32_e32 v78, 23, v79
	s_mov_b32 s17, exec_lo
	v_add_nc_u32_e32 v76, v76, v79
	v_xor_b32_e32 v78, 1, v78
	v_and_b32_e32 v74, 0x1fffff, v76
	v_add_nc_u32_e32 v76, v74, v79
                                        ; implicit-def: $vgpr74
	v_cmpx_ne_u32_e64 v77, v78
	s_xor_b32 s17, exec_lo, s17
; %bb.2614:                             ;   in Loop: Header=BB2_2579 Depth=3
	v_cmp_lt_u32_e64 s16, 0xffffff, v76
	v_sub_nc_u32_e32 v74, v77, v78
	v_cndmask_b32_e64 v77, 0, 1, s16
	v_add_co_ci_u32_e64 v74, null, 0, v74, s16
	v_lshrrev_b32_e32 v76, v77, v76
; %bb.2615:                             ;   in Loop: Header=BB2_2579 Depth=3
	s_andn2_saveexec_b32 s16, s17
; %bb.2616:                             ;   in Loop: Header=BB2_2579 Depth=3
	v_bfe_u32 v74, v76, 23, 1
; %bb.2617:                             ;   in Loop: Header=BB2_2579 Depth=3
	s_or_b32 exec_lo, exec_lo, s16
	v_lshrrev_b32_e32 v76, 21, v76
	v_min_i32_e32 v77, 31, v74
	v_cmp_gt_i32_e64 s16, 32, v74
	v_and_b32_sdwa v75, v75, v101 dst_sel:DWORD dst_unused:UNUSED_PAD src0_sel:BYTE_3 src1_sel:DWORD
	v_lshlrev_b32_e32 v77, 2, v77
	v_cndmask_b32_e64 v76, 3, v76, s16
	v_and_b32_e32 v77, 0xfc, v77
	v_and_b32_e32 v78, 3, v76
	v_or_b32_e32 v74, v74, v76
	v_or3_b32 v75, v75, v77, v78
	v_cmp_ne_u32_e64 s16, 0, v74
	v_lshlrev_b32_e32 v75, 8, v75
	v_cndmask_b32_e64 v74, 0, v75, s16
.LBB2_2618:                             ;   in Loop: Header=BB2_2579 Depth=3
	s_or_b32 exec_lo, exec_lo, s23
.LBB2_2619:                             ;   in Loop: Header=BB2_2579 Depth=3
	s_or_b32 exec_lo, exec_lo, s22
	v_and_b32_sdwa v76, v12, v112 dst_sel:DWORD dst_unused:UNUSED_PAD src0_sel:WORD_1 src1_sel:DWORD
	s_mov_b32 s17, 0
	s_mov_b32 s22, exec_lo
	v_cmpx_lt_i16_e32 0x7f, v76
	s_xor_b32 s22, exec_lo, s22
	s_cbranch_execz .LBB2_2905
; %bb.2620:                             ;   in Loop: Header=BB2_2579 Depth=3
	s_mov_b32 s17, -1
	s_mov_b32 s23, exec_lo
	v_cmpx_eq_u16_e32 0x80, v76
; %bb.2621:                             ;   in Loop: Header=BB2_2579 Depth=3
	s_xor_b32 s17, exec_lo, -1
; %bb.2622:                             ;   in Loop: Header=BB2_2579 Depth=3
	s_or_b32 exec_lo, exec_lo, s23
	s_and_b32 s17, s17, exec_lo
                                        ; implicit-def: $vgpr76
	s_or_saveexec_b32 s22, s22
	v_mov_b32_e32 v75, 0x7f800001
	s_xor_b32 exec_lo, exec_lo, s22
	s_cbranch_execnz .LBB2_2906
.LBB2_2623:                             ;   in Loop: Header=BB2_2579 Depth=3
	s_or_b32 exec_lo, exec_lo, s22
	s_and_saveexec_b32 s22, s17
	s_cbranch_execz .LBB2_2625
.LBB2_2624:                             ;   in Loop: Header=BB2_2579 Depth=3
	v_bfe_u32 v75, v12, 16, 2
	v_bfe_u32 v78, v12, 18, 5
	v_lshlrev_b32_e32 v79, 8, v12
	v_ffbh_u32_e32 v76, v75
	v_cmp_eq_u32_e64 s16, 0, v78
	v_min_u32_e32 v76, 32, v76
	v_subrev_nc_u32_e32 v77, 29, v76
	v_sub_nc_u32_e32 v76, 30, v76
	v_lshlrev_b32_sdwa v77, v77, v12 dst_sel:DWORD dst_unused:UNUSED_PAD src0_sel:DWORD src1_sel:WORD_1
	v_cndmask_b32_e64 v76, v78, v76, s16
	v_and_b32_e32 v77, 3, v77
	v_lshl_add_u32 v76, v76, 23, 0x37800000
	v_cndmask_b32_e64 v75, v75, v77, s16
	v_and_b32_e32 v77, 0x80000000, v79
	v_lshlrev_b32_e32 v75, 21, v75
	v_or3_b32 v75, v77, v76, v75
.LBB2_2625:                             ;   in Loop: Header=BB2_2579 Depth=3
	s_or_b32 exec_lo, exec_lo, s22
	v_and_b32_sdwa v77, v8, v112 dst_sel:DWORD dst_unused:UNUSED_PAD src0_sel:WORD_1 src1_sel:DWORD
	s_mov_b32 s17, 0
	s_mov_b32 s22, exec_lo
	v_cmpx_lt_i16_e32 0x7f, v77
	s_xor_b32 s22, exec_lo, s22
	s_cbranch_execz .LBB2_2907
; %bb.2626:                             ;   in Loop: Header=BB2_2579 Depth=3
	s_mov_b32 s17, -1
	s_mov_b32 s23, exec_lo
	v_cmpx_eq_u16_e32 0x80, v77
; %bb.2627:                             ;   in Loop: Header=BB2_2579 Depth=3
	s_xor_b32 s17, exec_lo, -1
; %bb.2628:                             ;   in Loop: Header=BB2_2579 Depth=3
	s_or_b32 exec_lo, exec_lo, s23
	s_and_b32 s17, s17, exec_lo
                                        ; implicit-def: $vgpr77
	s_or_saveexec_b32 s22, s22
	v_mov_b32_e32 v76, 0x7f800001
	s_xor_b32 exec_lo, exec_lo, s22
	s_cbranch_execnz .LBB2_2908
.LBB2_2629:                             ;   in Loop: Header=BB2_2579 Depth=3
	s_or_b32 exec_lo, exec_lo, s22
	s_and_saveexec_b32 s22, s17
	s_cbranch_execz .LBB2_2631
.LBB2_2630:                             ;   in Loop: Header=BB2_2579 Depth=3
	v_and_b32_sdwa v76, v8, v113 dst_sel:DWORD dst_unused:UNUSED_PAD src0_sel:WORD_1 src1_sel:DWORD
	v_bfe_u32 v79, v8, 18, 5
	v_lshlrev_b32_sdwa v88, v103, v8 dst_sel:DWORD dst_unused:UNUSED_PAD src0_sel:DWORD src1_sel:WORD_1
	v_ffbh_u32_e32 v77, v76
	v_cmp_eq_u32_e64 s16, 0, v79
	v_min_u32_e32 v77, 32, v77
	v_subrev_nc_u32_e32 v78, 29, v77
	v_sub_nc_u32_e32 v77, 30, v77
	v_lshlrev_b32_sdwa v78, v78, v8 dst_sel:DWORD dst_unused:UNUSED_PAD src0_sel:DWORD src1_sel:WORD_1
	v_cndmask_b32_e64 v77, v79, v77, s16
	v_and_b32_e32 v78, 3, v78
	v_lshl_add_u32 v77, v77, 23, 0x37800000
	v_cndmask_b32_e64 v76, v76, v78, s16
	v_and_b32_e32 v78, 0x80000000, v88
	v_lshlrev_b32_e32 v76, 21, v76
	v_or3_b32 v76, v78, v77, v76
.LBB2_2631:                             ;   in Loop: Header=BB2_2579 Depth=3
	s_or_b32 exec_lo, exec_lo, s22
	v_mul_f32_e32 v76, v75, v76
	v_and_b32_e32 v75, 0x7f800000, v76
	v_cmp_ne_u32_e64 s16, 0x7f800000, v75
	v_mov_b32_e32 v75, 0x80
	s_and_saveexec_b32 s22, s16
	s_cbranch_execz .LBB2_2639
; %bb.2632:                             ;   in Loop: Header=BB2_2579 Depth=3
	v_mov_b32_e32 v75, 0
	s_mov_b32 s23, exec_lo
	v_cmpx_ne_u32_e32 0, v76
	s_cbranch_execz .LBB2_2638
; %bb.2633:                             ;   in Loop: Header=BB2_2579 Depth=3
	v_bfe_u32 v75, v76, 23, 8
	v_and_b32_e32 v77, 0x7fffff, v76
	v_sub_nc_u32_e32 v78, 0x70, v75
	v_cmp_gt_u32_e64 s16, 0x71, v75
	v_or_b32_e32 v79, 0x800000, v77
	v_cndmask_b32_e64 v78, 0, v78, s16
	v_cmp_eq_u32_e64 s16, 0, v75
	v_add_nc_u32_e32 v75, 0xffffff91, v75
	v_cndmask_b32_e64 v78, v78, 0x6f, s16
	v_cndmask_b32_e64 v77, v79, v77, s16
	;; [unrolled: 1-line block ×3, first 2 shown]
	v_lshl_add_u32 v79, 0x200000, v78, -1
	v_lshrrev_b32_e32 v88, v78, v77
	v_lshlrev_b32_e64 v90, v78, 0x100000
	v_add_nc_u32_e32 v78, v78, v75
	v_and_b32_e32 v77, v79, v77
	v_bfe_u32 v89, v88, 21, 1
	v_cmp_eq_u32_e64 s17, v77, v90
	v_add_nc_u32_e32 v79, -1, v89
	v_cndmask_b32_e64 v77, 0, v79, s17
	v_lshrrev_b32_e32 v79, 23, v88
	s_mov_b32 s17, exec_lo
	v_add_nc_u32_e32 v77, v77, v88
	v_xor_b32_e32 v79, 1, v79
	v_and_b32_e32 v75, 0x1fffff, v77
	v_add_nc_u32_e32 v77, v75, v88
                                        ; implicit-def: $vgpr75
	v_cmpx_ne_u32_e64 v78, v79
	s_xor_b32 s17, exec_lo, s17
; %bb.2634:                             ;   in Loop: Header=BB2_2579 Depth=3
	v_cmp_lt_u32_e64 s16, 0xffffff, v77
	v_sub_nc_u32_e32 v75, v78, v79
	v_cndmask_b32_e64 v78, 0, 1, s16
	v_add_co_ci_u32_e64 v75, null, 0, v75, s16
	v_lshrrev_b32_e32 v77, v78, v77
; %bb.2635:                             ;   in Loop: Header=BB2_2579 Depth=3
	s_andn2_saveexec_b32 s16, s17
; %bb.2636:                             ;   in Loop: Header=BB2_2579 Depth=3
	v_bfe_u32 v75, v77, 23, 1
; %bb.2637:                             ;   in Loop: Header=BB2_2579 Depth=3
	s_or_b32 exec_lo, exec_lo, s16
	v_lshrrev_b32_e32 v77, 21, v77
	v_min_i32_e32 v78, 31, v75
	v_cmp_gt_i32_e64 s16, 32, v75
	v_and_b32_sdwa v76, v76, v101 dst_sel:DWORD dst_unused:UNUSED_PAD src0_sel:BYTE_3 src1_sel:DWORD
	v_lshlrev_b32_e32 v78, 2, v78
	v_cndmask_b32_e64 v77, 3, v77, s16
	v_and_b32_e32 v78, 0xfc, v78
	v_and_b32_e32 v79, 3, v77
	v_or_b32_e32 v75, v75, v77
	v_or3_b32 v76, v78, v76, v79
	v_cmp_ne_u32_e64 s16, 0, v75
	v_cndmask_b32_e64 v75, 0, v76, s16
.LBB2_2638:                             ;   in Loop: Header=BB2_2579 Depth=3
	s_or_b32 exec_lo, exec_lo, s23
.LBB2_2639:                             ;   in Loop: Header=BB2_2579 Depth=3
	s_or_b32 exec_lo, exec_lo, s22
	v_cmp_gt_i16_sdwa s17, v12, v100 src0_sel:BYTE_3 src1_sel:DWORD
	s_mov_b32 s16, 0
	s_and_saveexec_b32 s22, s17
	s_xor_b32 s17, exec_lo, s22
	s_cbranch_execz .LBB2_2909
; %bb.2640:                             ;   in Loop: Header=BB2_2579 Depth=3
	v_cmp_eq_u16_sdwa s23, v12, v101 src0_sel:BYTE_3 src1_sel:DWORD
	s_mov_b32 s16, -1
	s_and_saveexec_b32 s22, s23
; %bb.2641:                             ;   in Loop: Header=BB2_2579 Depth=3
	s_xor_b32 s16, exec_lo, -1
; %bb.2642:                             ;   in Loop: Header=BB2_2579 Depth=3
	s_or_b32 exec_lo, exec_lo, s22
	s_and_b32 s16, s16, exec_lo
	s_or_saveexec_b32 s17, s17
	v_mov_b32_e32 v76, 0x7f800001
	s_xor_b32 exec_lo, exec_lo, s17
	s_cbranch_execnz .LBB2_2910
.LBB2_2643:                             ;   in Loop: Header=BB2_2579 Depth=3
	s_or_b32 exec_lo, exec_lo, s17
	s_and_saveexec_b32 s17, s16
	s_cbranch_execz .LBB2_2645
.LBB2_2644:                             ;   in Loop: Header=BB2_2579 Depth=3
	v_bfe_u32 v76, v12, 24, 2
	v_bfe_u32 v79, v12, 26, 5
	v_ffbh_u32_e32 v77, v76
	v_cmp_eq_u32_e64 s16, 0, v79
	v_min_u32_e32 v77, 32, v77
	v_subrev_nc_u32_e32 v78, 29, v77
	v_sub_nc_u32_e32 v77, 30, v77
	v_lshlrev_b32_sdwa v78, v78, v12 dst_sel:DWORD dst_unused:UNUSED_PAD src0_sel:DWORD src1_sel:BYTE_3
	v_cndmask_b32_e64 v77, v79, v77, s16
	v_and_b32_e32 v12, 0x80000000, v12
	v_and_b32_e32 v78, 3, v78
	v_lshl_add_u32 v77, v77, 23, 0x37800000
	v_cndmask_b32_e64 v76, v76, v78, s16
	v_lshlrev_b32_e32 v76, 21, v76
	v_or3_b32 v76, v12, v77, v76
.LBB2_2645:                             ;   in Loop: Header=BB2_2579 Depth=3
	s_or_b32 exec_lo, exec_lo, s17
	v_cmp_gt_i16_sdwa s17, v8, v100 src0_sel:BYTE_3 src1_sel:DWORD
	s_mov_b32 s16, 0
	s_and_saveexec_b32 s22, s17
	s_xor_b32 s17, exec_lo, s22
	s_cbranch_execz .LBB2_2911
; %bb.2646:                             ;   in Loop: Header=BB2_2579 Depth=3
	v_cmp_eq_u16_sdwa s23, v8, v101 src0_sel:BYTE_3 src1_sel:DWORD
	s_mov_b32 s16, -1
	s_and_saveexec_b32 s22, s23
; %bb.2647:                             ;   in Loop: Header=BB2_2579 Depth=3
	s_xor_b32 s16, exec_lo, -1
; %bb.2648:                             ;   in Loop: Header=BB2_2579 Depth=3
	s_or_b32 exec_lo, exec_lo, s22
	s_and_b32 s16, s16, exec_lo
	s_or_saveexec_b32 s17, s17
	v_mov_b32_e32 v12, 0x7f800001
	s_xor_b32 exec_lo, exec_lo, s17
	s_cbranch_execnz .LBB2_2912
.LBB2_2649:                             ;   in Loop: Header=BB2_2579 Depth=3
	s_or_b32 exec_lo, exec_lo, s17
	s_and_saveexec_b32 s17, s16
	s_cbranch_execz .LBB2_2651
.LBB2_2650:                             ;   in Loop: Header=BB2_2579 Depth=3
	v_and_b32_sdwa v12, v8, v113 dst_sel:DWORD dst_unused:UNUSED_PAD src0_sel:BYTE_3 src1_sel:DWORD
	v_bfe_u32 v79, v8, 26, 5
	v_ffbh_u32_e32 v77, v12
	v_cmp_eq_u32_e64 s16, 0, v79
	v_min_u32_e32 v77, 32, v77
	v_subrev_nc_u32_e32 v78, 29, v77
	v_sub_nc_u32_e32 v77, 30, v77
	v_lshlrev_b32_sdwa v78, v78, v8 dst_sel:DWORD dst_unused:UNUSED_PAD src0_sel:DWORD src1_sel:BYTE_3
	v_cndmask_b32_e64 v77, v79, v77, s16
	v_and_b32_e32 v8, 0x80000000, v8
	v_and_b32_e32 v78, 3, v78
	v_lshl_add_u32 v77, v77, 23, 0x37800000
	v_cndmask_b32_e64 v12, v12, v78, s16
	v_lshlrev_b32_e32 v12, 21, v12
	v_or3_b32 v12, v8, v77, v12
.LBB2_2651:                             ;   in Loop: Header=BB2_2579 Depth=3
	s_or_b32 exec_lo, exec_lo, s17
	v_mul_f32_e32 v12, v76, v12
	v_and_b32_e32 v8, 0x7f800000, v12
	v_cmp_ne_u32_e64 s16, 0x7f800000, v8
	v_mov_b32_e32 v8, 0x8000
	s_and_saveexec_b32 s22, s16
	s_cbranch_execz .LBB2_2659
; %bb.2652:                             ;   in Loop: Header=BB2_2579 Depth=3
	v_mov_b32_e32 v8, 0
	s_mov_b32 s23, exec_lo
	v_cmpx_ne_u32_e32 0, v12
	s_cbranch_execz .LBB2_2658
; %bb.2653:                             ;   in Loop: Header=BB2_2579 Depth=3
	v_bfe_u32 v8, v12, 23, 8
	v_and_b32_e32 v76, 0x7fffff, v12
	v_sub_nc_u32_e32 v77, 0x70, v8
	v_cmp_gt_u32_e64 s16, 0x71, v8
	v_or_b32_e32 v78, 0x800000, v76
	v_cndmask_b32_e64 v77, 0, v77, s16
	v_cmp_eq_u32_e64 s16, 0, v8
	v_add_nc_u32_e32 v8, 0xffffff91, v8
	v_cndmask_b32_e64 v77, v77, 0x6f, s16
	v_cndmask_b32_e64 v76, v78, v76, s16
	;; [unrolled: 1-line block ×3, first 2 shown]
	v_lshl_add_u32 v78, 0x200000, v77, -1
	v_lshrrev_b32_e32 v79, v77, v76
	v_lshlrev_b32_e64 v89, v77, 0x100000
	v_add_nc_u32_e32 v77, v77, v8
	v_and_b32_e32 v76, v78, v76
	v_bfe_u32 v88, v79, 21, 1
	v_cmp_eq_u32_e64 s17, v76, v89
	v_add_nc_u32_e32 v78, -1, v88
	v_cndmask_b32_e64 v76, 0, v78, s17
	v_lshrrev_b32_e32 v78, 23, v79
	s_mov_b32 s17, exec_lo
	v_add_nc_u32_e32 v76, v76, v79
	v_xor_b32_e32 v78, 1, v78
	v_and_b32_e32 v8, 0x1fffff, v76
	v_add_nc_u32_e32 v76, v8, v79
                                        ; implicit-def: $vgpr8
	v_cmpx_ne_u32_e64 v77, v78
	s_xor_b32 s17, exec_lo, s17
; %bb.2654:                             ;   in Loop: Header=BB2_2579 Depth=3
	v_cmp_lt_u32_e64 s16, 0xffffff, v76
	v_sub_nc_u32_e32 v8, v77, v78
	v_cndmask_b32_e64 v77, 0, 1, s16
	v_add_co_ci_u32_e64 v8, null, 0, v8, s16
	v_lshrrev_b32_e32 v76, v77, v76
; %bb.2655:                             ;   in Loop: Header=BB2_2579 Depth=3
	s_andn2_saveexec_b32 s16, s17
; %bb.2656:                             ;   in Loop: Header=BB2_2579 Depth=3
	v_bfe_u32 v8, v76, 23, 1
; %bb.2657:                             ;   in Loop: Header=BB2_2579 Depth=3
	s_or_b32 exec_lo, exec_lo, s16
	v_lshrrev_b32_e32 v76, 21, v76
	v_min_i32_e32 v77, 31, v8
	v_cmp_gt_i32_e64 s16, 32, v8
	v_and_b32_sdwa v12, v12, v101 dst_sel:DWORD dst_unused:UNUSED_PAD src0_sel:BYTE_3 src1_sel:DWORD
	v_lshlrev_b32_e32 v77, 2, v77
	v_cndmask_b32_e64 v76, 3, v76, s16
	v_and_b32_e32 v77, 0xfc, v77
	v_and_b32_e32 v78, 3, v76
	v_or_b32_e32 v8, v8, v76
	v_or3_b32 v12, v12, v77, v78
	v_cmp_ne_u32_e64 s16, 0, v8
	v_lshlrev_b32_e32 v12, 8, v12
	v_cndmask_b32_e64 v8, 0, v12, s16
.LBB2_2658:                             ;   in Loop: Header=BB2_2579 Depth=3
	s_or_b32 exec_lo, exec_lo, s23
.LBB2_2659:                             ;   in Loop: Header=BB2_2579 Depth=3
	s_or_b32 exec_lo, exec_lo, s22
	v_cmp_gt_i16_sdwa s17, v13, v100 src0_sel:BYTE_0 src1_sel:DWORD
	s_mov_b32 s16, 0
	s_and_saveexec_b32 s22, s17
	s_xor_b32 s17, exec_lo, s22
	s_cbranch_execz .LBB2_2913
; %bb.2660:                             ;   in Loop: Header=BB2_2579 Depth=3
	v_cmp_eq_u16_sdwa s23, v13, v101 src0_sel:BYTE_0 src1_sel:DWORD
	s_mov_b32 s16, -1
	s_and_saveexec_b32 s22, s23
; %bb.2661:                             ;   in Loop: Header=BB2_2579 Depth=3
	s_xor_b32 s16, exec_lo, -1
; %bb.2662:                             ;   in Loop: Header=BB2_2579 Depth=3
	s_or_b32 exec_lo, exec_lo, s22
	s_and_b32 s16, s16, exec_lo
	s_or_saveexec_b32 s17, s17
	v_mov_b32_e32 v12, 0x7f800001
	s_xor_b32 exec_lo, exec_lo, s17
	s_cbranch_execnz .LBB2_2914
.LBB2_2663:                             ;   in Loop: Header=BB2_2579 Depth=3
	s_or_b32 exec_lo, exec_lo, s17
	s_and_saveexec_b32 s17, s16
	s_cbranch_execz .LBB2_2665
.LBB2_2664:                             ;   in Loop: Header=BB2_2579 Depth=3
	v_and_b32_e32 v12, 3, v13
	v_bfe_u32 v78, v13, 2, 5
	v_lshlrev_b32_e32 v79, 24, v13
	v_ffbh_u32_e32 v76, v12
	v_cmp_eq_u32_e64 s16, 0, v78
	v_min_u32_e32 v76, 32, v76
	v_subrev_nc_u32_e32 v77, 29, v76
	v_sub_nc_u32_e32 v76, 30, v76
	v_lshlrev_b32_e32 v77, v77, v13
	v_cndmask_b32_e64 v76, v78, v76, s16
	v_and_b32_e32 v77, 3, v77
	v_lshl_add_u32 v76, v76, 23, 0x37800000
	v_cndmask_b32_e64 v12, v12, v77, s16
	v_and_b32_e32 v77, 0x80000000, v79
	v_lshlrev_b32_e32 v12, 21, v12
	v_or3_b32 v12, v77, v76, v12
.LBB2_2665:                             ;   in Loop: Header=BB2_2579 Depth=3
	s_or_b32 exec_lo, exec_lo, s17
	v_cmp_gt_i16_sdwa s17, v9, v100 src0_sel:BYTE_0 src1_sel:DWORD
	s_mov_b32 s16, 0
	s_and_saveexec_b32 s22, s17
	s_xor_b32 s17, exec_lo, s22
	s_cbranch_execz .LBB2_2915
; %bb.2666:                             ;   in Loop: Header=BB2_2579 Depth=3
	v_cmp_eq_u16_sdwa s23, v9, v101 src0_sel:BYTE_0 src1_sel:DWORD
	s_mov_b32 s16, -1
	s_and_saveexec_b32 s22, s23
; %bb.2667:                             ;   in Loop: Header=BB2_2579 Depth=3
	s_xor_b32 s16, exec_lo, -1
; %bb.2668:                             ;   in Loop: Header=BB2_2579 Depth=3
	s_or_b32 exec_lo, exec_lo, s22
	s_and_b32 s16, s16, exec_lo
	s_or_saveexec_b32 s17, s17
	v_mov_b32_e32 v76, 0x7f800001
	s_xor_b32 exec_lo, exec_lo, s17
	s_cbranch_execnz .LBB2_2916
.LBB2_2669:                             ;   in Loop: Header=BB2_2579 Depth=3
	s_or_b32 exec_lo, exec_lo, s17
	s_and_saveexec_b32 s17, s16
	s_cbranch_execz .LBB2_2671
.LBB2_2670:                             ;   in Loop: Header=BB2_2579 Depth=3
	v_and_b32_e32 v76, 3, v9
	v_bfe_u32 v79, v9, 2, 5
	v_lshlrev_b32_e32 v88, 24, v9
	v_ffbh_u32_e32 v77, v76
	v_cmp_eq_u32_e64 s16, 0, v79
	v_min_u32_e32 v77, 32, v77
	v_subrev_nc_u32_e32 v78, 29, v77
	v_sub_nc_u32_e32 v77, 30, v77
	v_lshlrev_b32_e32 v78, v78, v9
	v_cndmask_b32_e64 v77, v79, v77, s16
	v_and_b32_e32 v78, 3, v78
	v_lshl_add_u32 v77, v77, 23, 0x37800000
	v_cndmask_b32_e64 v76, v76, v78, s16
	v_and_b32_e32 v78, 0x80000000, v88
	v_lshlrev_b32_e32 v76, 21, v76
	v_or3_b32 v76, v78, v77, v76
.LBB2_2671:                             ;   in Loop: Header=BB2_2579 Depth=3
	s_or_b32 exec_lo, exec_lo, s17
	v_mul_f32_e32 v76, v12, v76
	v_and_b32_e32 v12, 0x7f800000, v76
	v_cmp_ne_u32_e64 s16, 0x7f800000, v12
	v_mov_b32_e32 v12, 0x80
	s_and_saveexec_b32 s22, s16
	s_cbranch_execz .LBB2_2679
; %bb.2672:                             ;   in Loop: Header=BB2_2579 Depth=3
	v_mov_b32_e32 v12, 0
	s_mov_b32 s23, exec_lo
	v_cmpx_ne_u32_e32 0, v76
	s_cbranch_execz .LBB2_2678
; %bb.2673:                             ;   in Loop: Header=BB2_2579 Depth=3
	v_bfe_u32 v12, v76, 23, 8
	v_and_b32_e32 v77, 0x7fffff, v76
	v_sub_nc_u32_e32 v78, 0x70, v12
	v_cmp_gt_u32_e64 s16, 0x71, v12
	v_or_b32_e32 v79, 0x800000, v77
	v_cndmask_b32_e64 v78, 0, v78, s16
	v_cmp_eq_u32_e64 s16, 0, v12
	v_add_nc_u32_e32 v12, 0xffffff91, v12
	v_cndmask_b32_e64 v78, v78, 0x6f, s16
	v_cndmask_b32_e64 v77, v79, v77, s16
	;; [unrolled: 1-line block ×3, first 2 shown]
	v_lshl_add_u32 v79, 0x200000, v78, -1
	v_lshrrev_b32_e32 v88, v78, v77
	v_lshlrev_b32_e64 v90, v78, 0x100000
	v_add_nc_u32_e32 v78, v78, v12
	v_and_b32_e32 v77, v79, v77
	v_bfe_u32 v89, v88, 21, 1
	v_cmp_eq_u32_e64 s17, v77, v90
	v_add_nc_u32_e32 v79, -1, v89
	v_cndmask_b32_e64 v77, 0, v79, s17
	v_lshrrev_b32_e32 v79, 23, v88
	s_mov_b32 s17, exec_lo
	v_add_nc_u32_e32 v77, v77, v88
	v_xor_b32_e32 v79, 1, v79
	v_and_b32_e32 v12, 0x1fffff, v77
	v_add_nc_u32_e32 v77, v12, v88
                                        ; implicit-def: $vgpr12
	v_cmpx_ne_u32_e64 v78, v79
	s_xor_b32 s17, exec_lo, s17
; %bb.2674:                             ;   in Loop: Header=BB2_2579 Depth=3
	v_cmp_lt_u32_e64 s16, 0xffffff, v77
	v_sub_nc_u32_e32 v12, v78, v79
	v_cndmask_b32_e64 v78, 0, 1, s16
	v_add_co_ci_u32_e64 v12, null, 0, v12, s16
	v_lshrrev_b32_e32 v77, v78, v77
; %bb.2675:                             ;   in Loop: Header=BB2_2579 Depth=3
	s_andn2_saveexec_b32 s16, s17
; %bb.2676:                             ;   in Loop: Header=BB2_2579 Depth=3
	v_bfe_u32 v12, v77, 23, 1
; %bb.2677:                             ;   in Loop: Header=BB2_2579 Depth=3
	s_or_b32 exec_lo, exec_lo, s16
	v_lshrrev_b32_e32 v77, 21, v77
	v_min_i32_e32 v78, 31, v12
	v_cmp_gt_i32_e64 s16, 32, v12
	v_and_b32_sdwa v76, v76, v101 dst_sel:DWORD dst_unused:UNUSED_PAD src0_sel:BYTE_3 src1_sel:DWORD
	v_lshlrev_b32_e32 v78, 2, v78
	v_cndmask_b32_e64 v77, 3, v77, s16
	v_and_b32_e32 v78, 0xfc, v78
	v_and_b32_e32 v79, 3, v77
	v_or_b32_e32 v12, v12, v77
	v_or3_b32 v76, v78, v76, v79
	v_cmp_ne_u32_e64 s16, 0, v12
	v_cndmask_b32_e64 v12, 0, v76, s16
.LBB2_2678:                             ;   in Loop: Header=BB2_2579 Depth=3
	s_or_b32 exec_lo, exec_lo, s23
.LBB2_2679:                             ;   in Loop: Header=BB2_2579 Depth=3
	s_or_b32 exec_lo, exec_lo, s22
	v_cmp_gt_i16_sdwa s17, v13, v100 src0_sel:BYTE_1 src1_sel:DWORD
	s_mov_b32 s16, 0
	s_and_saveexec_b32 s22, s17
	s_xor_b32 s17, exec_lo, s22
	s_cbranch_execz .LBB2_2917
; %bb.2680:                             ;   in Loop: Header=BB2_2579 Depth=3
	v_cmp_eq_u16_sdwa s23, v13, v101 src0_sel:BYTE_1 src1_sel:DWORD
	s_mov_b32 s16, -1
	s_and_saveexec_b32 s22, s23
; %bb.2681:                             ;   in Loop: Header=BB2_2579 Depth=3
	s_xor_b32 s16, exec_lo, -1
; %bb.2682:                             ;   in Loop: Header=BB2_2579 Depth=3
	s_or_b32 exec_lo, exec_lo, s22
	s_and_b32 s16, s16, exec_lo
	s_or_saveexec_b32 s17, s17
	v_mov_b32_e32 v76, 0x7f800001
	s_xor_b32 exec_lo, exec_lo, s17
	s_cbranch_execnz .LBB2_2918
.LBB2_2683:                             ;   in Loop: Header=BB2_2579 Depth=3
	s_or_b32 exec_lo, exec_lo, s17
	s_and_saveexec_b32 s17, s16
	s_cbranch_execz .LBB2_2685
.LBB2_2684:                             ;   in Loop: Header=BB2_2579 Depth=3
	v_and_b32_sdwa v76, v102, v13 dst_sel:DWORD dst_unused:UNUSED_PAD src0_sel:DWORD src1_sel:BYTE_1
	v_and_b32_e32 v77, 3, v76
	v_bfe_u32 v88, v76, 2, 5
	v_ffbh_u32_e32 v78, v77
	v_cmp_eq_u32_e64 s16, 0, v88
	v_min_u32_e32 v78, 32, v78
	v_subrev_nc_u32_e32 v79, 29, v78
	v_sub_nc_u32_e32 v78, 30, v78
	v_lshlrev_b32_e32 v76, v79, v76
	v_lshlrev_b32_sdwa v79, v103, v13 dst_sel:DWORD dst_unused:UNUSED_PAD src0_sel:DWORD src1_sel:BYTE_1
	v_cndmask_b32_e64 v78, v88, v78, s16
	v_and_b32_e32 v76, 3, v76
	v_lshl_add_u32 v78, v78, 23, 0x37800000
	v_cndmask_b32_e64 v76, v77, v76, s16
	v_and_b32_e32 v77, 0x80000000, v79
	v_lshlrev_b32_e32 v76, 21, v76
	v_or3_b32 v76, v77, v78, v76
.LBB2_2685:                             ;   in Loop: Header=BB2_2579 Depth=3
	s_or_b32 exec_lo, exec_lo, s17
	v_cmp_gt_i16_sdwa s17, v9, v100 src0_sel:BYTE_1 src1_sel:DWORD
	s_mov_b32 s16, 0
	s_and_saveexec_b32 s22, s17
	s_xor_b32 s17, exec_lo, s22
	s_cbranch_execz .LBB2_2919
; %bb.2686:                             ;   in Loop: Header=BB2_2579 Depth=3
	v_cmp_eq_u16_sdwa s23, v9, v101 src0_sel:BYTE_1 src1_sel:DWORD
	s_mov_b32 s16, -1
	s_and_saveexec_b32 s22, s23
; %bb.2687:                             ;   in Loop: Header=BB2_2579 Depth=3
	s_xor_b32 s16, exec_lo, -1
; %bb.2688:                             ;   in Loop: Header=BB2_2579 Depth=3
	s_or_b32 exec_lo, exec_lo, s22
	s_and_b32 s16, s16, exec_lo
	s_or_saveexec_b32 s17, s17
	v_mov_b32_e32 v77, 0x7f800001
	s_xor_b32 exec_lo, exec_lo, s17
	s_cbranch_execnz .LBB2_2920
.LBB2_2689:                             ;   in Loop: Header=BB2_2579 Depth=3
	s_or_b32 exec_lo, exec_lo, s17
	s_and_saveexec_b32 s17, s16
	s_cbranch_execz .LBB2_2691
.LBB2_2690:                             ;   in Loop: Header=BB2_2579 Depth=3
	v_and_b32_sdwa v77, v102, v9 dst_sel:DWORD dst_unused:UNUSED_PAD src0_sel:DWORD src1_sel:BYTE_1
	v_and_b32_e32 v78, 3, v77
	v_bfe_u32 v89, v77, 2, 5
	v_ffbh_u32_e32 v79, v78
	v_cmp_eq_u32_e64 s16, 0, v89
	v_min_u32_e32 v79, 32, v79
	v_subrev_nc_u32_e32 v88, 29, v79
	v_sub_nc_u32_e32 v79, 30, v79
	v_lshlrev_b32_e32 v77, v88, v77
	v_lshlrev_b32_sdwa v88, v103, v9 dst_sel:DWORD dst_unused:UNUSED_PAD src0_sel:DWORD src1_sel:BYTE_1
	v_cndmask_b32_e64 v79, v89, v79, s16
	v_and_b32_e32 v77, 3, v77
	v_lshl_add_u32 v79, v79, 23, 0x37800000
	v_cndmask_b32_e64 v77, v78, v77, s16
	v_and_b32_e32 v78, 0x80000000, v88
	v_lshlrev_b32_e32 v77, 21, v77
	v_or3_b32 v77, v78, v79, v77
.LBB2_2691:                             ;   in Loop: Header=BB2_2579 Depth=3
	s_or_b32 exec_lo, exec_lo, s17
	v_mul_f32_e32 v77, v76, v77
	v_and_b32_e32 v76, 0x7f800000, v77
	v_cmp_ne_u32_e64 s16, 0x7f800000, v76
	v_mov_b32_e32 v76, 0x8000
	s_and_saveexec_b32 s22, s16
	s_cbranch_execz .LBB2_2699
; %bb.2692:                             ;   in Loop: Header=BB2_2579 Depth=3
	v_mov_b32_e32 v76, 0
	s_mov_b32 s23, exec_lo
	v_cmpx_ne_u32_e32 0, v77
	s_cbranch_execz .LBB2_2698
; %bb.2693:                             ;   in Loop: Header=BB2_2579 Depth=3
	v_bfe_u32 v76, v77, 23, 8
	v_and_b32_e32 v78, 0x7fffff, v77
	v_sub_nc_u32_e32 v79, 0x70, v76
	v_cmp_gt_u32_e64 s16, 0x71, v76
	v_or_b32_e32 v88, 0x800000, v78
	v_cndmask_b32_e64 v79, 0, v79, s16
	v_cmp_eq_u32_e64 s16, 0, v76
	v_add_nc_u32_e32 v76, 0xffffff91, v76
	v_cndmask_b32_e64 v79, v79, 0x6f, s16
	v_cndmask_b32_e64 v78, v88, v78, s16
	;; [unrolled: 1-line block ×3, first 2 shown]
	v_lshl_add_u32 v88, 0x200000, v79, -1
	v_lshrrev_b32_e32 v89, v79, v78
	v_lshlrev_b32_e64 v91, v79, 0x100000
	v_add_nc_u32_e32 v79, v79, v76
	v_and_b32_e32 v78, v88, v78
	v_bfe_u32 v90, v89, 21, 1
	v_cmp_eq_u32_e64 s17, v78, v91
	v_add_nc_u32_e32 v88, -1, v90
	v_cndmask_b32_e64 v78, 0, v88, s17
	v_lshrrev_b32_e32 v88, 23, v89
	s_mov_b32 s17, exec_lo
	v_add_nc_u32_e32 v78, v78, v89
	v_xor_b32_e32 v88, 1, v88
	v_and_b32_e32 v76, 0x1fffff, v78
	v_add_nc_u32_e32 v78, v76, v89
                                        ; implicit-def: $vgpr76
	v_cmpx_ne_u32_e64 v79, v88
	s_xor_b32 s17, exec_lo, s17
; %bb.2694:                             ;   in Loop: Header=BB2_2579 Depth=3
	v_cmp_lt_u32_e64 s16, 0xffffff, v78
	v_sub_nc_u32_e32 v76, v79, v88
	v_cndmask_b32_e64 v79, 0, 1, s16
	v_add_co_ci_u32_e64 v76, null, 0, v76, s16
	v_lshrrev_b32_e32 v78, v79, v78
; %bb.2695:                             ;   in Loop: Header=BB2_2579 Depth=3
	s_andn2_saveexec_b32 s16, s17
; %bb.2696:                             ;   in Loop: Header=BB2_2579 Depth=3
	v_bfe_u32 v76, v78, 23, 1
; %bb.2697:                             ;   in Loop: Header=BB2_2579 Depth=3
	s_or_b32 exec_lo, exec_lo, s16
	v_lshrrev_b32_e32 v78, 21, v78
	v_min_i32_e32 v79, 31, v76
	v_cmp_gt_i32_e64 s16, 32, v76
	v_and_b32_sdwa v77, v77, v101 dst_sel:DWORD dst_unused:UNUSED_PAD src0_sel:BYTE_3 src1_sel:DWORD
	v_lshlrev_b32_e32 v79, 2, v79
	v_cndmask_b32_e64 v78, 3, v78, s16
	v_and_b32_e32 v79, 0xfc, v79
	v_and_b32_e32 v88, 3, v78
	v_or_b32_e32 v76, v76, v78
	v_or3_b32 v77, v77, v79, v88
	v_cmp_ne_u32_e64 s16, 0, v76
	v_lshlrev_b32_e32 v77, 8, v77
	v_cndmask_b32_e64 v76, 0, v77, s16
.LBB2_2698:                             ;   in Loop: Header=BB2_2579 Depth=3
	s_or_b32 exec_lo, exec_lo, s23
.LBB2_2699:                             ;   in Loop: Header=BB2_2579 Depth=3
	s_or_b32 exec_lo, exec_lo, s22
	v_and_b32_sdwa v78, v13, v112 dst_sel:DWORD dst_unused:UNUSED_PAD src0_sel:WORD_1 src1_sel:DWORD
	s_mov_b32 s17, 0
	s_mov_b32 s22, exec_lo
	v_cmpx_lt_i16_e32 0x7f, v78
	s_xor_b32 s22, exec_lo, s22
	s_cbranch_execz .LBB2_2921
; %bb.2700:                             ;   in Loop: Header=BB2_2579 Depth=3
	s_mov_b32 s17, -1
	s_mov_b32 s23, exec_lo
	v_cmpx_eq_u16_e32 0x80, v78
; %bb.2701:                             ;   in Loop: Header=BB2_2579 Depth=3
	s_xor_b32 s17, exec_lo, -1
; %bb.2702:                             ;   in Loop: Header=BB2_2579 Depth=3
	s_or_b32 exec_lo, exec_lo, s23
	s_and_b32 s17, s17, exec_lo
                                        ; implicit-def: $vgpr78
	s_or_saveexec_b32 s22, s22
	v_mov_b32_e32 v77, 0x7f800001
	s_xor_b32 exec_lo, exec_lo, s22
	s_cbranch_execnz .LBB2_2922
.LBB2_2703:                             ;   in Loop: Header=BB2_2579 Depth=3
	s_or_b32 exec_lo, exec_lo, s22
	s_and_saveexec_b32 s22, s17
	s_cbranch_execz .LBB2_2705
.LBB2_2704:                             ;   in Loop: Header=BB2_2579 Depth=3
	v_bfe_u32 v77, v13, 16, 2
	v_bfe_u32 v88, v13, 18, 5
	v_lshlrev_b32_e32 v89, 8, v13
	v_ffbh_u32_e32 v78, v77
	v_cmp_eq_u32_e64 s16, 0, v88
	v_min_u32_e32 v78, 32, v78
	v_subrev_nc_u32_e32 v79, 29, v78
	v_sub_nc_u32_e32 v78, 30, v78
	v_lshlrev_b32_sdwa v79, v79, v13 dst_sel:DWORD dst_unused:UNUSED_PAD src0_sel:DWORD src1_sel:WORD_1
	v_cndmask_b32_e64 v78, v88, v78, s16
	v_and_b32_e32 v79, 3, v79
	v_lshl_add_u32 v78, v78, 23, 0x37800000
	v_cndmask_b32_e64 v77, v77, v79, s16
	v_and_b32_e32 v79, 0x80000000, v89
	v_lshlrev_b32_e32 v77, 21, v77
	v_or3_b32 v77, v79, v78, v77
.LBB2_2705:                             ;   in Loop: Header=BB2_2579 Depth=3
	s_or_b32 exec_lo, exec_lo, s22
	v_and_b32_sdwa v79, v9, v112 dst_sel:DWORD dst_unused:UNUSED_PAD src0_sel:WORD_1 src1_sel:DWORD
	s_mov_b32 s17, 0
	s_mov_b32 s22, exec_lo
	v_cmpx_lt_i16_e32 0x7f, v79
	s_xor_b32 s22, exec_lo, s22
	s_cbranch_execz .LBB2_2923
; %bb.2706:                             ;   in Loop: Header=BB2_2579 Depth=3
	s_mov_b32 s17, -1
	s_mov_b32 s23, exec_lo
	v_cmpx_eq_u16_e32 0x80, v79
; %bb.2707:                             ;   in Loop: Header=BB2_2579 Depth=3
	s_xor_b32 s17, exec_lo, -1
; %bb.2708:                             ;   in Loop: Header=BB2_2579 Depth=3
	s_or_b32 exec_lo, exec_lo, s23
	s_and_b32 s17, s17, exec_lo
                                        ; implicit-def: $vgpr79
	s_or_saveexec_b32 s22, s22
	v_mov_b32_e32 v78, 0x7f800001
	s_xor_b32 exec_lo, exec_lo, s22
	s_cbranch_execnz .LBB2_2924
.LBB2_2709:                             ;   in Loop: Header=BB2_2579 Depth=3
	s_or_b32 exec_lo, exec_lo, s22
	s_and_saveexec_b32 s22, s17
	s_cbranch_execz .LBB2_2711
.LBB2_2710:                             ;   in Loop: Header=BB2_2579 Depth=3
	v_and_b32_sdwa v78, v9, v113 dst_sel:DWORD dst_unused:UNUSED_PAD src0_sel:WORD_1 src1_sel:DWORD
	v_bfe_u32 v89, v9, 18, 5
	v_lshlrev_b32_sdwa v90, v103, v9 dst_sel:DWORD dst_unused:UNUSED_PAD src0_sel:DWORD src1_sel:WORD_1
	v_ffbh_u32_e32 v79, v78
	v_cmp_eq_u32_e64 s16, 0, v89
	v_min_u32_e32 v79, 32, v79
	v_subrev_nc_u32_e32 v88, 29, v79
	v_sub_nc_u32_e32 v79, 30, v79
	v_lshlrev_b32_sdwa v88, v88, v9 dst_sel:DWORD dst_unused:UNUSED_PAD src0_sel:DWORD src1_sel:WORD_1
	v_cndmask_b32_e64 v79, v89, v79, s16
	v_and_b32_e32 v88, 3, v88
	v_lshl_add_u32 v79, v79, 23, 0x37800000
	v_cndmask_b32_e64 v78, v78, v88, s16
	v_and_b32_e32 v88, 0x80000000, v90
	v_lshlrev_b32_e32 v78, 21, v78
	v_or3_b32 v78, v88, v79, v78
.LBB2_2711:                             ;   in Loop: Header=BB2_2579 Depth=3
	s_or_b32 exec_lo, exec_lo, s22
	v_mul_f32_e32 v78, v77, v78
	v_and_b32_e32 v77, 0x7f800000, v78
	v_cmp_ne_u32_e64 s16, 0x7f800000, v77
	v_mov_b32_e32 v77, 0x80
	s_and_saveexec_b32 s22, s16
	s_cbranch_execz .LBB2_2719
; %bb.2712:                             ;   in Loop: Header=BB2_2579 Depth=3
	v_mov_b32_e32 v77, 0
	s_mov_b32 s23, exec_lo
	v_cmpx_ne_u32_e32 0, v78
	s_cbranch_execz .LBB2_2718
; %bb.2713:                             ;   in Loop: Header=BB2_2579 Depth=3
	v_bfe_u32 v77, v78, 23, 8
	v_and_b32_e32 v79, 0x7fffff, v78
	v_sub_nc_u32_e32 v88, 0x70, v77
	v_cmp_gt_u32_e64 s16, 0x71, v77
	v_or_b32_e32 v89, 0x800000, v79
	v_cndmask_b32_e64 v88, 0, v88, s16
	v_cmp_eq_u32_e64 s16, 0, v77
	v_add_nc_u32_e32 v77, 0xffffff91, v77
	v_cndmask_b32_e64 v88, v88, 0x6f, s16
	v_cndmask_b32_e64 v79, v89, v79, s16
	;; [unrolled: 1-line block ×3, first 2 shown]
	v_lshl_add_u32 v89, 0x200000, v88, -1
	v_lshrrev_b32_e32 v90, v88, v79
	v_lshlrev_b32_e64 v92, v88, 0x100000
	v_add_nc_u32_e32 v88, v88, v77
	v_and_b32_e32 v79, v89, v79
	v_bfe_u32 v91, v90, 21, 1
	v_cmp_eq_u32_e64 s17, v79, v92
	v_add_nc_u32_e32 v89, -1, v91
	v_cndmask_b32_e64 v79, 0, v89, s17
	v_lshrrev_b32_e32 v89, 23, v90
	s_mov_b32 s17, exec_lo
	v_add_nc_u32_e32 v79, v79, v90
	v_xor_b32_e32 v89, 1, v89
	v_and_b32_e32 v77, 0x1fffff, v79
	v_add_nc_u32_e32 v79, v77, v90
                                        ; implicit-def: $vgpr77
	v_cmpx_ne_u32_e64 v88, v89
	s_xor_b32 s17, exec_lo, s17
; %bb.2714:                             ;   in Loop: Header=BB2_2579 Depth=3
	v_cmp_lt_u32_e64 s16, 0xffffff, v79
	v_sub_nc_u32_e32 v77, v88, v89
	v_cndmask_b32_e64 v88, 0, 1, s16
	v_add_co_ci_u32_e64 v77, null, 0, v77, s16
	v_lshrrev_b32_e32 v79, v88, v79
; %bb.2715:                             ;   in Loop: Header=BB2_2579 Depth=3
	s_andn2_saveexec_b32 s16, s17
; %bb.2716:                             ;   in Loop: Header=BB2_2579 Depth=3
	v_bfe_u32 v77, v79, 23, 1
; %bb.2717:                             ;   in Loop: Header=BB2_2579 Depth=3
	s_or_b32 exec_lo, exec_lo, s16
	v_lshrrev_b32_e32 v79, 21, v79
	v_min_i32_e32 v88, 31, v77
	v_cmp_gt_i32_e64 s16, 32, v77
	v_and_b32_sdwa v78, v78, v101 dst_sel:DWORD dst_unused:UNUSED_PAD src0_sel:BYTE_3 src1_sel:DWORD
	v_lshlrev_b32_e32 v88, 2, v88
	v_cndmask_b32_e64 v79, 3, v79, s16
	v_and_b32_e32 v88, 0xfc, v88
	v_and_b32_e32 v89, 3, v79
	v_or_b32_e32 v77, v77, v79
	v_or3_b32 v78, v88, v78, v89
	v_cmp_ne_u32_e64 s16, 0, v77
	v_cndmask_b32_e64 v77, 0, v78, s16
.LBB2_2718:                             ;   in Loop: Header=BB2_2579 Depth=3
	s_or_b32 exec_lo, exec_lo, s23
.LBB2_2719:                             ;   in Loop: Header=BB2_2579 Depth=3
	s_or_b32 exec_lo, exec_lo, s22
	v_cmp_gt_i16_sdwa s17, v13, v100 src0_sel:BYTE_3 src1_sel:DWORD
	s_mov_b32 s16, 0
	s_and_saveexec_b32 s22, s17
	s_xor_b32 s17, exec_lo, s22
	s_cbranch_execz .LBB2_2925
; %bb.2720:                             ;   in Loop: Header=BB2_2579 Depth=3
	v_cmp_eq_u16_sdwa s23, v13, v101 src0_sel:BYTE_3 src1_sel:DWORD
	s_mov_b32 s16, -1
	s_and_saveexec_b32 s22, s23
; %bb.2721:                             ;   in Loop: Header=BB2_2579 Depth=3
	s_xor_b32 s16, exec_lo, -1
; %bb.2722:                             ;   in Loop: Header=BB2_2579 Depth=3
	s_or_b32 exec_lo, exec_lo, s22
	s_and_b32 s16, s16, exec_lo
	s_or_saveexec_b32 s17, s17
	v_mov_b32_e32 v78, 0x7f800001
	s_xor_b32 exec_lo, exec_lo, s17
	s_cbranch_execnz .LBB2_2926
.LBB2_2723:                             ;   in Loop: Header=BB2_2579 Depth=3
	s_or_b32 exec_lo, exec_lo, s17
	s_and_saveexec_b32 s17, s16
	s_cbranch_execz .LBB2_2725
.LBB2_2724:                             ;   in Loop: Header=BB2_2579 Depth=3
	v_bfe_u32 v78, v13, 24, 2
	v_bfe_u32 v89, v13, 26, 5
	v_ffbh_u32_e32 v79, v78
	v_cmp_eq_u32_e64 s16, 0, v89
	v_min_u32_e32 v79, 32, v79
	v_subrev_nc_u32_e32 v88, 29, v79
	v_sub_nc_u32_e32 v79, 30, v79
	v_lshlrev_b32_sdwa v88, v88, v13 dst_sel:DWORD dst_unused:UNUSED_PAD src0_sel:DWORD src1_sel:BYTE_3
	v_cndmask_b32_e64 v79, v89, v79, s16
	v_and_b32_e32 v13, 0x80000000, v13
	v_and_b32_e32 v88, 3, v88
	v_lshl_add_u32 v79, v79, 23, 0x37800000
	v_cndmask_b32_e64 v78, v78, v88, s16
	v_lshlrev_b32_e32 v78, 21, v78
	v_or3_b32 v78, v13, v79, v78
.LBB2_2725:                             ;   in Loop: Header=BB2_2579 Depth=3
	s_or_b32 exec_lo, exec_lo, s17
	v_cmp_gt_i16_sdwa s17, v9, v100 src0_sel:BYTE_3 src1_sel:DWORD
	s_mov_b32 s16, 0
	s_and_saveexec_b32 s22, s17
	s_xor_b32 s17, exec_lo, s22
	s_cbranch_execz .LBB2_2927
; %bb.2726:                             ;   in Loop: Header=BB2_2579 Depth=3
	v_cmp_eq_u16_sdwa s23, v9, v101 src0_sel:BYTE_3 src1_sel:DWORD
	s_mov_b32 s16, -1
	s_and_saveexec_b32 s22, s23
; %bb.2727:                             ;   in Loop: Header=BB2_2579 Depth=3
	s_xor_b32 s16, exec_lo, -1
; %bb.2728:                             ;   in Loop: Header=BB2_2579 Depth=3
	s_or_b32 exec_lo, exec_lo, s22
	s_and_b32 s16, s16, exec_lo
	s_or_saveexec_b32 s17, s17
	v_mov_b32_e32 v13, 0x7f800001
	s_xor_b32 exec_lo, exec_lo, s17
	s_cbranch_execnz .LBB2_2928
.LBB2_2729:                             ;   in Loop: Header=BB2_2579 Depth=3
	s_or_b32 exec_lo, exec_lo, s17
	s_and_saveexec_b32 s17, s16
	s_cbranch_execz .LBB2_2731
.LBB2_2730:                             ;   in Loop: Header=BB2_2579 Depth=3
	v_and_b32_sdwa v13, v9, v113 dst_sel:DWORD dst_unused:UNUSED_PAD src0_sel:BYTE_3 src1_sel:DWORD
	v_bfe_u32 v89, v9, 26, 5
	v_ffbh_u32_e32 v79, v13
	v_cmp_eq_u32_e64 s16, 0, v89
	v_min_u32_e32 v79, 32, v79
	v_subrev_nc_u32_e32 v88, 29, v79
	v_sub_nc_u32_e32 v79, 30, v79
	v_lshlrev_b32_sdwa v88, v88, v9 dst_sel:DWORD dst_unused:UNUSED_PAD src0_sel:DWORD src1_sel:BYTE_3
	v_cndmask_b32_e64 v79, v89, v79, s16
	v_and_b32_e32 v9, 0x80000000, v9
	v_and_b32_e32 v88, 3, v88
	v_lshl_add_u32 v79, v79, 23, 0x37800000
	v_cndmask_b32_e64 v13, v13, v88, s16
	v_lshlrev_b32_e32 v13, 21, v13
	v_or3_b32 v13, v9, v79, v13
.LBB2_2731:                             ;   in Loop: Header=BB2_2579 Depth=3
	s_or_b32 exec_lo, exec_lo, s17
	v_mul_f32_e32 v13, v78, v13
	v_and_b32_e32 v9, 0x7f800000, v13
	v_cmp_ne_u32_e64 s16, 0x7f800000, v9
	v_mov_b32_e32 v9, 0x8000
	s_and_saveexec_b32 s22, s16
	s_cbranch_execz .LBB2_2739
; %bb.2732:                             ;   in Loop: Header=BB2_2579 Depth=3
	v_mov_b32_e32 v9, 0
	s_mov_b32 s23, exec_lo
	v_cmpx_ne_u32_e32 0, v13
	s_cbranch_execz .LBB2_2738
; %bb.2733:                             ;   in Loop: Header=BB2_2579 Depth=3
	v_bfe_u32 v9, v13, 23, 8
	v_and_b32_e32 v78, 0x7fffff, v13
	v_sub_nc_u32_e32 v79, 0x70, v9
	v_cmp_gt_u32_e64 s16, 0x71, v9
	v_or_b32_e32 v88, 0x800000, v78
	v_cndmask_b32_e64 v79, 0, v79, s16
	v_cmp_eq_u32_e64 s16, 0, v9
	v_add_nc_u32_e32 v9, 0xffffff91, v9
	v_cndmask_b32_e64 v79, v79, 0x6f, s16
	v_cndmask_b32_e64 v78, v88, v78, s16
	;; [unrolled: 1-line block ×3, first 2 shown]
	v_lshl_add_u32 v88, 0x200000, v79, -1
	v_lshrrev_b32_e32 v89, v79, v78
	v_lshlrev_b32_e64 v91, v79, 0x100000
	v_add_nc_u32_e32 v79, v79, v9
	v_and_b32_e32 v78, v88, v78
	v_bfe_u32 v90, v89, 21, 1
	v_cmp_eq_u32_e64 s17, v78, v91
	v_add_nc_u32_e32 v88, -1, v90
	v_cndmask_b32_e64 v78, 0, v88, s17
	v_lshrrev_b32_e32 v88, 23, v89
	s_mov_b32 s17, exec_lo
	v_add_nc_u32_e32 v78, v78, v89
	v_xor_b32_e32 v88, 1, v88
	v_and_b32_e32 v9, 0x1fffff, v78
	v_add_nc_u32_e32 v78, v9, v89
                                        ; implicit-def: $vgpr9
	v_cmpx_ne_u32_e64 v79, v88
	s_xor_b32 s17, exec_lo, s17
; %bb.2734:                             ;   in Loop: Header=BB2_2579 Depth=3
	v_cmp_lt_u32_e64 s16, 0xffffff, v78
	v_sub_nc_u32_e32 v9, v79, v88
	v_cndmask_b32_e64 v79, 0, 1, s16
	v_add_co_ci_u32_e64 v9, null, 0, v9, s16
	v_lshrrev_b32_e32 v78, v79, v78
; %bb.2735:                             ;   in Loop: Header=BB2_2579 Depth=3
	s_andn2_saveexec_b32 s16, s17
; %bb.2736:                             ;   in Loop: Header=BB2_2579 Depth=3
	v_bfe_u32 v9, v78, 23, 1
; %bb.2737:                             ;   in Loop: Header=BB2_2579 Depth=3
	s_or_b32 exec_lo, exec_lo, s16
	v_lshrrev_b32_e32 v78, 21, v78
	v_min_i32_e32 v79, 31, v9
	v_cmp_gt_i32_e64 s16, 32, v9
	v_and_b32_sdwa v13, v13, v101 dst_sel:DWORD dst_unused:UNUSED_PAD src0_sel:BYTE_3 src1_sel:DWORD
	v_lshlrev_b32_e32 v79, 2, v79
	v_cndmask_b32_e64 v78, 3, v78, s16
	v_and_b32_e32 v79, 0xfc, v79
	v_and_b32_e32 v88, 3, v78
	v_or_b32_e32 v9, v9, v78
	v_or3_b32 v13, v13, v79, v88
	v_cmp_ne_u32_e64 s16, 0, v9
	v_lshlrev_b32_e32 v13, 8, v13
	v_cndmask_b32_e64 v9, 0, v13, s16
.LBB2_2738:                             ;   in Loop: Header=BB2_2579 Depth=3
	s_or_b32 exec_lo, exec_lo, s23
.LBB2_2739:                             ;   in Loop: Header=BB2_2579 Depth=3
	s_or_b32 exec_lo, exec_lo, s22
	v_cmp_gt_i16_sdwa s17, v14, v100 src0_sel:BYTE_0 src1_sel:DWORD
	s_mov_b32 s16, 0
	s_and_saveexec_b32 s22, s17
	s_xor_b32 s17, exec_lo, s22
	s_cbranch_execz .LBB2_2929
; %bb.2740:                             ;   in Loop: Header=BB2_2579 Depth=3
	v_cmp_eq_u16_sdwa s23, v14, v101 src0_sel:BYTE_0 src1_sel:DWORD
	s_mov_b32 s16, -1
	s_and_saveexec_b32 s22, s23
; %bb.2741:                             ;   in Loop: Header=BB2_2579 Depth=3
	s_xor_b32 s16, exec_lo, -1
; %bb.2742:                             ;   in Loop: Header=BB2_2579 Depth=3
	s_or_b32 exec_lo, exec_lo, s22
	s_and_b32 s16, s16, exec_lo
	s_or_saveexec_b32 s17, s17
	v_mov_b32_e32 v13, 0x7f800001
	s_xor_b32 exec_lo, exec_lo, s17
	s_cbranch_execnz .LBB2_2930
.LBB2_2743:                             ;   in Loop: Header=BB2_2579 Depth=3
	s_or_b32 exec_lo, exec_lo, s17
	s_and_saveexec_b32 s17, s16
	s_cbranch_execz .LBB2_2745
.LBB2_2744:                             ;   in Loop: Header=BB2_2579 Depth=3
	v_and_b32_e32 v13, 3, v14
	v_bfe_u32 v88, v14, 2, 5
	v_lshlrev_b32_e32 v89, 24, v14
	v_ffbh_u32_e32 v78, v13
	v_cmp_eq_u32_e64 s16, 0, v88
	v_min_u32_e32 v78, 32, v78
	v_subrev_nc_u32_e32 v79, 29, v78
	v_sub_nc_u32_e32 v78, 30, v78
	v_lshlrev_b32_e32 v79, v79, v14
	v_cndmask_b32_e64 v78, v88, v78, s16
	v_and_b32_e32 v79, 3, v79
	v_lshl_add_u32 v78, v78, 23, 0x37800000
	v_cndmask_b32_e64 v13, v13, v79, s16
	v_and_b32_e32 v79, 0x80000000, v89
	v_lshlrev_b32_e32 v13, 21, v13
	v_or3_b32 v13, v79, v78, v13
.LBB2_2745:                             ;   in Loop: Header=BB2_2579 Depth=3
	s_or_b32 exec_lo, exec_lo, s17
	v_cmp_gt_i16_sdwa s17, v10, v100 src0_sel:BYTE_0 src1_sel:DWORD
	s_mov_b32 s16, 0
	s_and_saveexec_b32 s22, s17
	s_xor_b32 s17, exec_lo, s22
	s_cbranch_execz .LBB2_2931
; %bb.2746:                             ;   in Loop: Header=BB2_2579 Depth=3
	v_cmp_eq_u16_sdwa s23, v10, v101 src0_sel:BYTE_0 src1_sel:DWORD
	s_mov_b32 s16, -1
	s_and_saveexec_b32 s22, s23
; %bb.2747:                             ;   in Loop: Header=BB2_2579 Depth=3
	s_xor_b32 s16, exec_lo, -1
; %bb.2748:                             ;   in Loop: Header=BB2_2579 Depth=3
	s_or_b32 exec_lo, exec_lo, s22
	s_and_b32 s16, s16, exec_lo
	s_or_saveexec_b32 s17, s17
	v_mov_b32_e32 v78, 0x7f800001
	s_xor_b32 exec_lo, exec_lo, s17
	s_cbranch_execnz .LBB2_2932
.LBB2_2749:                             ;   in Loop: Header=BB2_2579 Depth=3
	s_or_b32 exec_lo, exec_lo, s17
	s_and_saveexec_b32 s17, s16
	s_cbranch_execz .LBB2_2751
.LBB2_2750:                             ;   in Loop: Header=BB2_2579 Depth=3
	v_and_b32_e32 v78, 3, v10
	v_bfe_u32 v89, v10, 2, 5
	v_lshlrev_b32_e32 v90, 24, v10
	v_ffbh_u32_e32 v79, v78
	v_cmp_eq_u32_e64 s16, 0, v89
	v_min_u32_e32 v79, 32, v79
	v_subrev_nc_u32_e32 v88, 29, v79
	v_sub_nc_u32_e32 v79, 30, v79
	v_lshlrev_b32_e32 v88, v88, v10
	v_cndmask_b32_e64 v79, v89, v79, s16
	v_and_b32_e32 v88, 3, v88
	v_lshl_add_u32 v79, v79, 23, 0x37800000
	v_cndmask_b32_e64 v78, v78, v88, s16
	v_and_b32_e32 v88, 0x80000000, v90
	v_lshlrev_b32_e32 v78, 21, v78
	v_or3_b32 v78, v88, v79, v78
.LBB2_2751:                             ;   in Loop: Header=BB2_2579 Depth=3
	s_or_b32 exec_lo, exec_lo, s17
	v_mul_f32_e32 v78, v13, v78
	v_and_b32_e32 v13, 0x7f800000, v78
	v_cmp_ne_u32_e64 s16, 0x7f800000, v13
	v_mov_b32_e32 v13, 0x80
	s_and_saveexec_b32 s22, s16
	s_cbranch_execz .LBB2_2759
; %bb.2752:                             ;   in Loop: Header=BB2_2579 Depth=3
	v_mov_b32_e32 v13, 0
	s_mov_b32 s23, exec_lo
	v_cmpx_ne_u32_e32 0, v78
	s_cbranch_execz .LBB2_2758
; %bb.2753:                             ;   in Loop: Header=BB2_2579 Depth=3
	v_bfe_u32 v13, v78, 23, 8
	v_and_b32_e32 v79, 0x7fffff, v78
	v_sub_nc_u32_e32 v88, 0x70, v13
	v_cmp_gt_u32_e64 s16, 0x71, v13
	v_or_b32_e32 v89, 0x800000, v79
	v_cndmask_b32_e64 v88, 0, v88, s16
	v_cmp_eq_u32_e64 s16, 0, v13
	v_add_nc_u32_e32 v13, 0xffffff91, v13
	v_cndmask_b32_e64 v88, v88, 0x6f, s16
	v_cndmask_b32_e64 v79, v89, v79, s16
	v_cndmask_b32_e64 v13, v13, 0xffffff92, s16
	v_lshl_add_u32 v89, 0x200000, v88, -1
	v_lshrrev_b32_e32 v90, v88, v79
	v_lshlrev_b32_e64 v92, v88, 0x100000
	v_add_nc_u32_e32 v88, v88, v13
	v_and_b32_e32 v79, v89, v79
	v_bfe_u32 v91, v90, 21, 1
	v_cmp_eq_u32_e64 s17, v79, v92
	v_add_nc_u32_e32 v89, -1, v91
	v_cndmask_b32_e64 v79, 0, v89, s17
	v_lshrrev_b32_e32 v89, 23, v90
	s_mov_b32 s17, exec_lo
	v_add_nc_u32_e32 v79, v79, v90
	v_xor_b32_e32 v89, 1, v89
	v_and_b32_e32 v13, 0x1fffff, v79
	v_add_nc_u32_e32 v79, v13, v90
                                        ; implicit-def: $vgpr13
	v_cmpx_ne_u32_e64 v88, v89
	s_xor_b32 s17, exec_lo, s17
; %bb.2754:                             ;   in Loop: Header=BB2_2579 Depth=3
	v_cmp_lt_u32_e64 s16, 0xffffff, v79
	v_sub_nc_u32_e32 v13, v88, v89
	v_cndmask_b32_e64 v88, 0, 1, s16
	v_add_co_ci_u32_e64 v13, null, 0, v13, s16
	v_lshrrev_b32_e32 v79, v88, v79
; %bb.2755:                             ;   in Loop: Header=BB2_2579 Depth=3
	s_andn2_saveexec_b32 s16, s17
; %bb.2756:                             ;   in Loop: Header=BB2_2579 Depth=3
	v_bfe_u32 v13, v79, 23, 1
; %bb.2757:                             ;   in Loop: Header=BB2_2579 Depth=3
	s_or_b32 exec_lo, exec_lo, s16
	v_lshrrev_b32_e32 v79, 21, v79
	v_min_i32_e32 v88, 31, v13
	v_cmp_gt_i32_e64 s16, 32, v13
	v_and_b32_sdwa v78, v78, v101 dst_sel:DWORD dst_unused:UNUSED_PAD src0_sel:BYTE_3 src1_sel:DWORD
	v_lshlrev_b32_e32 v88, 2, v88
	v_cndmask_b32_e64 v79, 3, v79, s16
	v_and_b32_e32 v88, 0xfc, v88
	v_and_b32_e32 v89, 3, v79
	v_or_b32_e32 v13, v13, v79
	v_or3_b32 v78, v88, v78, v89
	v_cmp_ne_u32_e64 s16, 0, v13
	v_cndmask_b32_e64 v13, 0, v78, s16
.LBB2_2758:                             ;   in Loop: Header=BB2_2579 Depth=3
	s_or_b32 exec_lo, exec_lo, s23
.LBB2_2759:                             ;   in Loop: Header=BB2_2579 Depth=3
	s_or_b32 exec_lo, exec_lo, s22
	v_cmp_gt_i16_sdwa s17, v14, v100 src0_sel:BYTE_1 src1_sel:DWORD
	s_mov_b32 s16, 0
	s_and_saveexec_b32 s22, s17
	s_xor_b32 s17, exec_lo, s22
	s_cbranch_execz .LBB2_2933
; %bb.2760:                             ;   in Loop: Header=BB2_2579 Depth=3
	v_cmp_eq_u16_sdwa s23, v14, v101 src0_sel:BYTE_1 src1_sel:DWORD
	s_mov_b32 s16, -1
	s_and_saveexec_b32 s22, s23
; %bb.2761:                             ;   in Loop: Header=BB2_2579 Depth=3
	s_xor_b32 s16, exec_lo, -1
; %bb.2762:                             ;   in Loop: Header=BB2_2579 Depth=3
	s_or_b32 exec_lo, exec_lo, s22
	s_and_b32 s16, s16, exec_lo
	s_or_saveexec_b32 s17, s17
	v_mov_b32_e32 v78, 0x7f800001
	s_xor_b32 exec_lo, exec_lo, s17
	s_cbranch_execnz .LBB2_2934
.LBB2_2763:                             ;   in Loop: Header=BB2_2579 Depth=3
	s_or_b32 exec_lo, exec_lo, s17
	s_and_saveexec_b32 s17, s16
	s_cbranch_execz .LBB2_2765
.LBB2_2764:                             ;   in Loop: Header=BB2_2579 Depth=3
	v_and_b32_sdwa v78, v102, v14 dst_sel:DWORD dst_unused:UNUSED_PAD src0_sel:DWORD src1_sel:BYTE_1
	v_and_b32_e32 v79, 3, v78
	v_bfe_u32 v90, v78, 2, 5
	v_ffbh_u32_e32 v88, v79
	v_cmp_eq_u32_e64 s16, 0, v90
	v_min_u32_e32 v88, 32, v88
	v_subrev_nc_u32_e32 v89, 29, v88
	v_sub_nc_u32_e32 v88, 30, v88
	v_lshlrev_b32_e32 v78, v89, v78
	v_lshlrev_b32_sdwa v89, v103, v14 dst_sel:DWORD dst_unused:UNUSED_PAD src0_sel:DWORD src1_sel:BYTE_1
	v_cndmask_b32_e64 v88, v90, v88, s16
	v_and_b32_e32 v78, 3, v78
	v_lshl_add_u32 v88, v88, 23, 0x37800000
	v_cndmask_b32_e64 v78, v79, v78, s16
	v_and_b32_e32 v79, 0x80000000, v89
	v_lshlrev_b32_e32 v78, 21, v78
	v_or3_b32 v78, v79, v88, v78
.LBB2_2765:                             ;   in Loop: Header=BB2_2579 Depth=3
	s_or_b32 exec_lo, exec_lo, s17
	v_cmp_gt_i16_sdwa s17, v10, v100 src0_sel:BYTE_1 src1_sel:DWORD
	s_mov_b32 s16, 0
	s_and_saveexec_b32 s22, s17
	s_xor_b32 s17, exec_lo, s22
	s_cbranch_execz .LBB2_2935
; %bb.2766:                             ;   in Loop: Header=BB2_2579 Depth=3
	v_cmp_eq_u16_sdwa s23, v10, v101 src0_sel:BYTE_1 src1_sel:DWORD
	s_mov_b32 s16, -1
	s_and_saveexec_b32 s22, s23
; %bb.2767:                             ;   in Loop: Header=BB2_2579 Depth=3
	s_xor_b32 s16, exec_lo, -1
; %bb.2768:                             ;   in Loop: Header=BB2_2579 Depth=3
	s_or_b32 exec_lo, exec_lo, s22
	s_and_b32 s16, s16, exec_lo
	s_or_saveexec_b32 s17, s17
	v_mov_b32_e32 v79, 0x7f800001
	s_xor_b32 exec_lo, exec_lo, s17
	s_cbranch_execnz .LBB2_2936
.LBB2_2769:                             ;   in Loop: Header=BB2_2579 Depth=3
	s_or_b32 exec_lo, exec_lo, s17
	s_and_saveexec_b32 s17, s16
	s_cbranch_execz .LBB2_2771
.LBB2_2770:                             ;   in Loop: Header=BB2_2579 Depth=3
	v_and_b32_sdwa v79, v102, v10 dst_sel:DWORD dst_unused:UNUSED_PAD src0_sel:DWORD src1_sel:BYTE_1
	v_and_b32_e32 v88, 3, v79
	v_bfe_u32 v91, v79, 2, 5
	v_ffbh_u32_e32 v89, v88
	v_cmp_eq_u32_e64 s16, 0, v91
	v_min_u32_e32 v89, 32, v89
	v_subrev_nc_u32_e32 v90, 29, v89
	v_sub_nc_u32_e32 v89, 30, v89
	v_lshlrev_b32_e32 v79, v90, v79
	v_lshlrev_b32_sdwa v90, v103, v10 dst_sel:DWORD dst_unused:UNUSED_PAD src0_sel:DWORD src1_sel:BYTE_1
	v_cndmask_b32_e64 v89, v91, v89, s16
	v_and_b32_e32 v79, 3, v79
	v_lshl_add_u32 v89, v89, 23, 0x37800000
	v_cndmask_b32_e64 v79, v88, v79, s16
	v_and_b32_e32 v88, 0x80000000, v90
	v_lshlrev_b32_e32 v79, 21, v79
	v_or3_b32 v79, v88, v89, v79
.LBB2_2771:                             ;   in Loop: Header=BB2_2579 Depth=3
	s_or_b32 exec_lo, exec_lo, s17
	v_mul_f32_e32 v79, v78, v79
	v_and_b32_e32 v78, 0x7f800000, v79
	v_cmp_ne_u32_e64 s16, 0x7f800000, v78
	v_mov_b32_e32 v78, 0x8000
	s_and_saveexec_b32 s22, s16
	s_cbranch_execz .LBB2_2779
; %bb.2772:                             ;   in Loop: Header=BB2_2579 Depth=3
	v_mov_b32_e32 v78, 0
	s_mov_b32 s23, exec_lo
	v_cmpx_ne_u32_e32 0, v79
	s_cbranch_execz .LBB2_2778
; %bb.2773:                             ;   in Loop: Header=BB2_2579 Depth=3
	v_bfe_u32 v78, v79, 23, 8
	v_and_b32_e32 v88, 0x7fffff, v79
	v_sub_nc_u32_e32 v89, 0x70, v78
	v_cmp_gt_u32_e64 s16, 0x71, v78
	v_or_b32_e32 v90, 0x800000, v88
	v_cndmask_b32_e64 v89, 0, v89, s16
	v_cmp_eq_u32_e64 s16, 0, v78
	v_add_nc_u32_e32 v78, 0xffffff91, v78
	v_cndmask_b32_e64 v89, v89, 0x6f, s16
	v_cndmask_b32_e64 v88, v90, v88, s16
	;; [unrolled: 1-line block ×3, first 2 shown]
	v_lshl_add_u32 v90, 0x200000, v89, -1
	v_lshrrev_b32_e32 v91, v89, v88
	v_lshlrev_b32_e64 v93, v89, 0x100000
	v_add_nc_u32_e32 v89, v89, v78
	v_and_b32_e32 v88, v90, v88
	v_bfe_u32 v92, v91, 21, 1
	v_cmp_eq_u32_e64 s17, v88, v93
	v_add_nc_u32_e32 v90, -1, v92
	v_cndmask_b32_e64 v88, 0, v90, s17
	v_lshrrev_b32_e32 v90, 23, v91
	s_mov_b32 s17, exec_lo
	v_add_nc_u32_e32 v88, v88, v91
	v_xor_b32_e32 v90, 1, v90
	v_and_b32_e32 v78, 0x1fffff, v88
	v_add_nc_u32_e32 v88, v78, v91
                                        ; implicit-def: $vgpr78
	v_cmpx_ne_u32_e64 v89, v90
	s_xor_b32 s17, exec_lo, s17
; %bb.2774:                             ;   in Loop: Header=BB2_2579 Depth=3
	v_cmp_lt_u32_e64 s16, 0xffffff, v88
	v_sub_nc_u32_e32 v78, v89, v90
	v_cndmask_b32_e64 v89, 0, 1, s16
	v_add_co_ci_u32_e64 v78, null, 0, v78, s16
	v_lshrrev_b32_e32 v88, v89, v88
; %bb.2775:                             ;   in Loop: Header=BB2_2579 Depth=3
	s_andn2_saveexec_b32 s16, s17
; %bb.2776:                             ;   in Loop: Header=BB2_2579 Depth=3
	v_bfe_u32 v78, v88, 23, 1
; %bb.2777:                             ;   in Loop: Header=BB2_2579 Depth=3
	s_or_b32 exec_lo, exec_lo, s16
	v_lshrrev_b32_e32 v88, 21, v88
	v_min_i32_e32 v89, 31, v78
	v_cmp_gt_i32_e64 s16, 32, v78
	v_and_b32_sdwa v79, v79, v101 dst_sel:DWORD dst_unused:UNUSED_PAD src0_sel:BYTE_3 src1_sel:DWORD
	v_lshlrev_b32_e32 v89, 2, v89
	v_cndmask_b32_e64 v88, 3, v88, s16
	v_and_b32_e32 v89, 0xfc, v89
	v_and_b32_e32 v90, 3, v88
	v_or_b32_e32 v78, v78, v88
	v_or3_b32 v79, v79, v89, v90
	v_cmp_ne_u32_e64 s16, 0, v78
	v_lshlrev_b32_e32 v79, 8, v79
	v_cndmask_b32_e64 v78, 0, v79, s16
.LBB2_2778:                             ;   in Loop: Header=BB2_2579 Depth=3
	s_or_b32 exec_lo, exec_lo, s23
.LBB2_2779:                             ;   in Loop: Header=BB2_2579 Depth=3
	s_or_b32 exec_lo, exec_lo, s22
	v_and_b32_sdwa v88, v14, v112 dst_sel:DWORD dst_unused:UNUSED_PAD src0_sel:WORD_1 src1_sel:DWORD
	s_mov_b32 s17, 0
	s_mov_b32 s22, exec_lo
	v_cmpx_lt_i16_e32 0x7f, v88
	s_xor_b32 s22, exec_lo, s22
	s_cbranch_execz .LBB2_2937
; %bb.2780:                             ;   in Loop: Header=BB2_2579 Depth=3
	s_mov_b32 s17, -1
	s_mov_b32 s23, exec_lo
	v_cmpx_eq_u16_e32 0x80, v88
; %bb.2781:                             ;   in Loop: Header=BB2_2579 Depth=3
	s_xor_b32 s17, exec_lo, -1
; %bb.2782:                             ;   in Loop: Header=BB2_2579 Depth=3
	s_or_b32 exec_lo, exec_lo, s23
	s_and_b32 s17, s17, exec_lo
                                        ; implicit-def: $vgpr88
	s_or_saveexec_b32 s22, s22
	v_mov_b32_e32 v79, 0x7f800001
	s_xor_b32 exec_lo, exec_lo, s22
	s_cbranch_execnz .LBB2_2938
.LBB2_2783:                             ;   in Loop: Header=BB2_2579 Depth=3
	s_or_b32 exec_lo, exec_lo, s22
	s_and_saveexec_b32 s22, s17
	s_cbranch_execz .LBB2_2785
.LBB2_2784:                             ;   in Loop: Header=BB2_2579 Depth=3
	v_bfe_u32 v79, v14, 16, 2
	v_bfe_u32 v90, v14, 18, 5
	v_lshlrev_b32_e32 v91, 8, v14
	v_ffbh_u32_e32 v88, v79
	v_cmp_eq_u32_e64 s16, 0, v90
	v_min_u32_e32 v88, 32, v88
	v_subrev_nc_u32_e32 v89, 29, v88
	v_sub_nc_u32_e32 v88, 30, v88
	v_lshlrev_b32_sdwa v89, v89, v14 dst_sel:DWORD dst_unused:UNUSED_PAD src0_sel:DWORD src1_sel:WORD_1
	v_cndmask_b32_e64 v88, v90, v88, s16
	v_and_b32_e32 v89, 3, v89
	v_lshl_add_u32 v88, v88, 23, 0x37800000
	v_cndmask_b32_e64 v79, v79, v89, s16
	v_and_b32_e32 v89, 0x80000000, v91
	v_lshlrev_b32_e32 v79, 21, v79
	v_or3_b32 v79, v89, v88, v79
.LBB2_2785:                             ;   in Loop: Header=BB2_2579 Depth=3
	s_or_b32 exec_lo, exec_lo, s22
	v_and_b32_sdwa v89, v10, v112 dst_sel:DWORD dst_unused:UNUSED_PAD src0_sel:WORD_1 src1_sel:DWORD
	s_mov_b32 s17, 0
	s_mov_b32 s22, exec_lo
	v_cmpx_lt_i16_e32 0x7f, v89
	s_xor_b32 s22, exec_lo, s22
	s_cbranch_execz .LBB2_2939
; %bb.2786:                             ;   in Loop: Header=BB2_2579 Depth=3
	s_mov_b32 s17, -1
	s_mov_b32 s23, exec_lo
	v_cmpx_eq_u16_e32 0x80, v89
; %bb.2787:                             ;   in Loop: Header=BB2_2579 Depth=3
	s_xor_b32 s17, exec_lo, -1
; %bb.2788:                             ;   in Loop: Header=BB2_2579 Depth=3
	s_or_b32 exec_lo, exec_lo, s23
	s_and_b32 s17, s17, exec_lo
                                        ; implicit-def: $vgpr89
	s_or_saveexec_b32 s22, s22
	v_mov_b32_e32 v88, 0x7f800001
	s_xor_b32 exec_lo, exec_lo, s22
	s_cbranch_execnz .LBB2_2940
.LBB2_2789:                             ;   in Loop: Header=BB2_2579 Depth=3
	s_or_b32 exec_lo, exec_lo, s22
	s_and_saveexec_b32 s22, s17
	s_cbranch_execz .LBB2_2791
.LBB2_2790:                             ;   in Loop: Header=BB2_2579 Depth=3
	v_and_b32_sdwa v88, v10, v113 dst_sel:DWORD dst_unused:UNUSED_PAD src0_sel:WORD_1 src1_sel:DWORD
	v_bfe_u32 v91, v10, 18, 5
	v_lshlrev_b32_sdwa v92, v103, v10 dst_sel:DWORD dst_unused:UNUSED_PAD src0_sel:DWORD src1_sel:WORD_1
	v_ffbh_u32_e32 v89, v88
	v_cmp_eq_u32_e64 s16, 0, v91
	v_min_u32_e32 v89, 32, v89
	v_subrev_nc_u32_e32 v90, 29, v89
	v_sub_nc_u32_e32 v89, 30, v89
	v_lshlrev_b32_sdwa v90, v90, v10 dst_sel:DWORD dst_unused:UNUSED_PAD src0_sel:DWORD src1_sel:WORD_1
	v_cndmask_b32_e64 v89, v91, v89, s16
	v_and_b32_e32 v90, 3, v90
	v_lshl_add_u32 v89, v89, 23, 0x37800000
	v_cndmask_b32_e64 v88, v88, v90, s16
	v_and_b32_e32 v90, 0x80000000, v92
	v_lshlrev_b32_e32 v88, 21, v88
	v_or3_b32 v88, v90, v89, v88
.LBB2_2791:                             ;   in Loop: Header=BB2_2579 Depth=3
	s_or_b32 exec_lo, exec_lo, s22
	v_mul_f32_e32 v88, v79, v88
	v_and_b32_e32 v79, 0x7f800000, v88
	v_cmp_ne_u32_e64 s16, 0x7f800000, v79
	v_mov_b32_e32 v79, 0x80
	s_and_saveexec_b32 s22, s16
	s_cbranch_execz .LBB2_2799
; %bb.2792:                             ;   in Loop: Header=BB2_2579 Depth=3
	v_mov_b32_e32 v79, 0
	s_mov_b32 s23, exec_lo
	v_cmpx_ne_u32_e32 0, v88
	s_cbranch_execz .LBB2_2798
; %bb.2793:                             ;   in Loop: Header=BB2_2579 Depth=3
	v_bfe_u32 v79, v88, 23, 8
	v_and_b32_e32 v89, 0x7fffff, v88
	v_sub_nc_u32_e32 v90, 0x70, v79
	v_cmp_gt_u32_e64 s16, 0x71, v79
	v_or_b32_e32 v91, 0x800000, v89
	v_cndmask_b32_e64 v90, 0, v90, s16
	v_cmp_eq_u32_e64 s16, 0, v79
	v_add_nc_u32_e32 v79, 0xffffff91, v79
	v_cndmask_b32_e64 v90, v90, 0x6f, s16
	v_cndmask_b32_e64 v89, v91, v89, s16
	;; [unrolled: 1-line block ×3, first 2 shown]
	v_lshl_add_u32 v91, 0x200000, v90, -1
	v_lshrrev_b32_e32 v92, v90, v89
	v_lshlrev_b32_e64 v94, v90, 0x100000
	v_add_nc_u32_e32 v90, v90, v79
	v_and_b32_e32 v89, v91, v89
	v_bfe_u32 v93, v92, 21, 1
	v_cmp_eq_u32_e64 s17, v89, v94
	v_add_nc_u32_e32 v91, -1, v93
	v_cndmask_b32_e64 v89, 0, v91, s17
	v_lshrrev_b32_e32 v91, 23, v92
	s_mov_b32 s17, exec_lo
	v_add_nc_u32_e32 v89, v89, v92
	v_xor_b32_e32 v91, 1, v91
	v_and_b32_e32 v79, 0x1fffff, v89
	v_add_nc_u32_e32 v89, v79, v92
                                        ; implicit-def: $vgpr79
	v_cmpx_ne_u32_e64 v90, v91
	s_xor_b32 s17, exec_lo, s17
; %bb.2794:                             ;   in Loop: Header=BB2_2579 Depth=3
	v_cmp_lt_u32_e64 s16, 0xffffff, v89
	v_sub_nc_u32_e32 v79, v90, v91
	v_cndmask_b32_e64 v90, 0, 1, s16
	v_add_co_ci_u32_e64 v79, null, 0, v79, s16
	v_lshrrev_b32_e32 v89, v90, v89
; %bb.2795:                             ;   in Loop: Header=BB2_2579 Depth=3
	s_andn2_saveexec_b32 s16, s17
; %bb.2796:                             ;   in Loop: Header=BB2_2579 Depth=3
	v_bfe_u32 v79, v89, 23, 1
; %bb.2797:                             ;   in Loop: Header=BB2_2579 Depth=3
	s_or_b32 exec_lo, exec_lo, s16
	v_lshrrev_b32_e32 v89, 21, v89
	v_min_i32_e32 v90, 31, v79
	v_cmp_gt_i32_e64 s16, 32, v79
	v_and_b32_sdwa v88, v88, v101 dst_sel:DWORD dst_unused:UNUSED_PAD src0_sel:BYTE_3 src1_sel:DWORD
	v_lshlrev_b32_e32 v90, 2, v90
	v_cndmask_b32_e64 v89, 3, v89, s16
	v_and_b32_e32 v90, 0xfc, v90
	v_and_b32_e32 v91, 3, v89
	v_or_b32_e32 v79, v79, v89
	v_or3_b32 v88, v90, v88, v91
	v_cmp_ne_u32_e64 s16, 0, v79
	v_cndmask_b32_e64 v79, 0, v88, s16
.LBB2_2798:                             ;   in Loop: Header=BB2_2579 Depth=3
	s_or_b32 exec_lo, exec_lo, s23
.LBB2_2799:                             ;   in Loop: Header=BB2_2579 Depth=3
	s_or_b32 exec_lo, exec_lo, s22
	v_cmp_gt_i16_sdwa s17, v14, v100 src0_sel:BYTE_3 src1_sel:DWORD
	s_mov_b32 s16, 0
	s_and_saveexec_b32 s22, s17
	s_xor_b32 s17, exec_lo, s22
	s_cbranch_execz .LBB2_2941
; %bb.2800:                             ;   in Loop: Header=BB2_2579 Depth=3
	v_cmp_eq_u16_sdwa s23, v14, v101 src0_sel:BYTE_3 src1_sel:DWORD
	s_mov_b32 s16, -1
	s_and_saveexec_b32 s22, s23
; %bb.2801:                             ;   in Loop: Header=BB2_2579 Depth=3
	s_xor_b32 s16, exec_lo, -1
; %bb.2802:                             ;   in Loop: Header=BB2_2579 Depth=3
	s_or_b32 exec_lo, exec_lo, s22
	s_and_b32 s16, s16, exec_lo
	s_or_saveexec_b32 s17, s17
	v_mov_b32_e32 v88, 0x7f800001
	s_xor_b32 exec_lo, exec_lo, s17
	s_cbranch_execnz .LBB2_2942
.LBB2_2803:                             ;   in Loop: Header=BB2_2579 Depth=3
	s_or_b32 exec_lo, exec_lo, s17
	s_and_saveexec_b32 s17, s16
	s_cbranch_execz .LBB2_2805
.LBB2_2804:                             ;   in Loop: Header=BB2_2579 Depth=3
	v_bfe_u32 v88, v14, 24, 2
	v_bfe_u32 v91, v14, 26, 5
	v_ffbh_u32_e32 v89, v88
	v_cmp_eq_u32_e64 s16, 0, v91
	v_min_u32_e32 v89, 32, v89
	v_subrev_nc_u32_e32 v90, 29, v89
	v_sub_nc_u32_e32 v89, 30, v89
	v_lshlrev_b32_sdwa v90, v90, v14 dst_sel:DWORD dst_unused:UNUSED_PAD src0_sel:DWORD src1_sel:BYTE_3
	v_cndmask_b32_e64 v89, v91, v89, s16
	v_and_b32_e32 v14, 0x80000000, v14
	v_and_b32_e32 v90, 3, v90
	v_lshl_add_u32 v89, v89, 23, 0x37800000
	v_cndmask_b32_e64 v88, v88, v90, s16
	v_lshlrev_b32_e32 v88, 21, v88
	v_or3_b32 v88, v14, v89, v88
.LBB2_2805:                             ;   in Loop: Header=BB2_2579 Depth=3
	s_or_b32 exec_lo, exec_lo, s17
	v_cmp_gt_i16_sdwa s17, v10, v100 src0_sel:BYTE_3 src1_sel:DWORD
	s_mov_b32 s16, 0
	s_and_saveexec_b32 s22, s17
	s_xor_b32 s17, exec_lo, s22
	s_cbranch_execz .LBB2_2943
; %bb.2806:                             ;   in Loop: Header=BB2_2579 Depth=3
	v_cmp_eq_u16_sdwa s23, v10, v101 src0_sel:BYTE_3 src1_sel:DWORD
	s_mov_b32 s16, -1
	s_and_saveexec_b32 s22, s23
; %bb.2807:                             ;   in Loop: Header=BB2_2579 Depth=3
	s_xor_b32 s16, exec_lo, -1
; %bb.2808:                             ;   in Loop: Header=BB2_2579 Depth=3
	s_or_b32 exec_lo, exec_lo, s22
	s_and_b32 s16, s16, exec_lo
	s_or_saveexec_b32 s17, s17
	v_mov_b32_e32 v14, 0x7f800001
	s_xor_b32 exec_lo, exec_lo, s17
	s_cbranch_execnz .LBB2_2944
.LBB2_2809:                             ;   in Loop: Header=BB2_2579 Depth=3
	s_or_b32 exec_lo, exec_lo, s17
	s_and_saveexec_b32 s17, s16
	s_cbranch_execz .LBB2_2811
.LBB2_2810:                             ;   in Loop: Header=BB2_2579 Depth=3
	v_and_b32_sdwa v14, v10, v113 dst_sel:DWORD dst_unused:UNUSED_PAD src0_sel:BYTE_3 src1_sel:DWORD
	v_bfe_u32 v91, v10, 26, 5
	v_ffbh_u32_e32 v89, v14
	v_cmp_eq_u32_e64 s16, 0, v91
	v_min_u32_e32 v89, 32, v89
	v_subrev_nc_u32_e32 v90, 29, v89
	v_sub_nc_u32_e32 v89, 30, v89
	v_lshlrev_b32_sdwa v90, v90, v10 dst_sel:DWORD dst_unused:UNUSED_PAD src0_sel:DWORD src1_sel:BYTE_3
	v_cndmask_b32_e64 v89, v91, v89, s16
	v_and_b32_e32 v10, 0x80000000, v10
	v_and_b32_e32 v90, 3, v90
	v_lshl_add_u32 v89, v89, 23, 0x37800000
	v_cndmask_b32_e64 v14, v14, v90, s16
	v_lshlrev_b32_e32 v14, 21, v14
	v_or3_b32 v14, v10, v89, v14
.LBB2_2811:                             ;   in Loop: Header=BB2_2579 Depth=3
	s_or_b32 exec_lo, exec_lo, s17
	v_mul_f32_e32 v14, v88, v14
	v_and_b32_e32 v10, 0x7f800000, v14
	v_cmp_ne_u32_e64 s16, 0x7f800000, v10
	v_mov_b32_e32 v10, 0x8000
	s_and_saveexec_b32 s22, s16
	s_cbranch_execz .LBB2_2819
; %bb.2812:                             ;   in Loop: Header=BB2_2579 Depth=3
	v_mov_b32_e32 v10, 0
	s_mov_b32 s23, exec_lo
	v_cmpx_ne_u32_e32 0, v14
	s_cbranch_execz .LBB2_2818
; %bb.2813:                             ;   in Loop: Header=BB2_2579 Depth=3
	v_bfe_u32 v10, v14, 23, 8
	v_and_b32_e32 v88, 0x7fffff, v14
	v_sub_nc_u32_e32 v89, 0x70, v10
	v_cmp_gt_u32_e64 s16, 0x71, v10
	v_or_b32_e32 v90, 0x800000, v88
	v_cndmask_b32_e64 v89, 0, v89, s16
	v_cmp_eq_u32_e64 s16, 0, v10
	v_add_nc_u32_e32 v10, 0xffffff91, v10
	v_cndmask_b32_e64 v89, v89, 0x6f, s16
	v_cndmask_b32_e64 v88, v90, v88, s16
	;; [unrolled: 1-line block ×3, first 2 shown]
	v_lshl_add_u32 v90, 0x200000, v89, -1
	v_lshrrev_b32_e32 v91, v89, v88
	v_lshlrev_b32_e64 v93, v89, 0x100000
	v_add_nc_u32_e32 v89, v89, v10
	v_and_b32_e32 v88, v90, v88
	v_bfe_u32 v92, v91, 21, 1
	v_cmp_eq_u32_e64 s17, v88, v93
	v_add_nc_u32_e32 v90, -1, v92
	v_cndmask_b32_e64 v88, 0, v90, s17
	v_lshrrev_b32_e32 v90, 23, v91
	s_mov_b32 s17, exec_lo
	v_add_nc_u32_e32 v88, v88, v91
	v_xor_b32_e32 v90, 1, v90
	v_and_b32_e32 v10, 0x1fffff, v88
	v_add_nc_u32_e32 v88, v10, v91
                                        ; implicit-def: $vgpr10
	v_cmpx_ne_u32_e64 v89, v90
	s_xor_b32 s17, exec_lo, s17
; %bb.2814:                             ;   in Loop: Header=BB2_2579 Depth=3
	v_cmp_lt_u32_e64 s16, 0xffffff, v88
	v_sub_nc_u32_e32 v10, v89, v90
	v_cndmask_b32_e64 v89, 0, 1, s16
	v_add_co_ci_u32_e64 v10, null, 0, v10, s16
	v_lshrrev_b32_e32 v88, v89, v88
; %bb.2815:                             ;   in Loop: Header=BB2_2579 Depth=3
	s_andn2_saveexec_b32 s16, s17
; %bb.2816:                             ;   in Loop: Header=BB2_2579 Depth=3
	v_bfe_u32 v10, v88, 23, 1
; %bb.2817:                             ;   in Loop: Header=BB2_2579 Depth=3
	s_or_b32 exec_lo, exec_lo, s16
	v_lshrrev_b32_e32 v88, 21, v88
	v_min_i32_e32 v89, 31, v10
	v_cmp_gt_i32_e64 s16, 32, v10
	v_and_b32_sdwa v14, v14, v101 dst_sel:DWORD dst_unused:UNUSED_PAD src0_sel:BYTE_3 src1_sel:DWORD
	v_lshlrev_b32_e32 v89, 2, v89
	v_cndmask_b32_e64 v88, 3, v88, s16
	v_and_b32_e32 v89, 0xfc, v89
	v_and_b32_e32 v90, 3, v88
	v_or_b32_e32 v10, v10, v88
	v_or3_b32 v14, v14, v89, v90
	v_cmp_ne_u32_e64 s16, 0, v10
	v_lshlrev_b32_e32 v14, 8, v14
	v_cndmask_b32_e64 v10, 0, v14, s16
.LBB2_2818:                             ;   in Loop: Header=BB2_2579 Depth=3
	s_or_b32 exec_lo, exec_lo, s23
.LBB2_2819:                             ;   in Loop: Header=BB2_2579 Depth=3
	s_or_b32 exec_lo, exec_lo, s22
	v_cmp_gt_i16_sdwa s17, v15, v100 src0_sel:BYTE_0 src1_sel:DWORD
	s_mov_b32 s16, 0
	s_and_saveexec_b32 s22, s17
	s_xor_b32 s17, exec_lo, s22
	s_cbranch_execz .LBB2_2945
; %bb.2820:                             ;   in Loop: Header=BB2_2579 Depth=3
	v_cmp_eq_u16_sdwa s23, v15, v101 src0_sel:BYTE_0 src1_sel:DWORD
	s_mov_b32 s16, -1
	s_and_saveexec_b32 s22, s23
; %bb.2821:                             ;   in Loop: Header=BB2_2579 Depth=3
	s_xor_b32 s16, exec_lo, -1
; %bb.2822:                             ;   in Loop: Header=BB2_2579 Depth=3
	s_or_b32 exec_lo, exec_lo, s22
	s_and_b32 s16, s16, exec_lo
	s_or_saveexec_b32 s17, s17
	v_mov_b32_e32 v14, 0x7f800001
	s_xor_b32 exec_lo, exec_lo, s17
	s_cbranch_execnz .LBB2_2946
.LBB2_2823:                             ;   in Loop: Header=BB2_2579 Depth=3
	s_or_b32 exec_lo, exec_lo, s17
	s_and_saveexec_b32 s17, s16
	s_cbranch_execz .LBB2_2825
.LBB2_2824:                             ;   in Loop: Header=BB2_2579 Depth=3
	v_and_b32_e32 v14, 3, v15
	v_bfe_u32 v90, v15, 2, 5
	v_lshlrev_b32_e32 v91, 24, v15
	v_ffbh_u32_e32 v88, v14
	v_cmp_eq_u32_e64 s16, 0, v90
	v_min_u32_e32 v88, 32, v88
	v_subrev_nc_u32_e32 v89, 29, v88
	v_sub_nc_u32_e32 v88, 30, v88
	v_lshlrev_b32_e32 v89, v89, v15
	v_cndmask_b32_e64 v88, v90, v88, s16
	v_and_b32_e32 v89, 3, v89
	v_lshl_add_u32 v88, v88, 23, 0x37800000
	v_cndmask_b32_e64 v14, v14, v89, s16
	v_and_b32_e32 v89, 0x80000000, v91
	v_lshlrev_b32_e32 v14, 21, v14
	v_or3_b32 v14, v89, v88, v14
.LBB2_2825:                             ;   in Loop: Header=BB2_2579 Depth=3
	s_or_b32 exec_lo, exec_lo, s17
	v_cmp_gt_i16_sdwa s17, v11, v100 src0_sel:BYTE_0 src1_sel:DWORD
	s_mov_b32 s16, 0
	s_and_saveexec_b32 s22, s17
	s_xor_b32 s17, exec_lo, s22
	s_cbranch_execz .LBB2_2947
; %bb.2826:                             ;   in Loop: Header=BB2_2579 Depth=3
	v_cmp_eq_u16_sdwa s23, v11, v101 src0_sel:BYTE_0 src1_sel:DWORD
	s_mov_b32 s16, -1
	s_and_saveexec_b32 s22, s23
; %bb.2827:                             ;   in Loop: Header=BB2_2579 Depth=3
	s_xor_b32 s16, exec_lo, -1
; %bb.2828:                             ;   in Loop: Header=BB2_2579 Depth=3
	s_or_b32 exec_lo, exec_lo, s22
	s_and_b32 s16, s16, exec_lo
	s_or_saveexec_b32 s17, s17
	v_mov_b32_e32 v88, 0x7f800001
	s_xor_b32 exec_lo, exec_lo, s17
	s_cbranch_execnz .LBB2_2948
.LBB2_2829:                             ;   in Loop: Header=BB2_2579 Depth=3
	s_or_b32 exec_lo, exec_lo, s17
	s_and_saveexec_b32 s17, s16
	s_cbranch_execz .LBB2_2831
.LBB2_2830:                             ;   in Loop: Header=BB2_2579 Depth=3
	v_and_b32_e32 v88, 3, v11
	v_bfe_u32 v91, v11, 2, 5
	v_lshlrev_b32_e32 v92, 24, v11
	v_ffbh_u32_e32 v89, v88
	v_cmp_eq_u32_e64 s16, 0, v91
	v_min_u32_e32 v89, 32, v89
	v_subrev_nc_u32_e32 v90, 29, v89
	v_sub_nc_u32_e32 v89, 30, v89
	v_lshlrev_b32_e32 v90, v90, v11
	v_cndmask_b32_e64 v89, v91, v89, s16
	v_and_b32_e32 v90, 3, v90
	v_lshl_add_u32 v89, v89, 23, 0x37800000
	v_cndmask_b32_e64 v88, v88, v90, s16
	v_and_b32_e32 v90, 0x80000000, v92
	v_lshlrev_b32_e32 v88, 21, v88
	v_or3_b32 v88, v90, v89, v88
.LBB2_2831:                             ;   in Loop: Header=BB2_2579 Depth=3
	s_or_b32 exec_lo, exec_lo, s17
	v_mul_f32_e32 v88, v14, v88
	v_and_b32_e32 v14, 0x7f800000, v88
	v_cmp_ne_u32_e64 s16, 0x7f800000, v14
	v_mov_b32_e32 v14, 0x80
	s_and_saveexec_b32 s22, s16
	s_cbranch_execz .LBB2_2839
; %bb.2832:                             ;   in Loop: Header=BB2_2579 Depth=3
	v_mov_b32_e32 v14, 0
	s_mov_b32 s23, exec_lo
	v_cmpx_ne_u32_e32 0, v88
	s_cbranch_execz .LBB2_2838
; %bb.2833:                             ;   in Loop: Header=BB2_2579 Depth=3
	v_bfe_u32 v14, v88, 23, 8
	v_and_b32_e32 v89, 0x7fffff, v88
	v_sub_nc_u32_e32 v90, 0x70, v14
	v_cmp_gt_u32_e64 s16, 0x71, v14
	v_or_b32_e32 v91, 0x800000, v89
	v_cndmask_b32_e64 v90, 0, v90, s16
	v_cmp_eq_u32_e64 s16, 0, v14
	v_add_nc_u32_e32 v14, 0xffffff91, v14
	v_cndmask_b32_e64 v90, v90, 0x6f, s16
	v_cndmask_b32_e64 v89, v91, v89, s16
	;; [unrolled: 1-line block ×3, first 2 shown]
	v_lshl_add_u32 v91, 0x200000, v90, -1
	v_lshrrev_b32_e32 v92, v90, v89
	v_lshlrev_b32_e64 v94, v90, 0x100000
	v_add_nc_u32_e32 v90, v90, v14
	v_and_b32_e32 v89, v91, v89
	v_bfe_u32 v93, v92, 21, 1
	v_cmp_eq_u32_e64 s17, v89, v94
	v_add_nc_u32_e32 v91, -1, v93
	v_cndmask_b32_e64 v89, 0, v91, s17
	v_lshrrev_b32_e32 v91, 23, v92
	s_mov_b32 s17, exec_lo
	v_add_nc_u32_e32 v89, v89, v92
	v_xor_b32_e32 v91, 1, v91
	v_and_b32_e32 v14, 0x1fffff, v89
	v_add_nc_u32_e32 v89, v14, v92
                                        ; implicit-def: $vgpr14
	v_cmpx_ne_u32_e64 v90, v91
	s_xor_b32 s17, exec_lo, s17
; %bb.2834:                             ;   in Loop: Header=BB2_2579 Depth=3
	v_cmp_lt_u32_e64 s16, 0xffffff, v89
	v_sub_nc_u32_e32 v14, v90, v91
	v_cndmask_b32_e64 v90, 0, 1, s16
	v_add_co_ci_u32_e64 v14, null, 0, v14, s16
	v_lshrrev_b32_e32 v89, v90, v89
; %bb.2835:                             ;   in Loop: Header=BB2_2579 Depth=3
	s_andn2_saveexec_b32 s16, s17
; %bb.2836:                             ;   in Loop: Header=BB2_2579 Depth=3
	v_bfe_u32 v14, v89, 23, 1
; %bb.2837:                             ;   in Loop: Header=BB2_2579 Depth=3
	s_or_b32 exec_lo, exec_lo, s16
	v_lshrrev_b32_e32 v89, 21, v89
	v_min_i32_e32 v90, 31, v14
	v_cmp_gt_i32_e64 s16, 32, v14
	v_and_b32_sdwa v88, v88, v101 dst_sel:DWORD dst_unused:UNUSED_PAD src0_sel:BYTE_3 src1_sel:DWORD
	v_lshlrev_b32_e32 v90, 2, v90
	v_cndmask_b32_e64 v89, 3, v89, s16
	v_and_b32_e32 v90, 0xfc, v90
	v_and_b32_e32 v91, 3, v89
	v_or_b32_e32 v14, v14, v89
	v_or3_b32 v88, v90, v88, v91
	v_cmp_ne_u32_e64 s16, 0, v14
	v_cndmask_b32_e64 v14, 0, v88, s16
.LBB2_2838:                             ;   in Loop: Header=BB2_2579 Depth=3
	s_or_b32 exec_lo, exec_lo, s23
.LBB2_2839:                             ;   in Loop: Header=BB2_2579 Depth=3
	s_or_b32 exec_lo, exec_lo, s22
	v_cmp_gt_i16_sdwa s17, v15, v100 src0_sel:BYTE_1 src1_sel:DWORD
	s_mov_b32 s16, 0
	s_and_saveexec_b32 s22, s17
	s_xor_b32 s17, exec_lo, s22
	s_cbranch_execz .LBB2_2949
; %bb.2840:                             ;   in Loop: Header=BB2_2579 Depth=3
	v_cmp_eq_u16_sdwa s23, v15, v101 src0_sel:BYTE_1 src1_sel:DWORD
	s_mov_b32 s16, -1
	s_and_saveexec_b32 s22, s23
; %bb.2841:                             ;   in Loop: Header=BB2_2579 Depth=3
	s_xor_b32 s16, exec_lo, -1
; %bb.2842:                             ;   in Loop: Header=BB2_2579 Depth=3
	s_or_b32 exec_lo, exec_lo, s22
	s_and_b32 s16, s16, exec_lo
	s_or_saveexec_b32 s17, s17
	v_mov_b32_e32 v88, 0x7f800001
	s_xor_b32 exec_lo, exec_lo, s17
	s_cbranch_execnz .LBB2_2950
.LBB2_2843:                             ;   in Loop: Header=BB2_2579 Depth=3
	s_or_b32 exec_lo, exec_lo, s17
	s_and_saveexec_b32 s17, s16
	s_cbranch_execz .LBB2_2845
.LBB2_2844:                             ;   in Loop: Header=BB2_2579 Depth=3
	v_and_b32_sdwa v88, v102, v15 dst_sel:DWORD dst_unused:UNUSED_PAD src0_sel:DWORD src1_sel:BYTE_1
	v_and_b32_e32 v89, 3, v88
	v_bfe_u32 v92, v88, 2, 5
	v_ffbh_u32_e32 v90, v89
	v_cmp_eq_u32_e64 s16, 0, v92
	v_min_u32_e32 v90, 32, v90
	v_subrev_nc_u32_e32 v91, 29, v90
	v_sub_nc_u32_e32 v90, 30, v90
	v_lshlrev_b32_e32 v88, v91, v88
	v_lshlrev_b32_sdwa v91, v103, v15 dst_sel:DWORD dst_unused:UNUSED_PAD src0_sel:DWORD src1_sel:BYTE_1
	v_cndmask_b32_e64 v90, v92, v90, s16
	v_and_b32_e32 v88, 3, v88
	v_lshl_add_u32 v90, v90, 23, 0x37800000
	v_cndmask_b32_e64 v88, v89, v88, s16
	v_and_b32_e32 v89, 0x80000000, v91
	v_lshlrev_b32_e32 v88, 21, v88
	v_or3_b32 v88, v89, v90, v88
.LBB2_2845:                             ;   in Loop: Header=BB2_2579 Depth=3
	s_or_b32 exec_lo, exec_lo, s17
	v_cmp_gt_i16_sdwa s17, v11, v100 src0_sel:BYTE_1 src1_sel:DWORD
	s_mov_b32 s16, 0
	s_and_saveexec_b32 s22, s17
	s_xor_b32 s17, exec_lo, s22
	s_cbranch_execz .LBB2_2951
; %bb.2846:                             ;   in Loop: Header=BB2_2579 Depth=3
	v_cmp_eq_u16_sdwa s23, v11, v101 src0_sel:BYTE_1 src1_sel:DWORD
	s_mov_b32 s16, -1
	s_and_saveexec_b32 s22, s23
; %bb.2847:                             ;   in Loop: Header=BB2_2579 Depth=3
	s_xor_b32 s16, exec_lo, -1
; %bb.2848:                             ;   in Loop: Header=BB2_2579 Depth=3
	s_or_b32 exec_lo, exec_lo, s22
	s_and_b32 s16, s16, exec_lo
	s_or_saveexec_b32 s17, s17
	v_mov_b32_e32 v89, 0x7f800001
	s_xor_b32 exec_lo, exec_lo, s17
	s_cbranch_execnz .LBB2_2952
.LBB2_2849:                             ;   in Loop: Header=BB2_2579 Depth=3
	s_or_b32 exec_lo, exec_lo, s17
	s_and_saveexec_b32 s17, s16
	s_cbranch_execz .LBB2_2851
.LBB2_2850:                             ;   in Loop: Header=BB2_2579 Depth=3
	v_and_b32_sdwa v89, v102, v11 dst_sel:DWORD dst_unused:UNUSED_PAD src0_sel:DWORD src1_sel:BYTE_1
	v_and_b32_e32 v90, 3, v89
	v_bfe_u32 v93, v89, 2, 5
	v_ffbh_u32_e32 v91, v90
	v_cmp_eq_u32_e64 s16, 0, v93
	v_min_u32_e32 v91, 32, v91
	v_subrev_nc_u32_e32 v92, 29, v91
	v_sub_nc_u32_e32 v91, 30, v91
	v_lshlrev_b32_e32 v89, v92, v89
	v_lshlrev_b32_sdwa v92, v103, v11 dst_sel:DWORD dst_unused:UNUSED_PAD src0_sel:DWORD src1_sel:BYTE_1
	v_cndmask_b32_e64 v91, v93, v91, s16
	v_and_b32_e32 v89, 3, v89
	v_lshl_add_u32 v91, v91, 23, 0x37800000
	v_cndmask_b32_e64 v89, v90, v89, s16
	v_and_b32_e32 v90, 0x80000000, v92
	v_lshlrev_b32_e32 v89, 21, v89
	v_or3_b32 v89, v90, v91, v89
.LBB2_2851:                             ;   in Loop: Header=BB2_2579 Depth=3
	s_or_b32 exec_lo, exec_lo, s17
	v_mul_f32_e32 v89, v88, v89
	v_and_b32_e32 v88, 0x7f800000, v89
	v_cmp_ne_u32_e64 s16, 0x7f800000, v88
	v_mov_b32_e32 v88, 0x8000
	s_and_saveexec_b32 s22, s16
	s_cbranch_execz .LBB2_2859
; %bb.2852:                             ;   in Loop: Header=BB2_2579 Depth=3
	v_mov_b32_e32 v88, 0
	s_mov_b32 s23, exec_lo
	v_cmpx_ne_u32_e32 0, v89
	s_cbranch_execz .LBB2_2858
; %bb.2853:                             ;   in Loop: Header=BB2_2579 Depth=3
	v_bfe_u32 v88, v89, 23, 8
	v_and_b32_e32 v90, 0x7fffff, v89
	v_sub_nc_u32_e32 v91, 0x70, v88
	v_cmp_gt_u32_e64 s16, 0x71, v88
	v_or_b32_e32 v92, 0x800000, v90
	v_cndmask_b32_e64 v91, 0, v91, s16
	v_cmp_eq_u32_e64 s16, 0, v88
	v_add_nc_u32_e32 v88, 0xffffff91, v88
	v_cndmask_b32_e64 v91, v91, 0x6f, s16
	v_cndmask_b32_e64 v90, v92, v90, s16
	v_cndmask_b32_e64 v88, v88, 0xffffff92, s16
	v_lshl_add_u32 v92, 0x200000, v91, -1
	v_lshrrev_b32_e32 v93, v91, v90
	v_lshlrev_b32_e64 v95, v91, 0x100000
	v_add_nc_u32_e32 v91, v91, v88
	v_and_b32_e32 v90, v92, v90
	v_bfe_u32 v94, v93, 21, 1
	v_cmp_eq_u32_e64 s17, v90, v95
	v_add_nc_u32_e32 v92, -1, v94
	v_cndmask_b32_e64 v90, 0, v92, s17
	v_lshrrev_b32_e32 v92, 23, v93
	s_mov_b32 s17, exec_lo
	v_add_nc_u32_e32 v90, v90, v93
	v_xor_b32_e32 v92, 1, v92
	v_and_b32_e32 v88, 0x1fffff, v90
	v_add_nc_u32_e32 v90, v88, v93
                                        ; implicit-def: $vgpr88
	v_cmpx_ne_u32_e64 v91, v92
	s_xor_b32 s17, exec_lo, s17
; %bb.2854:                             ;   in Loop: Header=BB2_2579 Depth=3
	v_cmp_lt_u32_e64 s16, 0xffffff, v90
	v_sub_nc_u32_e32 v88, v91, v92
	v_cndmask_b32_e64 v91, 0, 1, s16
	v_add_co_ci_u32_e64 v88, null, 0, v88, s16
	v_lshrrev_b32_e32 v90, v91, v90
; %bb.2855:                             ;   in Loop: Header=BB2_2579 Depth=3
	s_andn2_saveexec_b32 s16, s17
; %bb.2856:                             ;   in Loop: Header=BB2_2579 Depth=3
	v_bfe_u32 v88, v90, 23, 1
; %bb.2857:                             ;   in Loop: Header=BB2_2579 Depth=3
	s_or_b32 exec_lo, exec_lo, s16
	v_lshrrev_b32_e32 v90, 21, v90
	v_min_i32_e32 v91, 31, v88
	v_cmp_gt_i32_e64 s16, 32, v88
	v_and_b32_sdwa v89, v89, v101 dst_sel:DWORD dst_unused:UNUSED_PAD src0_sel:BYTE_3 src1_sel:DWORD
	v_lshlrev_b32_e32 v91, 2, v91
	v_cndmask_b32_e64 v90, 3, v90, s16
	v_and_b32_e32 v91, 0xfc, v91
	v_and_b32_e32 v92, 3, v90
	v_or_b32_e32 v88, v88, v90
	v_or3_b32 v89, v89, v91, v92
	v_cmp_ne_u32_e64 s16, 0, v88
	v_lshlrev_b32_e32 v89, 8, v89
	v_cndmask_b32_e64 v88, 0, v89, s16
.LBB2_2858:                             ;   in Loop: Header=BB2_2579 Depth=3
	s_or_b32 exec_lo, exec_lo, s23
.LBB2_2859:                             ;   in Loop: Header=BB2_2579 Depth=3
	s_or_b32 exec_lo, exec_lo, s22
	v_and_b32_sdwa v90, v15, v112 dst_sel:DWORD dst_unused:UNUSED_PAD src0_sel:WORD_1 src1_sel:DWORD
	s_mov_b32 s17, 0
	s_mov_b32 s22, exec_lo
	v_cmpx_lt_i16_e32 0x7f, v90
	s_xor_b32 s22, exec_lo, s22
	s_cbranch_execz .LBB2_2953
; %bb.2860:                             ;   in Loop: Header=BB2_2579 Depth=3
	s_mov_b32 s17, -1
	s_mov_b32 s23, exec_lo
	v_cmpx_eq_u16_e32 0x80, v90
; %bb.2861:                             ;   in Loop: Header=BB2_2579 Depth=3
	s_xor_b32 s17, exec_lo, -1
; %bb.2862:                             ;   in Loop: Header=BB2_2579 Depth=3
	s_or_b32 exec_lo, exec_lo, s23
	s_and_b32 s17, s17, exec_lo
                                        ; implicit-def: $vgpr90
	s_or_saveexec_b32 s22, s22
	v_mov_b32_e32 v89, 0x7f800001
	s_xor_b32 exec_lo, exec_lo, s22
	s_cbranch_execnz .LBB2_2954
.LBB2_2863:                             ;   in Loop: Header=BB2_2579 Depth=3
	s_or_b32 exec_lo, exec_lo, s22
	s_and_saveexec_b32 s22, s17
	s_cbranch_execz .LBB2_2865
.LBB2_2864:                             ;   in Loop: Header=BB2_2579 Depth=3
	v_bfe_u32 v89, v15, 16, 2
	v_bfe_u32 v92, v15, 18, 5
	v_lshlrev_b32_e32 v93, 8, v15
	v_ffbh_u32_e32 v90, v89
	v_cmp_eq_u32_e64 s16, 0, v92
	v_min_u32_e32 v90, 32, v90
	v_subrev_nc_u32_e32 v91, 29, v90
	v_sub_nc_u32_e32 v90, 30, v90
	v_lshlrev_b32_sdwa v91, v91, v15 dst_sel:DWORD dst_unused:UNUSED_PAD src0_sel:DWORD src1_sel:WORD_1
	v_cndmask_b32_e64 v90, v92, v90, s16
	v_and_b32_e32 v91, 3, v91
	v_lshl_add_u32 v90, v90, 23, 0x37800000
	v_cndmask_b32_e64 v89, v89, v91, s16
	v_and_b32_e32 v91, 0x80000000, v93
	v_lshlrev_b32_e32 v89, 21, v89
	v_or3_b32 v89, v91, v90, v89
.LBB2_2865:                             ;   in Loop: Header=BB2_2579 Depth=3
	s_or_b32 exec_lo, exec_lo, s22
	v_and_b32_sdwa v91, v11, v112 dst_sel:DWORD dst_unused:UNUSED_PAD src0_sel:WORD_1 src1_sel:DWORD
	s_mov_b32 s17, 0
	s_mov_b32 s22, exec_lo
	v_cmpx_lt_i16_e32 0x7f, v91
	s_xor_b32 s22, exec_lo, s22
	s_cbranch_execz .LBB2_2955
; %bb.2866:                             ;   in Loop: Header=BB2_2579 Depth=3
	s_mov_b32 s17, -1
	s_mov_b32 s23, exec_lo
	v_cmpx_eq_u16_e32 0x80, v91
; %bb.2867:                             ;   in Loop: Header=BB2_2579 Depth=3
	s_xor_b32 s17, exec_lo, -1
; %bb.2868:                             ;   in Loop: Header=BB2_2579 Depth=3
	s_or_b32 exec_lo, exec_lo, s23
	s_and_b32 s17, s17, exec_lo
                                        ; implicit-def: $vgpr91
	s_or_saveexec_b32 s22, s22
	v_mov_b32_e32 v90, 0x7f800001
	s_xor_b32 exec_lo, exec_lo, s22
	s_cbranch_execnz .LBB2_2956
.LBB2_2869:                             ;   in Loop: Header=BB2_2579 Depth=3
	s_or_b32 exec_lo, exec_lo, s22
	s_and_saveexec_b32 s22, s17
	s_cbranch_execz .LBB2_2871
.LBB2_2870:                             ;   in Loop: Header=BB2_2579 Depth=3
	v_and_b32_sdwa v90, v11, v113 dst_sel:DWORD dst_unused:UNUSED_PAD src0_sel:WORD_1 src1_sel:DWORD
	v_bfe_u32 v93, v11, 18, 5
	v_lshlrev_b32_sdwa v94, v103, v11 dst_sel:DWORD dst_unused:UNUSED_PAD src0_sel:DWORD src1_sel:WORD_1
	v_ffbh_u32_e32 v91, v90
	v_cmp_eq_u32_e64 s16, 0, v93
	v_min_u32_e32 v91, 32, v91
	v_subrev_nc_u32_e32 v92, 29, v91
	v_sub_nc_u32_e32 v91, 30, v91
	v_lshlrev_b32_sdwa v92, v92, v11 dst_sel:DWORD dst_unused:UNUSED_PAD src0_sel:DWORD src1_sel:WORD_1
	v_cndmask_b32_e64 v91, v93, v91, s16
	v_and_b32_e32 v92, 3, v92
	v_lshl_add_u32 v91, v91, 23, 0x37800000
	v_cndmask_b32_e64 v90, v90, v92, s16
	v_and_b32_e32 v92, 0x80000000, v94
	v_lshlrev_b32_e32 v90, 21, v90
	v_or3_b32 v90, v92, v91, v90
.LBB2_2871:                             ;   in Loop: Header=BB2_2579 Depth=3
	s_or_b32 exec_lo, exec_lo, s22
	v_mul_f32_e32 v90, v89, v90
	v_and_b32_e32 v89, 0x7f800000, v90
	v_cmp_ne_u32_e64 s16, 0x7f800000, v89
	v_mov_b32_e32 v89, 0x80
	s_and_saveexec_b32 s22, s16
	s_cbranch_execz .LBB2_2879
; %bb.2872:                             ;   in Loop: Header=BB2_2579 Depth=3
	v_mov_b32_e32 v89, 0
	s_mov_b32 s23, exec_lo
	v_cmpx_ne_u32_e32 0, v90
	s_cbranch_execz .LBB2_2878
; %bb.2873:                             ;   in Loop: Header=BB2_2579 Depth=3
	v_bfe_u32 v89, v90, 23, 8
	v_and_b32_e32 v91, 0x7fffff, v90
	v_sub_nc_u32_e32 v92, 0x70, v89
	v_cmp_gt_u32_e64 s16, 0x71, v89
	v_or_b32_e32 v93, 0x800000, v91
	v_cndmask_b32_e64 v92, 0, v92, s16
	v_cmp_eq_u32_e64 s16, 0, v89
	v_add_nc_u32_e32 v89, 0xffffff91, v89
	v_cndmask_b32_e64 v92, v92, 0x6f, s16
	v_cndmask_b32_e64 v91, v93, v91, s16
	;; [unrolled: 1-line block ×3, first 2 shown]
	v_lshl_add_u32 v93, 0x200000, v92, -1
	v_lshrrev_b32_e32 v94, v92, v91
	v_lshlrev_b32_e64 v104, v92, 0x100000
	v_add_nc_u32_e32 v92, v92, v89
	v_and_b32_e32 v91, v93, v91
	v_bfe_u32 v95, v94, 21, 1
	v_cmp_eq_u32_e64 s17, v91, v104
	v_add_nc_u32_e32 v93, -1, v95
	v_cndmask_b32_e64 v91, 0, v93, s17
	v_lshrrev_b32_e32 v93, 23, v94
	s_mov_b32 s17, exec_lo
	v_add_nc_u32_e32 v91, v91, v94
	v_xor_b32_e32 v93, 1, v93
	v_and_b32_e32 v89, 0x1fffff, v91
	v_add_nc_u32_e32 v91, v89, v94
                                        ; implicit-def: $vgpr89
	v_cmpx_ne_u32_e64 v92, v93
	s_xor_b32 s17, exec_lo, s17
; %bb.2874:                             ;   in Loop: Header=BB2_2579 Depth=3
	v_cmp_lt_u32_e64 s16, 0xffffff, v91
	v_sub_nc_u32_e32 v89, v92, v93
	v_cndmask_b32_e64 v92, 0, 1, s16
	v_add_co_ci_u32_e64 v89, null, 0, v89, s16
	v_lshrrev_b32_e32 v91, v92, v91
; %bb.2875:                             ;   in Loop: Header=BB2_2579 Depth=3
	s_andn2_saveexec_b32 s16, s17
; %bb.2876:                             ;   in Loop: Header=BB2_2579 Depth=3
	v_bfe_u32 v89, v91, 23, 1
; %bb.2877:                             ;   in Loop: Header=BB2_2579 Depth=3
	s_or_b32 exec_lo, exec_lo, s16
	v_lshrrev_b32_e32 v91, 21, v91
	v_min_i32_e32 v92, 31, v89
	v_cmp_gt_i32_e64 s16, 32, v89
	v_and_b32_sdwa v90, v90, v101 dst_sel:DWORD dst_unused:UNUSED_PAD src0_sel:BYTE_3 src1_sel:DWORD
	v_lshlrev_b32_e32 v92, 2, v92
	v_cndmask_b32_e64 v91, 3, v91, s16
	v_and_b32_e32 v92, 0xfc, v92
	v_and_b32_e32 v93, 3, v91
	v_or_b32_e32 v89, v89, v91
	v_or3_b32 v90, v92, v90, v93
	v_cmp_ne_u32_e64 s16, 0, v89
	v_cndmask_b32_e64 v89, 0, v90, s16
.LBB2_2878:                             ;   in Loop: Header=BB2_2579 Depth=3
	s_or_b32 exec_lo, exec_lo, s23
.LBB2_2879:                             ;   in Loop: Header=BB2_2579 Depth=3
	s_or_b32 exec_lo, exec_lo, s22
	v_cmp_gt_i16_sdwa s17, v15, v100 src0_sel:BYTE_3 src1_sel:DWORD
	s_mov_b32 s16, 0
	s_and_saveexec_b32 s22, s17
	s_xor_b32 s17, exec_lo, s22
	s_cbranch_execz .LBB2_2957
; %bb.2880:                             ;   in Loop: Header=BB2_2579 Depth=3
	v_cmp_eq_u16_sdwa s23, v15, v101 src0_sel:BYTE_3 src1_sel:DWORD
	s_mov_b32 s16, -1
	s_and_saveexec_b32 s22, s23
; %bb.2881:                             ;   in Loop: Header=BB2_2579 Depth=3
	s_xor_b32 s16, exec_lo, -1
; %bb.2882:                             ;   in Loop: Header=BB2_2579 Depth=3
	s_or_b32 exec_lo, exec_lo, s22
	s_and_b32 s16, s16, exec_lo
	s_or_saveexec_b32 s17, s17
	v_mov_b32_e32 v90, 0x7f800001
	s_xor_b32 exec_lo, exec_lo, s17
	s_cbranch_execnz .LBB2_2958
.LBB2_2883:                             ;   in Loop: Header=BB2_2579 Depth=3
	s_or_b32 exec_lo, exec_lo, s17
	s_and_saveexec_b32 s17, s16
	s_cbranch_execz .LBB2_2885
.LBB2_2884:                             ;   in Loop: Header=BB2_2579 Depth=3
	v_bfe_u32 v90, v15, 24, 2
	v_bfe_u32 v93, v15, 26, 5
	v_ffbh_u32_e32 v91, v90
	v_cmp_eq_u32_e64 s16, 0, v93
	v_min_u32_e32 v91, 32, v91
	v_subrev_nc_u32_e32 v92, 29, v91
	v_sub_nc_u32_e32 v91, 30, v91
	v_lshlrev_b32_sdwa v92, v92, v15 dst_sel:DWORD dst_unused:UNUSED_PAD src0_sel:DWORD src1_sel:BYTE_3
	v_cndmask_b32_e64 v91, v93, v91, s16
	v_and_b32_e32 v15, 0x80000000, v15
	v_and_b32_e32 v92, 3, v92
	v_lshl_add_u32 v91, v91, 23, 0x37800000
	v_cndmask_b32_e64 v90, v90, v92, s16
	v_lshlrev_b32_e32 v90, 21, v90
	v_or3_b32 v90, v15, v91, v90
.LBB2_2885:                             ;   in Loop: Header=BB2_2579 Depth=3
	s_or_b32 exec_lo, exec_lo, s17
	v_cmp_gt_i16_sdwa s17, v11, v100 src0_sel:BYTE_3 src1_sel:DWORD
	s_mov_b32 s16, 0
	s_and_saveexec_b32 s22, s17
	s_xor_b32 s17, exec_lo, s22
	s_cbranch_execz .LBB2_2959
; %bb.2886:                             ;   in Loop: Header=BB2_2579 Depth=3
	v_cmp_eq_u16_sdwa s23, v11, v101 src0_sel:BYTE_3 src1_sel:DWORD
	s_mov_b32 s16, -1
	s_and_saveexec_b32 s22, s23
; %bb.2887:                             ;   in Loop: Header=BB2_2579 Depth=3
	s_xor_b32 s16, exec_lo, -1
; %bb.2888:                             ;   in Loop: Header=BB2_2579 Depth=3
	s_or_b32 exec_lo, exec_lo, s22
	s_and_b32 s16, s16, exec_lo
	s_or_saveexec_b32 s17, s17
	v_mov_b32_e32 v15, 0x7f800001
	s_xor_b32 exec_lo, exec_lo, s17
	s_cbranch_execnz .LBB2_2960
.LBB2_2889:                             ;   in Loop: Header=BB2_2579 Depth=3
	s_or_b32 exec_lo, exec_lo, s17
	s_and_saveexec_b32 s17, s16
	s_cbranch_execz .LBB2_2891
.LBB2_2890:                             ;   in Loop: Header=BB2_2579 Depth=3
	v_and_b32_sdwa v15, v11, v113 dst_sel:DWORD dst_unused:UNUSED_PAD src0_sel:BYTE_3 src1_sel:DWORD
	v_bfe_u32 v93, v11, 26, 5
	v_ffbh_u32_e32 v91, v15
	v_cmp_eq_u32_e64 s16, 0, v93
	v_min_u32_e32 v91, 32, v91
	v_subrev_nc_u32_e32 v92, 29, v91
	v_sub_nc_u32_e32 v91, 30, v91
	v_lshlrev_b32_sdwa v92, v92, v11 dst_sel:DWORD dst_unused:UNUSED_PAD src0_sel:DWORD src1_sel:BYTE_3
	v_cndmask_b32_e64 v91, v93, v91, s16
	v_and_b32_e32 v11, 0x80000000, v11
	v_and_b32_e32 v92, 3, v92
	v_lshl_add_u32 v91, v91, 23, 0x37800000
	v_cndmask_b32_e64 v15, v15, v92, s16
	v_lshlrev_b32_e32 v15, 21, v15
	v_or3_b32 v15, v11, v91, v15
.LBB2_2891:                             ;   in Loop: Header=BB2_2579 Depth=3
	s_or_b32 exec_lo, exec_lo, s17
	v_mul_f32_e32 v11, v90, v15
	v_and_b32_e32 v15, 0x7f800000, v11
	v_cmp_ne_u32_e64 s16, 0x7f800000, v15
	v_mov_b32_e32 v15, 0x8000
	s_and_saveexec_b32 s22, s16
	s_cbranch_execz .LBB2_2578
; %bb.2892:                             ;   in Loop: Header=BB2_2579 Depth=3
	v_mov_b32_e32 v15, 0
	s_mov_b32 s23, exec_lo
	v_cmpx_ne_u32_e32 0, v11
	s_cbranch_execz .LBB2_2577
; %bb.2893:                             ;   in Loop: Header=BB2_2579 Depth=3
	v_bfe_u32 v15, v11, 23, 8
	v_and_b32_e32 v90, 0x7fffff, v11
	v_sub_nc_u32_e32 v91, 0x70, v15
	v_cmp_gt_u32_e64 s16, 0x71, v15
	v_or_b32_e32 v92, 0x800000, v90
	v_cndmask_b32_e64 v91, 0, v91, s16
	v_cmp_eq_u32_e64 s16, 0, v15
	v_add_nc_u32_e32 v15, 0xffffff91, v15
	v_cndmask_b32_e64 v91, v91, 0x6f, s16
	v_cndmask_b32_e64 v90, v92, v90, s16
	;; [unrolled: 1-line block ×3, first 2 shown]
	v_lshl_add_u32 v92, 0x200000, v91, -1
	v_lshrrev_b32_e32 v93, v91, v90
	v_lshlrev_b32_e64 v95, v91, 0x100000
	v_add_nc_u32_e32 v91, v91, v15
	v_and_b32_e32 v90, v92, v90
	v_bfe_u32 v94, v93, 21, 1
	v_cmp_eq_u32_e64 s17, v90, v95
	v_add_nc_u32_e32 v92, -1, v94
	v_cndmask_b32_e64 v90, 0, v92, s17
	v_lshrrev_b32_e32 v92, 23, v93
	s_mov_b32 s17, exec_lo
	v_add_nc_u32_e32 v90, v90, v93
	v_xor_b32_e32 v92, 1, v92
	v_and_b32_e32 v15, 0x1fffff, v90
	v_add_nc_u32_e32 v90, v15, v93
                                        ; implicit-def: $vgpr15
	v_cmpx_ne_u32_e64 v91, v92
	s_xor_b32 s17, exec_lo, s17
; %bb.2894:                             ;   in Loop: Header=BB2_2579 Depth=3
	v_cmp_lt_u32_e64 s16, 0xffffff, v90
	v_sub_nc_u32_e32 v15, v91, v92
	v_cndmask_b32_e64 v91, 0, 1, s16
	v_add_co_ci_u32_e64 v15, null, 0, v15, s16
	v_lshrrev_b32_e32 v90, v91, v90
; %bb.2895:                             ;   in Loop: Header=BB2_2579 Depth=3
	s_andn2_saveexec_b32 s16, s17
	s_cbranch_execz .LBB2_2576
; %bb.2896:                             ;   in Loop: Header=BB2_2579 Depth=3
	v_bfe_u32 v15, v90, 23, 1
	s_branch .LBB2_2576
.LBB2_2897:                             ;   in Loop: Header=BB2_2579 Depth=3
	s_or_saveexec_b32 s17, s17
	v_mov_b32_e32 v73, 0x7f800001
	s_xor_b32 exec_lo, exec_lo, s17
	s_cbranch_execz .LBB2_2583
.LBB2_2898:                             ;   in Loop: Header=BB2_2579 Depth=3
	v_cmp_ne_u16_sdwa s22, v12, v2 src0_sel:BYTE_0 src1_sel:DWORD
	v_mov_b32_e32 v73, 0
	s_andn2_b32 s16, s16, exec_lo
	s_and_b32 s22, s22, exec_lo
	s_or_b32 s16, s16, s22
	s_or_b32 exec_lo, exec_lo, s17
	s_and_saveexec_b32 s17, s16
	s_cbranch_execnz .LBB2_2584
	s_branch .LBB2_2585
.LBB2_2899:                             ;   in Loop: Header=BB2_2579 Depth=3
	s_or_saveexec_b32 s17, s17
	v_mov_b32_e32 v74, 0x7f800001
	s_xor_b32 exec_lo, exec_lo, s17
	s_cbranch_execz .LBB2_2589
.LBB2_2900:                             ;   in Loop: Header=BB2_2579 Depth=3
	v_cmp_ne_u16_sdwa s22, v8, v2 src0_sel:BYTE_0 src1_sel:DWORD
	v_mov_b32_e32 v74, 0
	s_andn2_b32 s16, s16, exec_lo
	s_and_b32 s22, s22, exec_lo
	s_or_b32 s16, s16, s22
	s_or_b32 exec_lo, exec_lo, s17
	s_and_saveexec_b32 s17, s16
	s_cbranch_execnz .LBB2_2590
	s_branch .LBB2_2591
.LBB2_2901:                             ;   in Loop: Header=BB2_2579 Depth=3
	s_or_saveexec_b32 s17, s17
	v_mov_b32_e32 v74, 0x7f800001
	s_xor_b32 exec_lo, exec_lo, s17
	s_cbranch_execz .LBB2_2603
.LBB2_2902:                             ;   in Loop: Header=BB2_2579 Depth=3
	v_cmp_ne_u16_sdwa s22, v12, v2 src0_sel:BYTE_1 src1_sel:DWORD
	v_mov_b32_e32 v74, 0
	s_andn2_b32 s16, s16, exec_lo
	s_and_b32 s22, s22, exec_lo
	s_or_b32 s16, s16, s22
	s_or_b32 exec_lo, exec_lo, s17
	s_and_saveexec_b32 s17, s16
	s_cbranch_execnz .LBB2_2604
	s_branch .LBB2_2605
.LBB2_2903:                             ;   in Loop: Header=BB2_2579 Depth=3
	s_or_saveexec_b32 s17, s17
	v_mov_b32_e32 v75, 0x7f800001
	s_xor_b32 exec_lo, exec_lo, s17
	s_cbranch_execz .LBB2_2609
.LBB2_2904:                             ;   in Loop: Header=BB2_2579 Depth=3
	v_cmp_ne_u16_sdwa s22, v8, v2 src0_sel:BYTE_1 src1_sel:DWORD
	v_mov_b32_e32 v75, 0
	s_andn2_b32 s16, s16, exec_lo
	s_and_b32 s22, s22, exec_lo
	s_or_b32 s16, s16, s22
	s_or_b32 exec_lo, exec_lo, s17
	s_and_saveexec_b32 s17, s16
	s_cbranch_execnz .LBB2_2610
	s_branch .LBB2_2611
.LBB2_2905:                             ;   in Loop: Header=BB2_2579 Depth=3
	s_or_saveexec_b32 s22, s22
	v_mov_b32_e32 v75, 0x7f800001
	s_xor_b32 exec_lo, exec_lo, s22
	s_cbranch_execz .LBB2_2623
.LBB2_2906:                             ;   in Loop: Header=BB2_2579 Depth=3
	v_cmp_ne_u16_e64 s16, 0, v76
	v_mov_b32_e32 v75, 0
	s_andn2_b32 s17, s17, exec_lo
	s_and_b32 s16, s16, exec_lo
	s_or_b32 s17, s17, s16
	s_or_b32 exec_lo, exec_lo, s22
	s_and_saveexec_b32 s22, s17
	s_cbranch_execnz .LBB2_2624
	s_branch .LBB2_2625
.LBB2_2907:                             ;   in Loop: Header=BB2_2579 Depth=3
	s_or_saveexec_b32 s22, s22
	v_mov_b32_e32 v76, 0x7f800001
	s_xor_b32 exec_lo, exec_lo, s22
	s_cbranch_execz .LBB2_2629
.LBB2_2908:                             ;   in Loop: Header=BB2_2579 Depth=3
	v_cmp_ne_u16_e64 s16, 0, v77
	v_mov_b32_e32 v76, 0
	s_andn2_b32 s17, s17, exec_lo
	s_and_b32 s16, s16, exec_lo
	s_or_b32 s17, s17, s16
	s_or_b32 exec_lo, exec_lo, s22
	s_and_saveexec_b32 s22, s17
	s_cbranch_execnz .LBB2_2630
	s_branch .LBB2_2631
.LBB2_2909:                             ;   in Loop: Header=BB2_2579 Depth=3
	s_or_saveexec_b32 s17, s17
	v_mov_b32_e32 v76, 0x7f800001
	s_xor_b32 exec_lo, exec_lo, s17
	s_cbranch_execz .LBB2_2643
.LBB2_2910:                             ;   in Loop: Header=BB2_2579 Depth=3
	v_cmp_ne_u16_sdwa s22, v12, v2 src0_sel:BYTE_3 src1_sel:DWORD
	v_mov_b32_e32 v76, 0
	s_andn2_b32 s16, s16, exec_lo
	s_and_b32 s22, s22, exec_lo
	s_or_b32 s16, s16, s22
	s_or_b32 exec_lo, exec_lo, s17
	s_and_saveexec_b32 s17, s16
	s_cbranch_execnz .LBB2_2644
	s_branch .LBB2_2645
.LBB2_2911:                             ;   in Loop: Header=BB2_2579 Depth=3
	s_or_saveexec_b32 s17, s17
	v_mov_b32_e32 v12, 0x7f800001
	s_xor_b32 exec_lo, exec_lo, s17
	s_cbranch_execz .LBB2_2649
.LBB2_2912:                             ;   in Loop: Header=BB2_2579 Depth=3
	v_cmp_ne_u16_sdwa s22, v8, v2 src0_sel:BYTE_3 src1_sel:DWORD
	v_mov_b32_e32 v12, 0
	s_andn2_b32 s16, s16, exec_lo
	s_and_b32 s22, s22, exec_lo
	s_or_b32 s16, s16, s22
	s_or_b32 exec_lo, exec_lo, s17
	s_and_saveexec_b32 s17, s16
	s_cbranch_execnz .LBB2_2650
	s_branch .LBB2_2651
.LBB2_2913:                             ;   in Loop: Header=BB2_2579 Depth=3
	s_or_saveexec_b32 s17, s17
	v_mov_b32_e32 v12, 0x7f800001
	s_xor_b32 exec_lo, exec_lo, s17
	s_cbranch_execz .LBB2_2663
.LBB2_2914:                             ;   in Loop: Header=BB2_2579 Depth=3
	v_cmp_ne_u16_sdwa s22, v13, v2 src0_sel:BYTE_0 src1_sel:DWORD
	v_mov_b32_e32 v12, 0
	s_andn2_b32 s16, s16, exec_lo
	s_and_b32 s22, s22, exec_lo
	s_or_b32 s16, s16, s22
	s_or_b32 exec_lo, exec_lo, s17
	s_and_saveexec_b32 s17, s16
	s_cbranch_execnz .LBB2_2664
	s_branch .LBB2_2665
.LBB2_2915:                             ;   in Loop: Header=BB2_2579 Depth=3
	s_or_saveexec_b32 s17, s17
	v_mov_b32_e32 v76, 0x7f800001
	s_xor_b32 exec_lo, exec_lo, s17
	s_cbranch_execz .LBB2_2669
.LBB2_2916:                             ;   in Loop: Header=BB2_2579 Depth=3
	v_cmp_ne_u16_sdwa s22, v9, v2 src0_sel:BYTE_0 src1_sel:DWORD
	v_mov_b32_e32 v76, 0
	s_andn2_b32 s16, s16, exec_lo
	s_and_b32 s22, s22, exec_lo
	s_or_b32 s16, s16, s22
	s_or_b32 exec_lo, exec_lo, s17
	s_and_saveexec_b32 s17, s16
	s_cbranch_execnz .LBB2_2670
	s_branch .LBB2_2671
.LBB2_2917:                             ;   in Loop: Header=BB2_2579 Depth=3
	s_or_saveexec_b32 s17, s17
	v_mov_b32_e32 v76, 0x7f800001
	s_xor_b32 exec_lo, exec_lo, s17
	s_cbranch_execz .LBB2_2683
.LBB2_2918:                             ;   in Loop: Header=BB2_2579 Depth=3
	v_cmp_ne_u16_sdwa s22, v13, v2 src0_sel:BYTE_1 src1_sel:DWORD
	v_mov_b32_e32 v76, 0
	s_andn2_b32 s16, s16, exec_lo
	s_and_b32 s22, s22, exec_lo
	s_or_b32 s16, s16, s22
	s_or_b32 exec_lo, exec_lo, s17
	s_and_saveexec_b32 s17, s16
	s_cbranch_execnz .LBB2_2684
	s_branch .LBB2_2685
.LBB2_2919:                             ;   in Loop: Header=BB2_2579 Depth=3
	s_or_saveexec_b32 s17, s17
	v_mov_b32_e32 v77, 0x7f800001
	s_xor_b32 exec_lo, exec_lo, s17
	s_cbranch_execz .LBB2_2689
.LBB2_2920:                             ;   in Loop: Header=BB2_2579 Depth=3
	v_cmp_ne_u16_sdwa s22, v9, v2 src0_sel:BYTE_1 src1_sel:DWORD
	v_mov_b32_e32 v77, 0
	s_andn2_b32 s16, s16, exec_lo
	s_and_b32 s22, s22, exec_lo
	s_or_b32 s16, s16, s22
	s_or_b32 exec_lo, exec_lo, s17
	s_and_saveexec_b32 s17, s16
	s_cbranch_execnz .LBB2_2690
	s_branch .LBB2_2691
.LBB2_2921:                             ;   in Loop: Header=BB2_2579 Depth=3
	s_or_saveexec_b32 s22, s22
	v_mov_b32_e32 v77, 0x7f800001
	s_xor_b32 exec_lo, exec_lo, s22
	s_cbranch_execz .LBB2_2703
.LBB2_2922:                             ;   in Loop: Header=BB2_2579 Depth=3
	v_cmp_ne_u16_e64 s16, 0, v78
	v_mov_b32_e32 v77, 0
	s_andn2_b32 s17, s17, exec_lo
	s_and_b32 s16, s16, exec_lo
	s_or_b32 s17, s17, s16
	s_or_b32 exec_lo, exec_lo, s22
	s_and_saveexec_b32 s22, s17
	s_cbranch_execnz .LBB2_2704
	s_branch .LBB2_2705
.LBB2_2923:                             ;   in Loop: Header=BB2_2579 Depth=3
	s_or_saveexec_b32 s22, s22
	v_mov_b32_e32 v78, 0x7f800001
	s_xor_b32 exec_lo, exec_lo, s22
	s_cbranch_execz .LBB2_2709
.LBB2_2924:                             ;   in Loop: Header=BB2_2579 Depth=3
	v_cmp_ne_u16_e64 s16, 0, v79
	v_mov_b32_e32 v78, 0
	s_andn2_b32 s17, s17, exec_lo
	s_and_b32 s16, s16, exec_lo
	s_or_b32 s17, s17, s16
	s_or_b32 exec_lo, exec_lo, s22
	s_and_saveexec_b32 s22, s17
	s_cbranch_execnz .LBB2_2710
	s_branch .LBB2_2711
.LBB2_2925:                             ;   in Loop: Header=BB2_2579 Depth=3
	s_or_saveexec_b32 s17, s17
	v_mov_b32_e32 v78, 0x7f800001
	s_xor_b32 exec_lo, exec_lo, s17
	s_cbranch_execz .LBB2_2723
.LBB2_2926:                             ;   in Loop: Header=BB2_2579 Depth=3
	v_cmp_ne_u16_sdwa s22, v13, v2 src0_sel:BYTE_3 src1_sel:DWORD
	v_mov_b32_e32 v78, 0
	s_andn2_b32 s16, s16, exec_lo
	s_and_b32 s22, s22, exec_lo
	s_or_b32 s16, s16, s22
	s_or_b32 exec_lo, exec_lo, s17
	s_and_saveexec_b32 s17, s16
	s_cbranch_execnz .LBB2_2724
	s_branch .LBB2_2725
.LBB2_2927:                             ;   in Loop: Header=BB2_2579 Depth=3
	s_or_saveexec_b32 s17, s17
	v_mov_b32_e32 v13, 0x7f800001
	s_xor_b32 exec_lo, exec_lo, s17
	s_cbranch_execz .LBB2_2729
.LBB2_2928:                             ;   in Loop: Header=BB2_2579 Depth=3
	v_cmp_ne_u16_sdwa s22, v9, v2 src0_sel:BYTE_3 src1_sel:DWORD
	v_mov_b32_e32 v13, 0
	s_andn2_b32 s16, s16, exec_lo
	s_and_b32 s22, s22, exec_lo
	s_or_b32 s16, s16, s22
	s_or_b32 exec_lo, exec_lo, s17
	s_and_saveexec_b32 s17, s16
	s_cbranch_execnz .LBB2_2730
	s_branch .LBB2_2731
.LBB2_2929:                             ;   in Loop: Header=BB2_2579 Depth=3
	s_or_saveexec_b32 s17, s17
	v_mov_b32_e32 v13, 0x7f800001
	s_xor_b32 exec_lo, exec_lo, s17
	s_cbranch_execz .LBB2_2743
.LBB2_2930:                             ;   in Loop: Header=BB2_2579 Depth=3
	v_cmp_ne_u16_sdwa s22, v14, v2 src0_sel:BYTE_0 src1_sel:DWORD
	v_mov_b32_e32 v13, 0
	s_andn2_b32 s16, s16, exec_lo
	s_and_b32 s22, s22, exec_lo
	s_or_b32 s16, s16, s22
	s_or_b32 exec_lo, exec_lo, s17
	s_and_saveexec_b32 s17, s16
	s_cbranch_execnz .LBB2_2744
	s_branch .LBB2_2745
.LBB2_2931:                             ;   in Loop: Header=BB2_2579 Depth=3
	s_or_saveexec_b32 s17, s17
	v_mov_b32_e32 v78, 0x7f800001
	s_xor_b32 exec_lo, exec_lo, s17
	s_cbranch_execz .LBB2_2749
.LBB2_2932:                             ;   in Loop: Header=BB2_2579 Depth=3
	v_cmp_ne_u16_sdwa s22, v10, v2 src0_sel:BYTE_0 src1_sel:DWORD
	v_mov_b32_e32 v78, 0
	s_andn2_b32 s16, s16, exec_lo
	s_and_b32 s22, s22, exec_lo
	s_or_b32 s16, s16, s22
	s_or_b32 exec_lo, exec_lo, s17
	s_and_saveexec_b32 s17, s16
	s_cbranch_execnz .LBB2_2750
	s_branch .LBB2_2751
.LBB2_2933:                             ;   in Loop: Header=BB2_2579 Depth=3
	s_or_saveexec_b32 s17, s17
	v_mov_b32_e32 v78, 0x7f800001
	s_xor_b32 exec_lo, exec_lo, s17
	s_cbranch_execz .LBB2_2763
.LBB2_2934:                             ;   in Loop: Header=BB2_2579 Depth=3
	v_cmp_ne_u16_sdwa s22, v14, v2 src0_sel:BYTE_1 src1_sel:DWORD
	v_mov_b32_e32 v78, 0
	s_andn2_b32 s16, s16, exec_lo
	s_and_b32 s22, s22, exec_lo
	s_or_b32 s16, s16, s22
	s_or_b32 exec_lo, exec_lo, s17
	s_and_saveexec_b32 s17, s16
	s_cbranch_execnz .LBB2_2764
	s_branch .LBB2_2765
.LBB2_2935:                             ;   in Loop: Header=BB2_2579 Depth=3
	s_or_saveexec_b32 s17, s17
	v_mov_b32_e32 v79, 0x7f800001
	s_xor_b32 exec_lo, exec_lo, s17
	s_cbranch_execz .LBB2_2769
.LBB2_2936:                             ;   in Loop: Header=BB2_2579 Depth=3
	v_cmp_ne_u16_sdwa s22, v10, v2 src0_sel:BYTE_1 src1_sel:DWORD
	v_mov_b32_e32 v79, 0
	s_andn2_b32 s16, s16, exec_lo
	s_and_b32 s22, s22, exec_lo
	s_or_b32 s16, s16, s22
	s_or_b32 exec_lo, exec_lo, s17
	s_and_saveexec_b32 s17, s16
	s_cbranch_execnz .LBB2_2770
	s_branch .LBB2_2771
.LBB2_2937:                             ;   in Loop: Header=BB2_2579 Depth=3
	s_or_saveexec_b32 s22, s22
	v_mov_b32_e32 v79, 0x7f800001
	s_xor_b32 exec_lo, exec_lo, s22
	s_cbranch_execz .LBB2_2783
.LBB2_2938:                             ;   in Loop: Header=BB2_2579 Depth=3
	v_cmp_ne_u16_e64 s16, 0, v88
	v_mov_b32_e32 v79, 0
	s_andn2_b32 s17, s17, exec_lo
	s_and_b32 s16, s16, exec_lo
	s_or_b32 s17, s17, s16
	s_or_b32 exec_lo, exec_lo, s22
	s_and_saveexec_b32 s22, s17
	s_cbranch_execnz .LBB2_2784
	s_branch .LBB2_2785
.LBB2_2939:                             ;   in Loop: Header=BB2_2579 Depth=3
	s_or_saveexec_b32 s22, s22
	v_mov_b32_e32 v88, 0x7f800001
	s_xor_b32 exec_lo, exec_lo, s22
	s_cbranch_execz .LBB2_2789
.LBB2_2940:                             ;   in Loop: Header=BB2_2579 Depth=3
	v_cmp_ne_u16_e64 s16, 0, v89
	v_mov_b32_e32 v88, 0
	s_andn2_b32 s17, s17, exec_lo
	s_and_b32 s16, s16, exec_lo
	s_or_b32 s17, s17, s16
	s_or_b32 exec_lo, exec_lo, s22
	s_and_saveexec_b32 s22, s17
	s_cbranch_execnz .LBB2_2790
	s_branch .LBB2_2791
.LBB2_2941:                             ;   in Loop: Header=BB2_2579 Depth=3
	s_or_saveexec_b32 s17, s17
	v_mov_b32_e32 v88, 0x7f800001
	s_xor_b32 exec_lo, exec_lo, s17
	s_cbranch_execz .LBB2_2803
.LBB2_2942:                             ;   in Loop: Header=BB2_2579 Depth=3
	v_cmp_ne_u16_sdwa s22, v14, v2 src0_sel:BYTE_3 src1_sel:DWORD
	v_mov_b32_e32 v88, 0
	s_andn2_b32 s16, s16, exec_lo
	s_and_b32 s22, s22, exec_lo
	s_or_b32 s16, s16, s22
	s_or_b32 exec_lo, exec_lo, s17
	s_and_saveexec_b32 s17, s16
	s_cbranch_execnz .LBB2_2804
	s_branch .LBB2_2805
.LBB2_2943:                             ;   in Loop: Header=BB2_2579 Depth=3
	s_or_saveexec_b32 s17, s17
	v_mov_b32_e32 v14, 0x7f800001
	s_xor_b32 exec_lo, exec_lo, s17
	s_cbranch_execz .LBB2_2809
.LBB2_2944:                             ;   in Loop: Header=BB2_2579 Depth=3
	v_cmp_ne_u16_sdwa s22, v10, v2 src0_sel:BYTE_3 src1_sel:DWORD
	v_mov_b32_e32 v14, 0
	s_andn2_b32 s16, s16, exec_lo
	s_and_b32 s22, s22, exec_lo
	s_or_b32 s16, s16, s22
	s_or_b32 exec_lo, exec_lo, s17
	s_and_saveexec_b32 s17, s16
	s_cbranch_execnz .LBB2_2810
	s_branch .LBB2_2811
.LBB2_2945:                             ;   in Loop: Header=BB2_2579 Depth=3
	s_or_saveexec_b32 s17, s17
	v_mov_b32_e32 v14, 0x7f800001
	s_xor_b32 exec_lo, exec_lo, s17
	s_cbranch_execz .LBB2_2823
.LBB2_2946:                             ;   in Loop: Header=BB2_2579 Depth=3
	v_cmp_ne_u16_sdwa s22, v15, v2 src0_sel:BYTE_0 src1_sel:DWORD
	v_mov_b32_e32 v14, 0
	s_andn2_b32 s16, s16, exec_lo
	s_and_b32 s22, s22, exec_lo
	s_or_b32 s16, s16, s22
	s_or_b32 exec_lo, exec_lo, s17
	s_and_saveexec_b32 s17, s16
	s_cbranch_execnz .LBB2_2824
	s_branch .LBB2_2825
.LBB2_2947:                             ;   in Loop: Header=BB2_2579 Depth=3
	s_or_saveexec_b32 s17, s17
	v_mov_b32_e32 v88, 0x7f800001
	s_xor_b32 exec_lo, exec_lo, s17
	s_cbranch_execz .LBB2_2829
.LBB2_2948:                             ;   in Loop: Header=BB2_2579 Depth=3
	v_cmp_ne_u16_sdwa s22, v11, v2 src0_sel:BYTE_0 src1_sel:DWORD
	v_mov_b32_e32 v88, 0
	s_andn2_b32 s16, s16, exec_lo
	s_and_b32 s22, s22, exec_lo
	s_or_b32 s16, s16, s22
	s_or_b32 exec_lo, exec_lo, s17
	s_and_saveexec_b32 s17, s16
	s_cbranch_execnz .LBB2_2830
	s_branch .LBB2_2831
.LBB2_2949:                             ;   in Loop: Header=BB2_2579 Depth=3
	s_or_saveexec_b32 s17, s17
	v_mov_b32_e32 v88, 0x7f800001
	s_xor_b32 exec_lo, exec_lo, s17
	s_cbranch_execz .LBB2_2843
.LBB2_2950:                             ;   in Loop: Header=BB2_2579 Depth=3
	v_cmp_ne_u16_sdwa s22, v15, v2 src0_sel:BYTE_1 src1_sel:DWORD
	v_mov_b32_e32 v88, 0
	s_andn2_b32 s16, s16, exec_lo
	s_and_b32 s22, s22, exec_lo
	s_or_b32 s16, s16, s22
	s_or_b32 exec_lo, exec_lo, s17
	s_and_saveexec_b32 s17, s16
	s_cbranch_execnz .LBB2_2844
	s_branch .LBB2_2845
.LBB2_2951:                             ;   in Loop: Header=BB2_2579 Depth=3
	s_or_saveexec_b32 s17, s17
	v_mov_b32_e32 v89, 0x7f800001
	s_xor_b32 exec_lo, exec_lo, s17
	s_cbranch_execz .LBB2_2849
.LBB2_2952:                             ;   in Loop: Header=BB2_2579 Depth=3
	v_cmp_ne_u16_sdwa s22, v11, v2 src0_sel:BYTE_1 src1_sel:DWORD
	v_mov_b32_e32 v89, 0
	s_andn2_b32 s16, s16, exec_lo
	s_and_b32 s22, s22, exec_lo
	s_or_b32 s16, s16, s22
	s_or_b32 exec_lo, exec_lo, s17
	s_and_saveexec_b32 s17, s16
	s_cbranch_execnz .LBB2_2850
	s_branch .LBB2_2851
.LBB2_2953:                             ;   in Loop: Header=BB2_2579 Depth=3
	s_or_saveexec_b32 s22, s22
	v_mov_b32_e32 v89, 0x7f800001
	s_xor_b32 exec_lo, exec_lo, s22
	s_cbranch_execz .LBB2_2863
.LBB2_2954:                             ;   in Loop: Header=BB2_2579 Depth=3
	v_cmp_ne_u16_e64 s16, 0, v90
	v_mov_b32_e32 v89, 0
	s_andn2_b32 s17, s17, exec_lo
	s_and_b32 s16, s16, exec_lo
	s_or_b32 s17, s17, s16
	s_or_b32 exec_lo, exec_lo, s22
	s_and_saveexec_b32 s22, s17
	s_cbranch_execnz .LBB2_2864
	s_branch .LBB2_2865
.LBB2_2955:                             ;   in Loop: Header=BB2_2579 Depth=3
	s_or_saveexec_b32 s22, s22
	v_mov_b32_e32 v90, 0x7f800001
	s_xor_b32 exec_lo, exec_lo, s22
	s_cbranch_execz .LBB2_2869
.LBB2_2956:                             ;   in Loop: Header=BB2_2579 Depth=3
	v_cmp_ne_u16_e64 s16, 0, v91
	v_mov_b32_e32 v90, 0
	s_andn2_b32 s17, s17, exec_lo
	s_and_b32 s16, s16, exec_lo
	s_or_b32 s17, s17, s16
	s_or_b32 exec_lo, exec_lo, s22
	s_and_saveexec_b32 s22, s17
	s_cbranch_execnz .LBB2_2870
	s_branch .LBB2_2871
.LBB2_2957:                             ;   in Loop: Header=BB2_2579 Depth=3
	s_or_saveexec_b32 s17, s17
	v_mov_b32_e32 v90, 0x7f800001
	s_xor_b32 exec_lo, exec_lo, s17
	s_cbranch_execz .LBB2_2883
.LBB2_2958:                             ;   in Loop: Header=BB2_2579 Depth=3
	v_cmp_ne_u16_sdwa s22, v15, v2 src0_sel:BYTE_3 src1_sel:DWORD
	v_mov_b32_e32 v90, 0
	s_andn2_b32 s16, s16, exec_lo
	s_and_b32 s22, s22, exec_lo
	s_or_b32 s16, s16, s22
	s_or_b32 exec_lo, exec_lo, s17
	s_and_saveexec_b32 s17, s16
	s_cbranch_execnz .LBB2_2884
	s_branch .LBB2_2885
.LBB2_2959:                             ;   in Loop: Header=BB2_2579 Depth=3
	s_or_saveexec_b32 s17, s17
	v_mov_b32_e32 v15, 0x7f800001
	s_xor_b32 exec_lo, exec_lo, s17
	s_cbranch_execz .LBB2_2889
.LBB2_2960:                             ;   in Loop: Header=BB2_2579 Depth=3
	v_cmp_ne_u16_sdwa s22, v11, v2 src0_sel:BYTE_3 src1_sel:DWORD
	v_mov_b32_e32 v15, 0
	s_andn2_b32 s16, s16, exec_lo
	s_and_b32 s22, s22, exec_lo
	s_or_b32 s16, s16, s22
	s_or_b32 exec_lo, exec_lo, s17
	s_and_saveexec_b32 s17, s16
	s_cbranch_execnz .LBB2_2890
	s_branch .LBB2_2891
.LBB2_2961:                             ;   in Loop: Header=BB2_1479 Depth=2
	s_or_b32 exec_lo, exec_lo, s19
.LBB2_2962:                             ;   in Loop: Header=BB2_1479 Depth=2
	s_or_b32 exec_lo, exec_lo, s18
	v_and_b32_e32 v9, 15, v55
	v_mov_b32_e32 v14, 0
	s_mov_b32 s19, 0
	s_mov_b32 s18, exec_lo
                                        ; implicit-def: $vgpr15
                                        ; implicit-def: $vgpr68
                                        ; implicit-def: $vgpr8
	v_cndmask_b32_e32 v62, v63, v9, vcc_lo
	v_cmpx_ne_u32_e32 0, v62
	s_cbranch_execz .LBB2_3354
; %bb.2963:                             ;   in Loop: Header=BB2_1479 Depth=2
	v_cmp_lt_i32_e64 s16, 0, v72
	v_ashrrev_i32_e32 v11, 31, v62
	v_sub_nc_u32_e32 v9, v63, v9
	s_mov_b32 s19, exec_lo
	v_cndmask_b32_e64 v8, 0, v87, s16
	v_lshrrev_b32_e32 v11, 23, v11
	v_cndmask_b32_e32 v9, 0, v9, vcc_lo
	v_sub_nc_u32_e32 v8, v8, v72
	v_add_nc_u32_e32 v11, v62, v11
	v_add_nc_u32_e32 v61, v9, v61
	v_lshl_add_u32 v8, v8, 5, v46
	v_and_b32_e32 v72, 0xfffffe00, v11
	v_ashrrev_i32_e32 v11, 9, v11
	v_ashrrev_i32_e32 v10, 31, v8
	v_sub_nc_u32_e32 v63, v62, v72
	v_lshrrev_b32_e32 v10, 27, v10
	v_cmp_lt_i32_e32 vcc_lo, 15, v63
	v_add_nc_u32_e32 v10, v8, v10
	v_add_co_ci_u32_e64 v11, null, 0, v11, vcc_lo
	v_and_b32_e32 v12, 0xffffffe0, v10
	v_ashrrev_i32_e32 v10, 5, v10
	v_sub_nc_u32_e32 v73, v8, v12
	v_sub_nc_u32_e32 v74, v11, v10
	v_lshlrev_b32_e32 v8, 4, v73
	v_lshl_add_u32 v8, v10, 9, v8
	v_sub_nc_u32_e32 v75, v62, v8
	v_cmpx_lt_i32_e32 15, v75
	s_cbranch_execz .LBB2_3351
; %bb.2964:                             ;   in Loop: Header=BB2_1479 Depth=2
	s_trap 2
	ds_read_b64 v[9:10], v0
	v_add_nc_u32_e32 v8, v8, v61
	s_mov_b32 s22, 0
	v_ashrrev_i32_e32 v11, 31, v8
	v_add_co_u32 v68, s16, v8, v64
	v_add_co_ci_u32_e64 v69, null, v11, v65, s16
	s_waitcnt lgkmcnt(0)
	v_add_co_u32 v70, s16, v9, v8
	v_add_co_ci_u32_e64 v71, null, v10, v11, s16
	v_add_co_u32 v80, s16, v8, v66
	v_add_co_ci_u32_e64 v81, null, v11, v67, s16
	s_branch .LBB2_2968
.LBB2_2965:                             ;   in Loop: Header=BB2_2968 Depth=3
	s_or_b32 exec_lo, exec_lo, s16
	v_lshrrev_b32_e32 v93, 21, v93
	v_min_i32_e32 v94, 31, v15
	v_cmp_gt_i32_e64 s16, 32, v15
	v_and_b32_sdwa v11, v11, v101 dst_sel:DWORD dst_unused:UNUSED_PAD src0_sel:BYTE_3 src1_sel:DWORD
	v_lshlrev_b32_e32 v94, 2, v94
	v_cndmask_b32_e64 v93, 3, v93, s16
	v_and_b32_e32 v94, 0xfc, v94
	v_and_b32_e32 v95, 3, v93
	v_or_b32_e32 v15, v15, v93
	v_or3_b32 v11, v11, v94, v95
	v_cmp_ne_u32_e64 s16, 0, v15
	v_lshlrev_b32_e32 v11, 8, v11
	v_cndmask_b32_e64 v15, 0, v11, s16
.LBB2_2966:                             ;   in Loop: Header=BB2_2968 Depth=3
	s_or_b32 exec_lo, exec_lo, s72
.LBB2_2967:                             ;   in Loop: Header=BB2_2968 Depth=3
	s_or_b32 exec_lo, exec_lo, s23
	v_or_b32_sdwa v9, v9, v88 dst_sel:WORD_1 dst_unused:UNUSED_PAD src0_sel:DWORD src1_sel:DWORD
	v_or_b32_sdwa v8, v8, v78 dst_sel:WORD_1 dst_unused:UNUSED_PAD src0_sel:DWORD src1_sel:DWORD
	;; [unrolled: 1-line block ×4, first 2 shown]
	v_sub_nc_u32_e32 v75, v75, v116
	v_or3_b32 v9, v79, v12, v9
	v_or3_b32 v8, v77, v76, v8
	;; [unrolled: 1-line block ×4, first 2 shown]
	v_add_co_u32 v68, s16, v68, v116
	v_add_co_ci_u32_e64 v69, null, 0, v69, s16
	v_add_co_u32 v70, s16, v70, v116
	global_store_dwordx4 v[80:81], v[8:11], off glc slc
	v_add_co_ci_u32_e64 v71, null, 0, v71, s16
	v_cmp_gt_i32_e64 s16, 16, v75
	v_add_co_u32 v80, s17, v80, v116
	v_add_co_ci_u32_e64 v81, null, 0, v81, s17
	v_sub_nc_u32_e32 v74, v74, v87
	s_or_b32 s22, s16, s22
	s_andn2_b32 exec_lo, exec_lo, s22
	s_cbranch_execz .LBB2_3350
.LBB2_2968:                             ;   Parent Loop BB2_47 Depth=1
                                        ;     Parent Loop BB2_1479 Depth=2
                                        ; =>    This Inner Loop Header: Depth=3
	global_load_dwordx4 v[12:15], v[68:69], off slc
	global_load_dwordx4 v[8:11], v[70:71], off slc
	s_mov_b32 s16, 0
	s_waitcnt vmcnt(1)
	v_cmp_gt_i16_sdwa s17, v12, v100 src0_sel:BYTE_0 src1_sel:DWORD
	s_and_saveexec_b32 s23, s17
	s_xor_b32 s17, exec_lo, s23
	s_cbranch_execz .LBB2_3286
; %bb.2969:                             ;   in Loop: Header=BB2_2968 Depth=3
	v_cmp_eq_u16_sdwa s72, v12, v101 src0_sel:BYTE_0 src1_sel:DWORD
	s_mov_b32 s16, -1
	s_and_saveexec_b32 s23, s72
; %bb.2970:                             ;   in Loop: Header=BB2_2968 Depth=3
	s_xor_b32 s16, exec_lo, -1
; %bb.2971:                             ;   in Loop: Header=BB2_2968 Depth=3
	s_or_b32 exec_lo, exec_lo, s23
	s_and_b32 s16, s16, exec_lo
	s_or_saveexec_b32 s17, s17
	v_mov_b32_e32 v76, 0x7f800001
	s_xor_b32 exec_lo, exec_lo, s17
	s_cbranch_execnz .LBB2_3287
.LBB2_2972:                             ;   in Loop: Header=BB2_2968 Depth=3
	s_or_b32 exec_lo, exec_lo, s17
	s_and_saveexec_b32 s17, s16
	s_cbranch_execz .LBB2_2974
.LBB2_2973:                             ;   in Loop: Header=BB2_2968 Depth=3
	v_and_b32_e32 v76, 3, v12
	v_bfe_u32 v79, v12, 2, 5
	v_lshlrev_b32_e32 v88, 24, v12
	v_ffbh_u32_e32 v77, v76
	v_cmp_eq_u32_e64 s16, 0, v79
	v_min_u32_e32 v77, 32, v77
	v_subrev_nc_u32_e32 v78, 29, v77
	v_sub_nc_u32_e32 v77, 30, v77
	v_lshlrev_b32_e32 v78, v78, v12
	v_cndmask_b32_e64 v77, v79, v77, s16
	v_and_b32_e32 v78, 3, v78
	v_lshl_add_u32 v77, v77, 23, 0x37800000
	v_cndmask_b32_e64 v76, v76, v78, s16
	v_and_b32_e32 v78, 0x80000000, v88
	v_lshlrev_b32_e32 v76, 21, v76
	v_or3_b32 v76, v78, v77, v76
.LBB2_2974:                             ;   in Loop: Header=BB2_2968 Depth=3
	s_or_b32 exec_lo, exec_lo, s17
	s_waitcnt vmcnt(0)
	v_cmp_gt_i16_sdwa s17, v8, v100 src0_sel:BYTE_0 src1_sel:DWORD
	s_mov_b32 s16, 0
	s_and_saveexec_b32 s23, s17
	s_xor_b32 s17, exec_lo, s23
	s_cbranch_execz .LBB2_3288
; %bb.2975:                             ;   in Loop: Header=BB2_2968 Depth=3
	v_cmp_eq_u16_sdwa s72, v8, v101 src0_sel:BYTE_0 src1_sel:DWORD
	s_mov_b32 s16, -1
	s_and_saveexec_b32 s23, s72
; %bb.2976:                             ;   in Loop: Header=BB2_2968 Depth=3
	s_xor_b32 s16, exec_lo, -1
; %bb.2977:                             ;   in Loop: Header=BB2_2968 Depth=3
	s_or_b32 exec_lo, exec_lo, s23
	s_and_b32 s16, s16, exec_lo
	s_or_saveexec_b32 s17, s17
	v_mov_b32_e32 v77, 0x7f800001
	s_xor_b32 exec_lo, exec_lo, s17
	s_cbranch_execnz .LBB2_3289
.LBB2_2978:                             ;   in Loop: Header=BB2_2968 Depth=3
	s_or_b32 exec_lo, exec_lo, s17
	s_and_saveexec_b32 s17, s16
	s_cbranch_execz .LBB2_2980
.LBB2_2979:                             ;   in Loop: Header=BB2_2968 Depth=3
	v_and_b32_e32 v77, 3, v8
	v_bfe_u32 v88, v8, 2, 5
	v_lshlrev_b32_e32 v89, 24, v8
	v_ffbh_u32_e32 v78, v77
	v_cmp_eq_u32_e64 s16, 0, v88
	v_min_u32_e32 v78, 32, v78
	v_subrev_nc_u32_e32 v79, 29, v78
	v_sub_nc_u32_e32 v78, 30, v78
	v_lshlrev_b32_e32 v79, v79, v8
	v_cndmask_b32_e64 v78, v88, v78, s16
	v_and_b32_e32 v79, 3, v79
	v_lshl_add_u32 v78, v78, 23, 0x37800000
	v_cndmask_b32_e64 v77, v77, v79, s16
	v_and_b32_e32 v79, 0x80000000, v89
	v_lshlrev_b32_e32 v77, 21, v77
	v_or3_b32 v77, v79, v78, v77
.LBB2_2980:                             ;   in Loop: Header=BB2_2968 Depth=3
	s_or_b32 exec_lo, exec_lo, s17
	v_mul_f32_e32 v77, v76, v77
	v_and_b32_e32 v76, 0x7f800000, v77
	v_cmp_ne_u32_e64 s16, 0x7f800000, v76
	v_mov_b32_e32 v76, 0x80
	s_and_saveexec_b32 s23, s16
	s_cbranch_execz .LBB2_2988
; %bb.2981:                             ;   in Loop: Header=BB2_2968 Depth=3
	v_mov_b32_e32 v76, 0
	s_mov_b32 s72, exec_lo
	v_cmpx_ne_u32_e32 0, v77
	s_cbranch_execz .LBB2_2987
; %bb.2982:                             ;   in Loop: Header=BB2_2968 Depth=3
	v_bfe_u32 v76, v77, 23, 8
	v_and_b32_e32 v78, 0x7fffff, v77
	v_sub_nc_u32_e32 v79, 0x70, v76
	v_cmp_gt_u32_e64 s16, 0x71, v76
	v_or_b32_e32 v88, 0x800000, v78
	v_cndmask_b32_e64 v79, 0, v79, s16
	v_cmp_eq_u32_e64 s16, 0, v76
	v_add_nc_u32_e32 v76, 0xffffff91, v76
	v_cndmask_b32_e64 v79, v79, 0x6f, s16
	v_cndmask_b32_e64 v78, v88, v78, s16
	;; [unrolled: 1-line block ×3, first 2 shown]
	v_lshl_add_u32 v88, 0x200000, v79, -1
	v_lshrrev_b32_e32 v89, v79, v78
	v_lshlrev_b32_e64 v91, v79, 0x100000
	v_add_nc_u32_e32 v79, v79, v76
	v_and_b32_e32 v78, v88, v78
	v_bfe_u32 v90, v89, 21, 1
	v_cmp_eq_u32_e64 s17, v78, v91
	v_add_nc_u32_e32 v88, -1, v90
	v_cndmask_b32_e64 v78, 0, v88, s17
	v_lshrrev_b32_e32 v88, 23, v89
	s_mov_b32 s17, exec_lo
	v_add_nc_u32_e32 v78, v78, v89
	v_xor_b32_e32 v88, 1, v88
	v_and_b32_e32 v76, 0x1fffff, v78
	v_add_nc_u32_e32 v78, v76, v89
                                        ; implicit-def: $vgpr76
	v_cmpx_ne_u32_e64 v79, v88
	s_xor_b32 s17, exec_lo, s17
; %bb.2983:                             ;   in Loop: Header=BB2_2968 Depth=3
	v_cmp_lt_u32_e64 s16, 0xffffff, v78
	v_sub_nc_u32_e32 v76, v79, v88
	v_cndmask_b32_e64 v79, 0, 1, s16
	v_add_co_ci_u32_e64 v76, null, 0, v76, s16
	v_lshrrev_b32_e32 v78, v79, v78
; %bb.2984:                             ;   in Loop: Header=BB2_2968 Depth=3
	s_andn2_saveexec_b32 s16, s17
; %bb.2985:                             ;   in Loop: Header=BB2_2968 Depth=3
	v_bfe_u32 v76, v78, 23, 1
; %bb.2986:                             ;   in Loop: Header=BB2_2968 Depth=3
	s_or_b32 exec_lo, exec_lo, s16
	v_lshrrev_b32_e32 v78, 21, v78
	v_min_i32_e32 v79, 31, v76
	v_cmp_gt_i32_e64 s16, 32, v76
	v_and_b32_sdwa v77, v77, v101 dst_sel:DWORD dst_unused:UNUSED_PAD src0_sel:BYTE_3 src1_sel:DWORD
	v_lshlrev_b32_e32 v79, 2, v79
	v_cndmask_b32_e64 v78, 3, v78, s16
	v_and_b32_e32 v79, 0xfc, v79
	v_and_b32_e32 v88, 3, v78
	v_or_b32_e32 v76, v76, v78
	v_or3_b32 v77, v79, v77, v88
	v_cmp_ne_u32_e64 s16, 0, v76
	v_cndmask_b32_e64 v76, 0, v77, s16
.LBB2_2987:                             ;   in Loop: Header=BB2_2968 Depth=3
	s_or_b32 exec_lo, exec_lo, s72
.LBB2_2988:                             ;   in Loop: Header=BB2_2968 Depth=3
	s_or_b32 exec_lo, exec_lo, s23
	v_cmp_gt_i16_sdwa s17, v12, v100 src0_sel:BYTE_1 src1_sel:DWORD
	s_mov_b32 s16, 0
	s_and_saveexec_b32 s23, s17
	s_xor_b32 s17, exec_lo, s23
	s_cbranch_execz .LBB2_3290
; %bb.2989:                             ;   in Loop: Header=BB2_2968 Depth=3
	v_cmp_eq_u16_sdwa s72, v12, v101 src0_sel:BYTE_1 src1_sel:DWORD
	s_mov_b32 s16, -1
	s_and_saveexec_b32 s23, s72
; %bb.2990:                             ;   in Loop: Header=BB2_2968 Depth=3
	s_xor_b32 s16, exec_lo, -1
; %bb.2991:                             ;   in Loop: Header=BB2_2968 Depth=3
	s_or_b32 exec_lo, exec_lo, s23
	s_and_b32 s16, s16, exec_lo
	s_or_saveexec_b32 s17, s17
	v_mov_b32_e32 v77, 0x7f800001
	s_xor_b32 exec_lo, exec_lo, s17
	s_cbranch_execnz .LBB2_3291
.LBB2_2992:                             ;   in Loop: Header=BB2_2968 Depth=3
	s_or_b32 exec_lo, exec_lo, s17
	s_and_saveexec_b32 s17, s16
	s_cbranch_execz .LBB2_2994
.LBB2_2993:                             ;   in Loop: Header=BB2_2968 Depth=3
	v_and_b32_sdwa v77, v102, v12 dst_sel:DWORD dst_unused:UNUSED_PAD src0_sel:DWORD src1_sel:BYTE_1
	v_and_b32_e32 v78, 3, v77
	v_bfe_u32 v89, v77, 2, 5
	v_ffbh_u32_e32 v79, v78
	v_cmp_eq_u32_e64 s16, 0, v89
	v_min_u32_e32 v79, 32, v79
	v_subrev_nc_u32_e32 v88, 29, v79
	v_sub_nc_u32_e32 v79, 30, v79
	v_lshlrev_b32_e32 v77, v88, v77
	v_lshlrev_b32_sdwa v88, v103, v12 dst_sel:DWORD dst_unused:UNUSED_PAD src0_sel:DWORD src1_sel:BYTE_1
	v_cndmask_b32_e64 v79, v89, v79, s16
	v_and_b32_e32 v77, 3, v77
	v_lshl_add_u32 v79, v79, 23, 0x37800000
	v_cndmask_b32_e64 v77, v78, v77, s16
	v_and_b32_e32 v78, 0x80000000, v88
	v_lshlrev_b32_e32 v77, 21, v77
	v_or3_b32 v77, v78, v79, v77
.LBB2_2994:                             ;   in Loop: Header=BB2_2968 Depth=3
	s_or_b32 exec_lo, exec_lo, s17
	v_cmp_gt_i16_sdwa s17, v8, v100 src0_sel:BYTE_1 src1_sel:DWORD
	s_mov_b32 s16, 0
	s_and_saveexec_b32 s23, s17
	s_xor_b32 s17, exec_lo, s23
	s_cbranch_execz .LBB2_3292
; %bb.2995:                             ;   in Loop: Header=BB2_2968 Depth=3
	v_cmp_eq_u16_sdwa s72, v8, v101 src0_sel:BYTE_1 src1_sel:DWORD
	s_mov_b32 s16, -1
	s_and_saveexec_b32 s23, s72
; %bb.2996:                             ;   in Loop: Header=BB2_2968 Depth=3
	s_xor_b32 s16, exec_lo, -1
; %bb.2997:                             ;   in Loop: Header=BB2_2968 Depth=3
	s_or_b32 exec_lo, exec_lo, s23
	s_and_b32 s16, s16, exec_lo
	s_or_saveexec_b32 s17, s17
	v_mov_b32_e32 v78, 0x7f800001
	s_xor_b32 exec_lo, exec_lo, s17
	s_cbranch_execnz .LBB2_3293
.LBB2_2998:                             ;   in Loop: Header=BB2_2968 Depth=3
	s_or_b32 exec_lo, exec_lo, s17
	s_and_saveexec_b32 s17, s16
	s_cbranch_execz .LBB2_3000
.LBB2_2999:                             ;   in Loop: Header=BB2_2968 Depth=3
	v_and_b32_sdwa v78, v102, v8 dst_sel:DWORD dst_unused:UNUSED_PAD src0_sel:DWORD src1_sel:BYTE_1
	v_and_b32_e32 v79, 3, v78
	v_bfe_u32 v90, v78, 2, 5
	v_ffbh_u32_e32 v88, v79
	v_cmp_eq_u32_e64 s16, 0, v90
	v_min_u32_e32 v88, 32, v88
	v_subrev_nc_u32_e32 v89, 29, v88
	v_sub_nc_u32_e32 v88, 30, v88
	v_lshlrev_b32_e32 v78, v89, v78
	v_lshlrev_b32_sdwa v89, v103, v8 dst_sel:DWORD dst_unused:UNUSED_PAD src0_sel:DWORD src1_sel:BYTE_1
	v_cndmask_b32_e64 v88, v90, v88, s16
	v_and_b32_e32 v78, 3, v78
	v_lshl_add_u32 v88, v88, 23, 0x37800000
	v_cndmask_b32_e64 v78, v79, v78, s16
	v_and_b32_e32 v79, 0x80000000, v89
	v_lshlrev_b32_e32 v78, 21, v78
	v_or3_b32 v78, v79, v88, v78
.LBB2_3000:                             ;   in Loop: Header=BB2_2968 Depth=3
	s_or_b32 exec_lo, exec_lo, s17
	v_mul_f32_e32 v78, v77, v78
	v_and_b32_e32 v77, 0x7f800000, v78
	v_cmp_ne_u32_e64 s16, 0x7f800000, v77
	v_mov_b32_e32 v77, 0x8000
	s_and_saveexec_b32 s23, s16
	s_cbranch_execz .LBB2_3008
; %bb.3001:                             ;   in Loop: Header=BB2_2968 Depth=3
	v_mov_b32_e32 v77, 0
	s_mov_b32 s72, exec_lo
	v_cmpx_ne_u32_e32 0, v78
	s_cbranch_execz .LBB2_3007
; %bb.3002:                             ;   in Loop: Header=BB2_2968 Depth=3
	v_bfe_u32 v77, v78, 23, 8
	v_and_b32_e32 v79, 0x7fffff, v78
	v_sub_nc_u32_e32 v88, 0x70, v77
	v_cmp_gt_u32_e64 s16, 0x71, v77
	v_or_b32_e32 v89, 0x800000, v79
	v_cndmask_b32_e64 v88, 0, v88, s16
	v_cmp_eq_u32_e64 s16, 0, v77
	v_add_nc_u32_e32 v77, 0xffffff91, v77
	v_cndmask_b32_e64 v88, v88, 0x6f, s16
	v_cndmask_b32_e64 v79, v89, v79, s16
	;; [unrolled: 1-line block ×3, first 2 shown]
	v_lshl_add_u32 v89, 0x200000, v88, -1
	v_lshrrev_b32_e32 v90, v88, v79
	v_lshlrev_b32_e64 v92, v88, 0x100000
	v_add_nc_u32_e32 v88, v88, v77
	v_and_b32_e32 v79, v89, v79
	v_bfe_u32 v91, v90, 21, 1
	v_cmp_eq_u32_e64 s17, v79, v92
	v_add_nc_u32_e32 v89, -1, v91
	v_cndmask_b32_e64 v79, 0, v89, s17
	v_lshrrev_b32_e32 v89, 23, v90
	s_mov_b32 s17, exec_lo
	v_add_nc_u32_e32 v79, v79, v90
	v_xor_b32_e32 v89, 1, v89
	v_and_b32_e32 v77, 0x1fffff, v79
	v_add_nc_u32_e32 v79, v77, v90
                                        ; implicit-def: $vgpr77
	v_cmpx_ne_u32_e64 v88, v89
	s_xor_b32 s17, exec_lo, s17
; %bb.3003:                             ;   in Loop: Header=BB2_2968 Depth=3
	v_cmp_lt_u32_e64 s16, 0xffffff, v79
	v_sub_nc_u32_e32 v77, v88, v89
	v_cndmask_b32_e64 v88, 0, 1, s16
	v_add_co_ci_u32_e64 v77, null, 0, v77, s16
	v_lshrrev_b32_e32 v79, v88, v79
; %bb.3004:                             ;   in Loop: Header=BB2_2968 Depth=3
	s_andn2_saveexec_b32 s16, s17
; %bb.3005:                             ;   in Loop: Header=BB2_2968 Depth=3
	v_bfe_u32 v77, v79, 23, 1
; %bb.3006:                             ;   in Loop: Header=BB2_2968 Depth=3
	s_or_b32 exec_lo, exec_lo, s16
	v_lshrrev_b32_e32 v79, 21, v79
	v_min_i32_e32 v88, 31, v77
	v_cmp_gt_i32_e64 s16, 32, v77
	v_and_b32_sdwa v78, v78, v101 dst_sel:DWORD dst_unused:UNUSED_PAD src0_sel:BYTE_3 src1_sel:DWORD
	v_lshlrev_b32_e32 v88, 2, v88
	v_cndmask_b32_e64 v79, 3, v79, s16
	v_and_b32_e32 v88, 0xfc, v88
	v_and_b32_e32 v89, 3, v79
	v_or_b32_e32 v77, v77, v79
	v_or3_b32 v78, v78, v88, v89
	v_cmp_ne_u32_e64 s16, 0, v77
	v_lshlrev_b32_e32 v78, 8, v78
	v_cndmask_b32_e64 v77, 0, v78, s16
.LBB2_3007:                             ;   in Loop: Header=BB2_2968 Depth=3
	s_or_b32 exec_lo, exec_lo, s72
.LBB2_3008:                             ;   in Loop: Header=BB2_2968 Depth=3
	s_or_b32 exec_lo, exec_lo, s23
	v_and_b32_sdwa v79, v12, v112 dst_sel:DWORD dst_unused:UNUSED_PAD src0_sel:WORD_1 src1_sel:DWORD
	s_mov_b32 s17, 0
	s_mov_b32 s23, exec_lo
	v_cmpx_lt_i16_e32 0x7f, v79
	s_xor_b32 s23, exec_lo, s23
	s_cbranch_execz .LBB2_3294
; %bb.3009:                             ;   in Loop: Header=BB2_2968 Depth=3
	s_mov_b32 s17, -1
	s_mov_b32 s72, exec_lo
	v_cmpx_eq_u16_e32 0x80, v79
; %bb.3010:                             ;   in Loop: Header=BB2_2968 Depth=3
	s_xor_b32 s17, exec_lo, -1
; %bb.3011:                             ;   in Loop: Header=BB2_2968 Depth=3
	s_or_b32 exec_lo, exec_lo, s72
	s_and_b32 s17, s17, exec_lo
                                        ; implicit-def: $vgpr79
	s_or_saveexec_b32 s23, s23
	v_mov_b32_e32 v78, 0x7f800001
	s_xor_b32 exec_lo, exec_lo, s23
	s_cbranch_execnz .LBB2_3295
.LBB2_3012:                             ;   in Loop: Header=BB2_2968 Depth=3
	s_or_b32 exec_lo, exec_lo, s23
	s_and_saveexec_b32 s23, s17
	s_cbranch_execz .LBB2_3014
.LBB2_3013:                             ;   in Loop: Header=BB2_2968 Depth=3
	v_bfe_u32 v78, v12, 16, 2
	v_bfe_u32 v89, v12, 18, 5
	v_lshlrev_b32_e32 v90, 8, v12
	v_ffbh_u32_e32 v79, v78
	v_cmp_eq_u32_e64 s16, 0, v89
	v_min_u32_e32 v79, 32, v79
	v_subrev_nc_u32_e32 v88, 29, v79
	v_sub_nc_u32_e32 v79, 30, v79
	v_lshlrev_b32_sdwa v88, v88, v12 dst_sel:DWORD dst_unused:UNUSED_PAD src0_sel:DWORD src1_sel:WORD_1
	v_cndmask_b32_e64 v79, v89, v79, s16
	v_and_b32_e32 v88, 3, v88
	v_lshl_add_u32 v79, v79, 23, 0x37800000
	v_cndmask_b32_e64 v78, v78, v88, s16
	v_and_b32_e32 v88, 0x80000000, v90
	v_lshlrev_b32_e32 v78, 21, v78
	v_or3_b32 v78, v88, v79, v78
.LBB2_3014:                             ;   in Loop: Header=BB2_2968 Depth=3
	s_or_b32 exec_lo, exec_lo, s23
	v_and_b32_sdwa v88, v8, v112 dst_sel:DWORD dst_unused:UNUSED_PAD src0_sel:WORD_1 src1_sel:DWORD
	s_mov_b32 s17, 0
	s_mov_b32 s23, exec_lo
	v_cmpx_lt_i16_e32 0x7f, v88
	s_xor_b32 s23, exec_lo, s23
	s_cbranch_execz .LBB2_3296
; %bb.3015:                             ;   in Loop: Header=BB2_2968 Depth=3
	s_mov_b32 s17, -1
	s_mov_b32 s72, exec_lo
	v_cmpx_eq_u16_e32 0x80, v88
; %bb.3016:                             ;   in Loop: Header=BB2_2968 Depth=3
	s_xor_b32 s17, exec_lo, -1
; %bb.3017:                             ;   in Loop: Header=BB2_2968 Depth=3
	s_or_b32 exec_lo, exec_lo, s72
	s_and_b32 s17, s17, exec_lo
                                        ; implicit-def: $vgpr88
	s_or_saveexec_b32 s23, s23
	v_mov_b32_e32 v79, 0x7f800001
	s_xor_b32 exec_lo, exec_lo, s23
	s_cbranch_execnz .LBB2_3297
.LBB2_3018:                             ;   in Loop: Header=BB2_2968 Depth=3
	s_or_b32 exec_lo, exec_lo, s23
	s_and_saveexec_b32 s23, s17
	s_cbranch_execz .LBB2_3020
.LBB2_3019:                             ;   in Loop: Header=BB2_2968 Depth=3
	v_and_b32_sdwa v79, v8, v113 dst_sel:DWORD dst_unused:UNUSED_PAD src0_sel:WORD_1 src1_sel:DWORD
	v_bfe_u32 v90, v8, 18, 5
	v_lshlrev_b32_sdwa v91, v103, v8 dst_sel:DWORD dst_unused:UNUSED_PAD src0_sel:DWORD src1_sel:WORD_1
	v_ffbh_u32_e32 v88, v79
	v_cmp_eq_u32_e64 s16, 0, v90
	v_min_u32_e32 v88, 32, v88
	v_subrev_nc_u32_e32 v89, 29, v88
	v_sub_nc_u32_e32 v88, 30, v88
	v_lshlrev_b32_sdwa v89, v89, v8 dst_sel:DWORD dst_unused:UNUSED_PAD src0_sel:DWORD src1_sel:WORD_1
	v_cndmask_b32_e64 v88, v90, v88, s16
	v_and_b32_e32 v89, 3, v89
	v_lshl_add_u32 v88, v88, 23, 0x37800000
	v_cndmask_b32_e64 v79, v79, v89, s16
	v_and_b32_e32 v89, 0x80000000, v91
	v_lshlrev_b32_e32 v79, 21, v79
	v_or3_b32 v79, v89, v88, v79
.LBB2_3020:                             ;   in Loop: Header=BB2_2968 Depth=3
	s_or_b32 exec_lo, exec_lo, s23
	v_mul_f32_e32 v79, v78, v79
	v_and_b32_e32 v78, 0x7f800000, v79
	v_cmp_ne_u32_e64 s16, 0x7f800000, v78
	v_mov_b32_e32 v78, 0x80
	s_and_saveexec_b32 s23, s16
	s_cbranch_execz .LBB2_3028
; %bb.3021:                             ;   in Loop: Header=BB2_2968 Depth=3
	v_mov_b32_e32 v78, 0
	s_mov_b32 s72, exec_lo
	v_cmpx_ne_u32_e32 0, v79
	s_cbranch_execz .LBB2_3027
; %bb.3022:                             ;   in Loop: Header=BB2_2968 Depth=3
	v_bfe_u32 v78, v79, 23, 8
	v_and_b32_e32 v88, 0x7fffff, v79
	v_sub_nc_u32_e32 v89, 0x70, v78
	v_cmp_gt_u32_e64 s16, 0x71, v78
	v_or_b32_e32 v90, 0x800000, v88
	v_cndmask_b32_e64 v89, 0, v89, s16
	v_cmp_eq_u32_e64 s16, 0, v78
	v_add_nc_u32_e32 v78, 0xffffff91, v78
	v_cndmask_b32_e64 v89, v89, 0x6f, s16
	v_cndmask_b32_e64 v88, v90, v88, s16
	v_cndmask_b32_e64 v78, v78, 0xffffff92, s16
	v_lshl_add_u32 v90, 0x200000, v89, -1
	v_lshrrev_b32_e32 v91, v89, v88
	v_lshlrev_b32_e64 v93, v89, 0x100000
	v_add_nc_u32_e32 v89, v89, v78
	v_and_b32_e32 v88, v90, v88
	v_bfe_u32 v92, v91, 21, 1
	v_cmp_eq_u32_e64 s17, v88, v93
	v_add_nc_u32_e32 v90, -1, v92
	v_cndmask_b32_e64 v88, 0, v90, s17
	v_lshrrev_b32_e32 v90, 23, v91
	s_mov_b32 s17, exec_lo
	v_add_nc_u32_e32 v88, v88, v91
	v_xor_b32_e32 v90, 1, v90
	v_and_b32_e32 v78, 0x1fffff, v88
	v_add_nc_u32_e32 v88, v78, v91
                                        ; implicit-def: $vgpr78
	v_cmpx_ne_u32_e64 v89, v90
	s_xor_b32 s17, exec_lo, s17
; %bb.3023:                             ;   in Loop: Header=BB2_2968 Depth=3
	v_cmp_lt_u32_e64 s16, 0xffffff, v88
	v_sub_nc_u32_e32 v78, v89, v90
	v_cndmask_b32_e64 v89, 0, 1, s16
	v_add_co_ci_u32_e64 v78, null, 0, v78, s16
	v_lshrrev_b32_e32 v88, v89, v88
; %bb.3024:                             ;   in Loop: Header=BB2_2968 Depth=3
	s_andn2_saveexec_b32 s16, s17
; %bb.3025:                             ;   in Loop: Header=BB2_2968 Depth=3
	v_bfe_u32 v78, v88, 23, 1
; %bb.3026:                             ;   in Loop: Header=BB2_2968 Depth=3
	s_or_b32 exec_lo, exec_lo, s16
	v_lshrrev_b32_e32 v88, 21, v88
	v_min_i32_e32 v89, 31, v78
	v_cmp_gt_i32_e64 s16, 32, v78
	v_and_b32_sdwa v79, v79, v101 dst_sel:DWORD dst_unused:UNUSED_PAD src0_sel:BYTE_3 src1_sel:DWORD
	v_lshlrev_b32_e32 v89, 2, v89
	v_cndmask_b32_e64 v88, 3, v88, s16
	v_and_b32_e32 v89, 0xfc, v89
	v_and_b32_e32 v90, 3, v88
	v_or_b32_e32 v78, v78, v88
	v_or3_b32 v79, v89, v79, v90
	v_cmp_ne_u32_e64 s16, 0, v78
	v_cndmask_b32_e64 v78, 0, v79, s16
.LBB2_3027:                             ;   in Loop: Header=BB2_2968 Depth=3
	s_or_b32 exec_lo, exec_lo, s72
.LBB2_3028:                             ;   in Loop: Header=BB2_2968 Depth=3
	s_or_b32 exec_lo, exec_lo, s23
	v_cmp_gt_i16_sdwa s17, v12, v100 src0_sel:BYTE_3 src1_sel:DWORD
	s_mov_b32 s16, 0
	s_and_saveexec_b32 s23, s17
	s_xor_b32 s17, exec_lo, s23
	s_cbranch_execz .LBB2_3298
; %bb.3029:                             ;   in Loop: Header=BB2_2968 Depth=3
	v_cmp_eq_u16_sdwa s72, v12, v101 src0_sel:BYTE_3 src1_sel:DWORD
	s_mov_b32 s16, -1
	s_and_saveexec_b32 s23, s72
; %bb.3030:                             ;   in Loop: Header=BB2_2968 Depth=3
	s_xor_b32 s16, exec_lo, -1
; %bb.3031:                             ;   in Loop: Header=BB2_2968 Depth=3
	s_or_b32 exec_lo, exec_lo, s23
	s_and_b32 s16, s16, exec_lo
	s_or_saveexec_b32 s17, s17
	v_mov_b32_e32 v79, 0x7f800001
	s_xor_b32 exec_lo, exec_lo, s17
	s_cbranch_execnz .LBB2_3299
.LBB2_3032:                             ;   in Loop: Header=BB2_2968 Depth=3
	s_or_b32 exec_lo, exec_lo, s17
	s_and_saveexec_b32 s17, s16
	s_cbranch_execz .LBB2_3034
.LBB2_3033:                             ;   in Loop: Header=BB2_2968 Depth=3
	v_bfe_u32 v79, v12, 24, 2
	v_bfe_u32 v90, v12, 26, 5
	v_ffbh_u32_e32 v88, v79
	v_cmp_eq_u32_e64 s16, 0, v90
	v_min_u32_e32 v88, 32, v88
	v_subrev_nc_u32_e32 v89, 29, v88
	v_sub_nc_u32_e32 v88, 30, v88
	v_lshlrev_b32_sdwa v89, v89, v12 dst_sel:DWORD dst_unused:UNUSED_PAD src0_sel:DWORD src1_sel:BYTE_3
	v_cndmask_b32_e64 v88, v90, v88, s16
	v_and_b32_e32 v12, 0x80000000, v12
	v_and_b32_e32 v89, 3, v89
	v_lshl_add_u32 v88, v88, 23, 0x37800000
	v_cndmask_b32_e64 v79, v79, v89, s16
	v_lshlrev_b32_e32 v79, 21, v79
	v_or3_b32 v79, v12, v88, v79
.LBB2_3034:                             ;   in Loop: Header=BB2_2968 Depth=3
	s_or_b32 exec_lo, exec_lo, s17
	v_cmp_gt_i16_sdwa s17, v8, v100 src0_sel:BYTE_3 src1_sel:DWORD
	s_mov_b32 s16, 0
	s_and_saveexec_b32 s23, s17
	s_xor_b32 s17, exec_lo, s23
	s_cbranch_execz .LBB2_3300
; %bb.3035:                             ;   in Loop: Header=BB2_2968 Depth=3
	v_cmp_eq_u16_sdwa s72, v8, v101 src0_sel:BYTE_3 src1_sel:DWORD
	s_mov_b32 s16, -1
	s_and_saveexec_b32 s23, s72
; %bb.3036:                             ;   in Loop: Header=BB2_2968 Depth=3
	s_xor_b32 s16, exec_lo, -1
; %bb.3037:                             ;   in Loop: Header=BB2_2968 Depth=3
	s_or_b32 exec_lo, exec_lo, s23
	s_and_b32 s16, s16, exec_lo
	s_or_saveexec_b32 s17, s17
	v_mov_b32_e32 v12, 0x7f800001
	s_xor_b32 exec_lo, exec_lo, s17
	s_cbranch_execnz .LBB2_3301
.LBB2_3038:                             ;   in Loop: Header=BB2_2968 Depth=3
	s_or_b32 exec_lo, exec_lo, s17
	s_and_saveexec_b32 s17, s16
	s_cbranch_execz .LBB2_3040
.LBB2_3039:                             ;   in Loop: Header=BB2_2968 Depth=3
	v_and_b32_sdwa v12, v8, v113 dst_sel:DWORD dst_unused:UNUSED_PAD src0_sel:BYTE_3 src1_sel:DWORD
	v_bfe_u32 v90, v8, 26, 5
	v_ffbh_u32_e32 v88, v12
	v_cmp_eq_u32_e64 s16, 0, v90
	v_min_u32_e32 v88, 32, v88
	v_subrev_nc_u32_e32 v89, 29, v88
	v_sub_nc_u32_e32 v88, 30, v88
	v_lshlrev_b32_sdwa v89, v89, v8 dst_sel:DWORD dst_unused:UNUSED_PAD src0_sel:DWORD src1_sel:BYTE_3
	v_cndmask_b32_e64 v88, v90, v88, s16
	v_and_b32_e32 v8, 0x80000000, v8
	v_and_b32_e32 v89, 3, v89
	v_lshl_add_u32 v88, v88, 23, 0x37800000
	v_cndmask_b32_e64 v12, v12, v89, s16
	v_lshlrev_b32_e32 v12, 21, v12
	v_or3_b32 v12, v8, v88, v12
.LBB2_3040:                             ;   in Loop: Header=BB2_2968 Depth=3
	s_or_b32 exec_lo, exec_lo, s17
	v_mul_f32_e32 v12, v79, v12
	v_and_b32_e32 v8, 0x7f800000, v12
	v_cmp_ne_u32_e64 s16, 0x7f800000, v8
	v_mov_b32_e32 v8, 0x8000
	s_and_saveexec_b32 s23, s16
	s_cbranch_execz .LBB2_3048
; %bb.3041:                             ;   in Loop: Header=BB2_2968 Depth=3
	v_mov_b32_e32 v8, 0
	s_mov_b32 s72, exec_lo
	v_cmpx_ne_u32_e32 0, v12
	s_cbranch_execz .LBB2_3047
; %bb.3042:                             ;   in Loop: Header=BB2_2968 Depth=3
	v_bfe_u32 v8, v12, 23, 8
	v_and_b32_e32 v79, 0x7fffff, v12
	v_sub_nc_u32_e32 v88, 0x70, v8
	v_cmp_gt_u32_e64 s16, 0x71, v8
	v_or_b32_e32 v89, 0x800000, v79
	v_cndmask_b32_e64 v88, 0, v88, s16
	v_cmp_eq_u32_e64 s16, 0, v8
	v_add_nc_u32_e32 v8, 0xffffff91, v8
	v_cndmask_b32_e64 v88, v88, 0x6f, s16
	v_cndmask_b32_e64 v79, v89, v79, s16
	;; [unrolled: 1-line block ×3, first 2 shown]
	v_lshl_add_u32 v89, 0x200000, v88, -1
	v_lshrrev_b32_e32 v90, v88, v79
	v_lshlrev_b32_e64 v92, v88, 0x100000
	v_add_nc_u32_e32 v88, v88, v8
	v_and_b32_e32 v79, v89, v79
	v_bfe_u32 v91, v90, 21, 1
	v_cmp_eq_u32_e64 s17, v79, v92
	v_add_nc_u32_e32 v89, -1, v91
	v_cndmask_b32_e64 v79, 0, v89, s17
	v_lshrrev_b32_e32 v89, 23, v90
	s_mov_b32 s17, exec_lo
	v_add_nc_u32_e32 v79, v79, v90
	v_xor_b32_e32 v89, 1, v89
	v_and_b32_e32 v8, 0x1fffff, v79
	v_add_nc_u32_e32 v79, v8, v90
                                        ; implicit-def: $vgpr8
	v_cmpx_ne_u32_e64 v88, v89
	s_xor_b32 s17, exec_lo, s17
; %bb.3043:                             ;   in Loop: Header=BB2_2968 Depth=3
	v_cmp_lt_u32_e64 s16, 0xffffff, v79
	v_sub_nc_u32_e32 v8, v88, v89
	v_cndmask_b32_e64 v88, 0, 1, s16
	v_add_co_ci_u32_e64 v8, null, 0, v8, s16
	v_lshrrev_b32_e32 v79, v88, v79
; %bb.3044:                             ;   in Loop: Header=BB2_2968 Depth=3
	s_andn2_saveexec_b32 s16, s17
; %bb.3045:                             ;   in Loop: Header=BB2_2968 Depth=3
	v_bfe_u32 v8, v79, 23, 1
; %bb.3046:                             ;   in Loop: Header=BB2_2968 Depth=3
	s_or_b32 exec_lo, exec_lo, s16
	v_lshrrev_b32_e32 v79, 21, v79
	v_min_i32_e32 v88, 31, v8
	v_cmp_gt_i32_e64 s16, 32, v8
	v_and_b32_sdwa v12, v12, v101 dst_sel:DWORD dst_unused:UNUSED_PAD src0_sel:BYTE_3 src1_sel:DWORD
	v_lshlrev_b32_e32 v88, 2, v88
	v_cndmask_b32_e64 v79, 3, v79, s16
	v_and_b32_e32 v88, 0xfc, v88
	v_and_b32_e32 v89, 3, v79
	v_or_b32_e32 v8, v8, v79
	v_or3_b32 v12, v12, v88, v89
	v_cmp_ne_u32_e64 s16, 0, v8
	v_lshlrev_b32_e32 v12, 8, v12
	v_cndmask_b32_e64 v8, 0, v12, s16
.LBB2_3047:                             ;   in Loop: Header=BB2_2968 Depth=3
	s_or_b32 exec_lo, exec_lo, s72
.LBB2_3048:                             ;   in Loop: Header=BB2_2968 Depth=3
	s_or_b32 exec_lo, exec_lo, s23
	v_cmp_gt_i16_sdwa s17, v13, v100 src0_sel:BYTE_0 src1_sel:DWORD
	s_mov_b32 s16, 0
	s_and_saveexec_b32 s23, s17
	s_xor_b32 s17, exec_lo, s23
	s_cbranch_execz .LBB2_3302
; %bb.3049:                             ;   in Loop: Header=BB2_2968 Depth=3
	v_cmp_eq_u16_sdwa s72, v13, v101 src0_sel:BYTE_0 src1_sel:DWORD
	s_mov_b32 s16, -1
	s_and_saveexec_b32 s23, s72
; %bb.3050:                             ;   in Loop: Header=BB2_2968 Depth=3
	s_xor_b32 s16, exec_lo, -1
; %bb.3051:                             ;   in Loop: Header=BB2_2968 Depth=3
	s_or_b32 exec_lo, exec_lo, s23
	s_and_b32 s16, s16, exec_lo
	s_or_saveexec_b32 s17, s17
	v_mov_b32_e32 v12, 0x7f800001
	s_xor_b32 exec_lo, exec_lo, s17
	s_cbranch_execnz .LBB2_3303
.LBB2_3052:                             ;   in Loop: Header=BB2_2968 Depth=3
	s_or_b32 exec_lo, exec_lo, s17
	s_and_saveexec_b32 s17, s16
	s_cbranch_execz .LBB2_3054
.LBB2_3053:                             ;   in Loop: Header=BB2_2968 Depth=3
	v_and_b32_e32 v12, 3, v13
	v_bfe_u32 v89, v13, 2, 5
	v_lshlrev_b32_e32 v90, 24, v13
	v_ffbh_u32_e32 v79, v12
	v_cmp_eq_u32_e64 s16, 0, v89
	v_min_u32_e32 v79, 32, v79
	v_subrev_nc_u32_e32 v88, 29, v79
	v_sub_nc_u32_e32 v79, 30, v79
	v_lshlrev_b32_e32 v88, v88, v13
	v_cndmask_b32_e64 v79, v89, v79, s16
	v_and_b32_e32 v88, 3, v88
	v_lshl_add_u32 v79, v79, 23, 0x37800000
	v_cndmask_b32_e64 v12, v12, v88, s16
	v_and_b32_e32 v88, 0x80000000, v90
	v_lshlrev_b32_e32 v12, 21, v12
	v_or3_b32 v12, v88, v79, v12
.LBB2_3054:                             ;   in Loop: Header=BB2_2968 Depth=3
	s_or_b32 exec_lo, exec_lo, s17
	v_cmp_gt_i16_sdwa s17, v9, v100 src0_sel:BYTE_0 src1_sel:DWORD
	s_mov_b32 s16, 0
	s_and_saveexec_b32 s23, s17
	s_xor_b32 s17, exec_lo, s23
	s_cbranch_execz .LBB2_3304
; %bb.3055:                             ;   in Loop: Header=BB2_2968 Depth=3
	v_cmp_eq_u16_sdwa s72, v9, v101 src0_sel:BYTE_0 src1_sel:DWORD
	s_mov_b32 s16, -1
	s_and_saveexec_b32 s23, s72
; %bb.3056:                             ;   in Loop: Header=BB2_2968 Depth=3
	s_xor_b32 s16, exec_lo, -1
; %bb.3057:                             ;   in Loop: Header=BB2_2968 Depth=3
	s_or_b32 exec_lo, exec_lo, s23
	s_and_b32 s16, s16, exec_lo
	s_or_saveexec_b32 s17, s17
	v_mov_b32_e32 v79, 0x7f800001
	s_xor_b32 exec_lo, exec_lo, s17
	s_cbranch_execnz .LBB2_3305
.LBB2_3058:                             ;   in Loop: Header=BB2_2968 Depth=3
	s_or_b32 exec_lo, exec_lo, s17
	s_and_saveexec_b32 s17, s16
	s_cbranch_execz .LBB2_3060
.LBB2_3059:                             ;   in Loop: Header=BB2_2968 Depth=3
	v_and_b32_e32 v79, 3, v9
	v_bfe_u32 v90, v9, 2, 5
	v_lshlrev_b32_e32 v91, 24, v9
	v_ffbh_u32_e32 v88, v79
	v_cmp_eq_u32_e64 s16, 0, v90
	v_min_u32_e32 v88, 32, v88
	v_subrev_nc_u32_e32 v89, 29, v88
	v_sub_nc_u32_e32 v88, 30, v88
	v_lshlrev_b32_e32 v89, v89, v9
	v_cndmask_b32_e64 v88, v90, v88, s16
	v_and_b32_e32 v89, 3, v89
	v_lshl_add_u32 v88, v88, 23, 0x37800000
	v_cndmask_b32_e64 v79, v79, v89, s16
	v_and_b32_e32 v89, 0x80000000, v91
	v_lshlrev_b32_e32 v79, 21, v79
	v_or3_b32 v79, v89, v88, v79
.LBB2_3060:                             ;   in Loop: Header=BB2_2968 Depth=3
	s_or_b32 exec_lo, exec_lo, s17
	v_mul_f32_e32 v79, v12, v79
	v_and_b32_e32 v12, 0x7f800000, v79
	v_cmp_ne_u32_e64 s16, 0x7f800000, v12
	v_mov_b32_e32 v12, 0x80
	s_and_saveexec_b32 s23, s16
	s_cbranch_execz .LBB2_3068
; %bb.3061:                             ;   in Loop: Header=BB2_2968 Depth=3
	v_mov_b32_e32 v12, 0
	s_mov_b32 s72, exec_lo
	v_cmpx_ne_u32_e32 0, v79
	s_cbranch_execz .LBB2_3067
; %bb.3062:                             ;   in Loop: Header=BB2_2968 Depth=3
	v_bfe_u32 v12, v79, 23, 8
	v_and_b32_e32 v88, 0x7fffff, v79
	v_sub_nc_u32_e32 v89, 0x70, v12
	v_cmp_gt_u32_e64 s16, 0x71, v12
	v_or_b32_e32 v90, 0x800000, v88
	v_cndmask_b32_e64 v89, 0, v89, s16
	v_cmp_eq_u32_e64 s16, 0, v12
	v_add_nc_u32_e32 v12, 0xffffff91, v12
	v_cndmask_b32_e64 v89, v89, 0x6f, s16
	v_cndmask_b32_e64 v88, v90, v88, s16
	;; [unrolled: 1-line block ×3, first 2 shown]
	v_lshl_add_u32 v90, 0x200000, v89, -1
	v_lshrrev_b32_e32 v91, v89, v88
	v_lshlrev_b32_e64 v93, v89, 0x100000
	v_add_nc_u32_e32 v89, v89, v12
	v_and_b32_e32 v88, v90, v88
	v_bfe_u32 v92, v91, 21, 1
	v_cmp_eq_u32_e64 s17, v88, v93
	v_add_nc_u32_e32 v90, -1, v92
	v_cndmask_b32_e64 v88, 0, v90, s17
	v_lshrrev_b32_e32 v90, 23, v91
	s_mov_b32 s17, exec_lo
	v_add_nc_u32_e32 v88, v88, v91
	v_xor_b32_e32 v90, 1, v90
	v_and_b32_e32 v12, 0x1fffff, v88
	v_add_nc_u32_e32 v88, v12, v91
                                        ; implicit-def: $vgpr12
	v_cmpx_ne_u32_e64 v89, v90
	s_xor_b32 s17, exec_lo, s17
; %bb.3063:                             ;   in Loop: Header=BB2_2968 Depth=3
	v_cmp_lt_u32_e64 s16, 0xffffff, v88
	v_sub_nc_u32_e32 v12, v89, v90
	v_cndmask_b32_e64 v89, 0, 1, s16
	v_add_co_ci_u32_e64 v12, null, 0, v12, s16
	v_lshrrev_b32_e32 v88, v89, v88
; %bb.3064:                             ;   in Loop: Header=BB2_2968 Depth=3
	s_andn2_saveexec_b32 s16, s17
; %bb.3065:                             ;   in Loop: Header=BB2_2968 Depth=3
	v_bfe_u32 v12, v88, 23, 1
; %bb.3066:                             ;   in Loop: Header=BB2_2968 Depth=3
	s_or_b32 exec_lo, exec_lo, s16
	v_lshrrev_b32_e32 v88, 21, v88
	v_min_i32_e32 v89, 31, v12
	v_cmp_gt_i32_e64 s16, 32, v12
	v_and_b32_sdwa v79, v79, v101 dst_sel:DWORD dst_unused:UNUSED_PAD src0_sel:BYTE_3 src1_sel:DWORD
	v_lshlrev_b32_e32 v89, 2, v89
	v_cndmask_b32_e64 v88, 3, v88, s16
	v_and_b32_e32 v89, 0xfc, v89
	v_and_b32_e32 v90, 3, v88
	v_or_b32_e32 v12, v12, v88
	v_or3_b32 v79, v89, v79, v90
	v_cmp_ne_u32_e64 s16, 0, v12
	v_cndmask_b32_e64 v12, 0, v79, s16
.LBB2_3067:                             ;   in Loop: Header=BB2_2968 Depth=3
	s_or_b32 exec_lo, exec_lo, s72
.LBB2_3068:                             ;   in Loop: Header=BB2_2968 Depth=3
	s_or_b32 exec_lo, exec_lo, s23
	v_cmp_gt_i16_sdwa s17, v13, v100 src0_sel:BYTE_1 src1_sel:DWORD
	s_mov_b32 s16, 0
	s_and_saveexec_b32 s23, s17
	s_xor_b32 s17, exec_lo, s23
	s_cbranch_execz .LBB2_3306
; %bb.3069:                             ;   in Loop: Header=BB2_2968 Depth=3
	v_cmp_eq_u16_sdwa s72, v13, v101 src0_sel:BYTE_1 src1_sel:DWORD
	s_mov_b32 s16, -1
	s_and_saveexec_b32 s23, s72
; %bb.3070:                             ;   in Loop: Header=BB2_2968 Depth=3
	s_xor_b32 s16, exec_lo, -1
; %bb.3071:                             ;   in Loop: Header=BB2_2968 Depth=3
	s_or_b32 exec_lo, exec_lo, s23
	s_and_b32 s16, s16, exec_lo
	s_or_saveexec_b32 s17, s17
	v_mov_b32_e32 v79, 0x7f800001
	s_xor_b32 exec_lo, exec_lo, s17
	s_cbranch_execnz .LBB2_3307
.LBB2_3072:                             ;   in Loop: Header=BB2_2968 Depth=3
	s_or_b32 exec_lo, exec_lo, s17
	s_and_saveexec_b32 s17, s16
	s_cbranch_execz .LBB2_3074
.LBB2_3073:                             ;   in Loop: Header=BB2_2968 Depth=3
	v_and_b32_sdwa v79, v102, v13 dst_sel:DWORD dst_unused:UNUSED_PAD src0_sel:DWORD src1_sel:BYTE_1
	v_and_b32_e32 v88, 3, v79
	v_bfe_u32 v91, v79, 2, 5
	v_ffbh_u32_e32 v89, v88
	v_cmp_eq_u32_e64 s16, 0, v91
	v_min_u32_e32 v89, 32, v89
	v_subrev_nc_u32_e32 v90, 29, v89
	v_sub_nc_u32_e32 v89, 30, v89
	v_lshlrev_b32_e32 v79, v90, v79
	v_lshlrev_b32_sdwa v90, v103, v13 dst_sel:DWORD dst_unused:UNUSED_PAD src0_sel:DWORD src1_sel:BYTE_1
	v_cndmask_b32_e64 v89, v91, v89, s16
	v_and_b32_e32 v79, 3, v79
	v_lshl_add_u32 v89, v89, 23, 0x37800000
	v_cndmask_b32_e64 v79, v88, v79, s16
	v_and_b32_e32 v88, 0x80000000, v90
	v_lshlrev_b32_e32 v79, 21, v79
	v_or3_b32 v79, v88, v89, v79
.LBB2_3074:                             ;   in Loop: Header=BB2_2968 Depth=3
	s_or_b32 exec_lo, exec_lo, s17
	v_cmp_gt_i16_sdwa s17, v9, v100 src0_sel:BYTE_1 src1_sel:DWORD
	s_mov_b32 s16, 0
	s_and_saveexec_b32 s23, s17
	s_xor_b32 s17, exec_lo, s23
	s_cbranch_execz .LBB2_3308
; %bb.3075:                             ;   in Loop: Header=BB2_2968 Depth=3
	v_cmp_eq_u16_sdwa s72, v9, v101 src0_sel:BYTE_1 src1_sel:DWORD
	s_mov_b32 s16, -1
	s_and_saveexec_b32 s23, s72
; %bb.3076:                             ;   in Loop: Header=BB2_2968 Depth=3
	s_xor_b32 s16, exec_lo, -1
; %bb.3077:                             ;   in Loop: Header=BB2_2968 Depth=3
	s_or_b32 exec_lo, exec_lo, s23
	s_and_b32 s16, s16, exec_lo
	s_or_saveexec_b32 s17, s17
	v_mov_b32_e32 v88, 0x7f800001
	s_xor_b32 exec_lo, exec_lo, s17
	s_cbranch_execnz .LBB2_3309
.LBB2_3078:                             ;   in Loop: Header=BB2_2968 Depth=3
	s_or_b32 exec_lo, exec_lo, s17
	s_and_saveexec_b32 s17, s16
	s_cbranch_execz .LBB2_3080
.LBB2_3079:                             ;   in Loop: Header=BB2_2968 Depth=3
	v_and_b32_sdwa v88, v102, v9 dst_sel:DWORD dst_unused:UNUSED_PAD src0_sel:DWORD src1_sel:BYTE_1
	v_and_b32_e32 v89, 3, v88
	v_bfe_u32 v92, v88, 2, 5
	v_ffbh_u32_e32 v90, v89
	v_cmp_eq_u32_e64 s16, 0, v92
	v_min_u32_e32 v90, 32, v90
	v_subrev_nc_u32_e32 v91, 29, v90
	v_sub_nc_u32_e32 v90, 30, v90
	v_lshlrev_b32_e32 v88, v91, v88
	v_lshlrev_b32_sdwa v91, v103, v9 dst_sel:DWORD dst_unused:UNUSED_PAD src0_sel:DWORD src1_sel:BYTE_1
	v_cndmask_b32_e64 v90, v92, v90, s16
	v_and_b32_e32 v88, 3, v88
	v_lshl_add_u32 v90, v90, 23, 0x37800000
	v_cndmask_b32_e64 v88, v89, v88, s16
	v_and_b32_e32 v89, 0x80000000, v91
	v_lshlrev_b32_e32 v88, 21, v88
	v_or3_b32 v88, v89, v90, v88
.LBB2_3080:                             ;   in Loop: Header=BB2_2968 Depth=3
	s_or_b32 exec_lo, exec_lo, s17
	v_mul_f32_e32 v88, v79, v88
	v_and_b32_e32 v79, 0x7f800000, v88
	v_cmp_ne_u32_e64 s16, 0x7f800000, v79
	v_mov_b32_e32 v79, 0x8000
	s_and_saveexec_b32 s23, s16
	s_cbranch_execz .LBB2_3088
; %bb.3081:                             ;   in Loop: Header=BB2_2968 Depth=3
	v_mov_b32_e32 v79, 0
	s_mov_b32 s72, exec_lo
	v_cmpx_ne_u32_e32 0, v88
	s_cbranch_execz .LBB2_3087
; %bb.3082:                             ;   in Loop: Header=BB2_2968 Depth=3
	v_bfe_u32 v79, v88, 23, 8
	v_and_b32_e32 v89, 0x7fffff, v88
	v_sub_nc_u32_e32 v90, 0x70, v79
	v_cmp_gt_u32_e64 s16, 0x71, v79
	v_or_b32_e32 v91, 0x800000, v89
	v_cndmask_b32_e64 v90, 0, v90, s16
	v_cmp_eq_u32_e64 s16, 0, v79
	v_add_nc_u32_e32 v79, 0xffffff91, v79
	v_cndmask_b32_e64 v90, v90, 0x6f, s16
	v_cndmask_b32_e64 v89, v91, v89, s16
	;; [unrolled: 1-line block ×3, first 2 shown]
	v_lshl_add_u32 v91, 0x200000, v90, -1
	v_lshrrev_b32_e32 v92, v90, v89
	v_lshlrev_b32_e64 v94, v90, 0x100000
	v_add_nc_u32_e32 v90, v90, v79
	v_and_b32_e32 v89, v91, v89
	v_bfe_u32 v93, v92, 21, 1
	v_cmp_eq_u32_e64 s17, v89, v94
	v_add_nc_u32_e32 v91, -1, v93
	v_cndmask_b32_e64 v89, 0, v91, s17
	v_lshrrev_b32_e32 v91, 23, v92
	s_mov_b32 s17, exec_lo
	v_add_nc_u32_e32 v89, v89, v92
	v_xor_b32_e32 v91, 1, v91
	v_and_b32_e32 v79, 0x1fffff, v89
	v_add_nc_u32_e32 v89, v79, v92
                                        ; implicit-def: $vgpr79
	v_cmpx_ne_u32_e64 v90, v91
	s_xor_b32 s17, exec_lo, s17
; %bb.3083:                             ;   in Loop: Header=BB2_2968 Depth=3
	v_cmp_lt_u32_e64 s16, 0xffffff, v89
	v_sub_nc_u32_e32 v79, v90, v91
	v_cndmask_b32_e64 v90, 0, 1, s16
	v_add_co_ci_u32_e64 v79, null, 0, v79, s16
	v_lshrrev_b32_e32 v89, v90, v89
; %bb.3084:                             ;   in Loop: Header=BB2_2968 Depth=3
	s_andn2_saveexec_b32 s16, s17
; %bb.3085:                             ;   in Loop: Header=BB2_2968 Depth=3
	v_bfe_u32 v79, v89, 23, 1
; %bb.3086:                             ;   in Loop: Header=BB2_2968 Depth=3
	s_or_b32 exec_lo, exec_lo, s16
	v_lshrrev_b32_e32 v89, 21, v89
	v_min_i32_e32 v90, 31, v79
	v_cmp_gt_i32_e64 s16, 32, v79
	v_and_b32_sdwa v88, v88, v101 dst_sel:DWORD dst_unused:UNUSED_PAD src0_sel:BYTE_3 src1_sel:DWORD
	v_lshlrev_b32_e32 v90, 2, v90
	v_cndmask_b32_e64 v89, 3, v89, s16
	v_and_b32_e32 v90, 0xfc, v90
	v_and_b32_e32 v91, 3, v89
	v_or_b32_e32 v79, v79, v89
	v_or3_b32 v88, v88, v90, v91
	v_cmp_ne_u32_e64 s16, 0, v79
	v_lshlrev_b32_e32 v88, 8, v88
	v_cndmask_b32_e64 v79, 0, v88, s16
.LBB2_3087:                             ;   in Loop: Header=BB2_2968 Depth=3
	s_or_b32 exec_lo, exec_lo, s72
.LBB2_3088:                             ;   in Loop: Header=BB2_2968 Depth=3
	s_or_b32 exec_lo, exec_lo, s23
	v_and_b32_sdwa v89, v13, v112 dst_sel:DWORD dst_unused:UNUSED_PAD src0_sel:WORD_1 src1_sel:DWORD
	s_mov_b32 s17, 0
	s_mov_b32 s23, exec_lo
	v_cmpx_lt_i16_e32 0x7f, v89
	s_xor_b32 s23, exec_lo, s23
	s_cbranch_execz .LBB2_3310
; %bb.3089:                             ;   in Loop: Header=BB2_2968 Depth=3
	s_mov_b32 s17, -1
	s_mov_b32 s72, exec_lo
	v_cmpx_eq_u16_e32 0x80, v89
; %bb.3090:                             ;   in Loop: Header=BB2_2968 Depth=3
	s_xor_b32 s17, exec_lo, -1
; %bb.3091:                             ;   in Loop: Header=BB2_2968 Depth=3
	s_or_b32 exec_lo, exec_lo, s72
	s_and_b32 s17, s17, exec_lo
                                        ; implicit-def: $vgpr89
	s_or_saveexec_b32 s23, s23
	v_mov_b32_e32 v88, 0x7f800001
	s_xor_b32 exec_lo, exec_lo, s23
	s_cbranch_execnz .LBB2_3311
.LBB2_3092:                             ;   in Loop: Header=BB2_2968 Depth=3
	s_or_b32 exec_lo, exec_lo, s23
	s_and_saveexec_b32 s23, s17
	s_cbranch_execz .LBB2_3094
.LBB2_3093:                             ;   in Loop: Header=BB2_2968 Depth=3
	v_bfe_u32 v88, v13, 16, 2
	v_bfe_u32 v91, v13, 18, 5
	v_lshlrev_b32_e32 v92, 8, v13
	v_ffbh_u32_e32 v89, v88
	v_cmp_eq_u32_e64 s16, 0, v91
	v_min_u32_e32 v89, 32, v89
	v_subrev_nc_u32_e32 v90, 29, v89
	v_sub_nc_u32_e32 v89, 30, v89
	v_lshlrev_b32_sdwa v90, v90, v13 dst_sel:DWORD dst_unused:UNUSED_PAD src0_sel:DWORD src1_sel:WORD_1
	v_cndmask_b32_e64 v89, v91, v89, s16
	v_and_b32_e32 v90, 3, v90
	v_lshl_add_u32 v89, v89, 23, 0x37800000
	v_cndmask_b32_e64 v88, v88, v90, s16
	v_and_b32_e32 v90, 0x80000000, v92
	v_lshlrev_b32_e32 v88, 21, v88
	v_or3_b32 v88, v90, v89, v88
.LBB2_3094:                             ;   in Loop: Header=BB2_2968 Depth=3
	s_or_b32 exec_lo, exec_lo, s23
	v_and_b32_sdwa v90, v9, v112 dst_sel:DWORD dst_unused:UNUSED_PAD src0_sel:WORD_1 src1_sel:DWORD
	s_mov_b32 s17, 0
	s_mov_b32 s23, exec_lo
	v_cmpx_lt_i16_e32 0x7f, v90
	s_xor_b32 s23, exec_lo, s23
	s_cbranch_execz .LBB2_3312
; %bb.3095:                             ;   in Loop: Header=BB2_2968 Depth=3
	s_mov_b32 s17, -1
	s_mov_b32 s72, exec_lo
	v_cmpx_eq_u16_e32 0x80, v90
; %bb.3096:                             ;   in Loop: Header=BB2_2968 Depth=3
	s_xor_b32 s17, exec_lo, -1
; %bb.3097:                             ;   in Loop: Header=BB2_2968 Depth=3
	s_or_b32 exec_lo, exec_lo, s72
	s_and_b32 s17, s17, exec_lo
                                        ; implicit-def: $vgpr90
	s_or_saveexec_b32 s23, s23
	v_mov_b32_e32 v89, 0x7f800001
	s_xor_b32 exec_lo, exec_lo, s23
	s_cbranch_execnz .LBB2_3313
.LBB2_3098:                             ;   in Loop: Header=BB2_2968 Depth=3
	s_or_b32 exec_lo, exec_lo, s23
	s_and_saveexec_b32 s23, s17
	s_cbranch_execz .LBB2_3100
.LBB2_3099:                             ;   in Loop: Header=BB2_2968 Depth=3
	v_and_b32_sdwa v89, v9, v113 dst_sel:DWORD dst_unused:UNUSED_PAD src0_sel:WORD_1 src1_sel:DWORD
	v_bfe_u32 v92, v9, 18, 5
	v_lshlrev_b32_sdwa v93, v103, v9 dst_sel:DWORD dst_unused:UNUSED_PAD src0_sel:DWORD src1_sel:WORD_1
	v_ffbh_u32_e32 v90, v89
	v_cmp_eq_u32_e64 s16, 0, v92
	v_min_u32_e32 v90, 32, v90
	v_subrev_nc_u32_e32 v91, 29, v90
	v_sub_nc_u32_e32 v90, 30, v90
	v_lshlrev_b32_sdwa v91, v91, v9 dst_sel:DWORD dst_unused:UNUSED_PAD src0_sel:DWORD src1_sel:WORD_1
	v_cndmask_b32_e64 v90, v92, v90, s16
	v_and_b32_e32 v91, 3, v91
	v_lshl_add_u32 v90, v90, 23, 0x37800000
	v_cndmask_b32_e64 v89, v89, v91, s16
	v_and_b32_e32 v91, 0x80000000, v93
	v_lshlrev_b32_e32 v89, 21, v89
	v_or3_b32 v89, v91, v90, v89
.LBB2_3100:                             ;   in Loop: Header=BB2_2968 Depth=3
	s_or_b32 exec_lo, exec_lo, s23
	v_mul_f32_e32 v89, v88, v89
	v_and_b32_e32 v88, 0x7f800000, v89
	v_cmp_ne_u32_e64 s16, 0x7f800000, v88
	v_mov_b32_e32 v88, 0x80
	s_and_saveexec_b32 s23, s16
	s_cbranch_execz .LBB2_3108
; %bb.3101:                             ;   in Loop: Header=BB2_2968 Depth=3
	v_mov_b32_e32 v88, 0
	s_mov_b32 s72, exec_lo
	v_cmpx_ne_u32_e32 0, v89
	s_cbranch_execz .LBB2_3107
; %bb.3102:                             ;   in Loop: Header=BB2_2968 Depth=3
	v_bfe_u32 v88, v89, 23, 8
	v_and_b32_e32 v90, 0x7fffff, v89
	v_sub_nc_u32_e32 v91, 0x70, v88
	v_cmp_gt_u32_e64 s16, 0x71, v88
	v_or_b32_e32 v92, 0x800000, v90
	v_cndmask_b32_e64 v91, 0, v91, s16
	v_cmp_eq_u32_e64 s16, 0, v88
	v_add_nc_u32_e32 v88, 0xffffff91, v88
	v_cndmask_b32_e64 v91, v91, 0x6f, s16
	v_cndmask_b32_e64 v90, v92, v90, s16
	;; [unrolled: 1-line block ×3, first 2 shown]
	v_lshl_add_u32 v92, 0x200000, v91, -1
	v_lshrrev_b32_e32 v93, v91, v90
	v_lshlrev_b32_e64 v95, v91, 0x100000
	v_add_nc_u32_e32 v91, v91, v88
	v_and_b32_e32 v90, v92, v90
	v_bfe_u32 v94, v93, 21, 1
	v_cmp_eq_u32_e64 s17, v90, v95
	v_add_nc_u32_e32 v92, -1, v94
	v_cndmask_b32_e64 v90, 0, v92, s17
	v_lshrrev_b32_e32 v92, 23, v93
	s_mov_b32 s17, exec_lo
	v_add_nc_u32_e32 v90, v90, v93
	v_xor_b32_e32 v92, 1, v92
	v_and_b32_e32 v88, 0x1fffff, v90
	v_add_nc_u32_e32 v90, v88, v93
                                        ; implicit-def: $vgpr88
	v_cmpx_ne_u32_e64 v91, v92
	s_xor_b32 s17, exec_lo, s17
; %bb.3103:                             ;   in Loop: Header=BB2_2968 Depth=3
	v_cmp_lt_u32_e64 s16, 0xffffff, v90
	v_sub_nc_u32_e32 v88, v91, v92
	v_cndmask_b32_e64 v91, 0, 1, s16
	v_add_co_ci_u32_e64 v88, null, 0, v88, s16
	v_lshrrev_b32_e32 v90, v91, v90
; %bb.3104:                             ;   in Loop: Header=BB2_2968 Depth=3
	s_andn2_saveexec_b32 s16, s17
; %bb.3105:                             ;   in Loop: Header=BB2_2968 Depth=3
	v_bfe_u32 v88, v90, 23, 1
; %bb.3106:                             ;   in Loop: Header=BB2_2968 Depth=3
	s_or_b32 exec_lo, exec_lo, s16
	v_lshrrev_b32_e32 v90, 21, v90
	v_min_i32_e32 v91, 31, v88
	v_cmp_gt_i32_e64 s16, 32, v88
	v_and_b32_sdwa v89, v89, v101 dst_sel:DWORD dst_unused:UNUSED_PAD src0_sel:BYTE_3 src1_sel:DWORD
	v_lshlrev_b32_e32 v91, 2, v91
	v_cndmask_b32_e64 v90, 3, v90, s16
	v_and_b32_e32 v91, 0xfc, v91
	v_and_b32_e32 v92, 3, v90
	v_or_b32_e32 v88, v88, v90
	v_or3_b32 v89, v91, v89, v92
	v_cmp_ne_u32_e64 s16, 0, v88
	v_cndmask_b32_e64 v88, 0, v89, s16
.LBB2_3107:                             ;   in Loop: Header=BB2_2968 Depth=3
	s_or_b32 exec_lo, exec_lo, s72
.LBB2_3108:                             ;   in Loop: Header=BB2_2968 Depth=3
	s_or_b32 exec_lo, exec_lo, s23
	v_cmp_gt_i16_sdwa s17, v13, v100 src0_sel:BYTE_3 src1_sel:DWORD
	s_mov_b32 s16, 0
	s_and_saveexec_b32 s23, s17
	s_xor_b32 s17, exec_lo, s23
	s_cbranch_execz .LBB2_3314
; %bb.3109:                             ;   in Loop: Header=BB2_2968 Depth=3
	v_cmp_eq_u16_sdwa s72, v13, v101 src0_sel:BYTE_3 src1_sel:DWORD
	s_mov_b32 s16, -1
	s_and_saveexec_b32 s23, s72
; %bb.3110:                             ;   in Loop: Header=BB2_2968 Depth=3
	s_xor_b32 s16, exec_lo, -1
; %bb.3111:                             ;   in Loop: Header=BB2_2968 Depth=3
	s_or_b32 exec_lo, exec_lo, s23
	s_and_b32 s16, s16, exec_lo
	s_or_saveexec_b32 s17, s17
	v_mov_b32_e32 v89, 0x7f800001
	s_xor_b32 exec_lo, exec_lo, s17
	s_cbranch_execnz .LBB2_3315
.LBB2_3112:                             ;   in Loop: Header=BB2_2968 Depth=3
	s_or_b32 exec_lo, exec_lo, s17
	s_and_saveexec_b32 s17, s16
	s_cbranch_execz .LBB2_3114
.LBB2_3113:                             ;   in Loop: Header=BB2_2968 Depth=3
	v_bfe_u32 v89, v13, 24, 2
	v_bfe_u32 v92, v13, 26, 5
	v_ffbh_u32_e32 v90, v89
	v_cmp_eq_u32_e64 s16, 0, v92
	v_min_u32_e32 v90, 32, v90
	v_subrev_nc_u32_e32 v91, 29, v90
	v_sub_nc_u32_e32 v90, 30, v90
	v_lshlrev_b32_sdwa v91, v91, v13 dst_sel:DWORD dst_unused:UNUSED_PAD src0_sel:DWORD src1_sel:BYTE_3
	v_cndmask_b32_e64 v90, v92, v90, s16
	v_and_b32_e32 v13, 0x80000000, v13
	v_and_b32_e32 v91, 3, v91
	v_lshl_add_u32 v90, v90, 23, 0x37800000
	v_cndmask_b32_e64 v89, v89, v91, s16
	v_lshlrev_b32_e32 v89, 21, v89
	v_or3_b32 v89, v13, v90, v89
.LBB2_3114:                             ;   in Loop: Header=BB2_2968 Depth=3
	s_or_b32 exec_lo, exec_lo, s17
	v_cmp_gt_i16_sdwa s17, v9, v100 src0_sel:BYTE_3 src1_sel:DWORD
	s_mov_b32 s16, 0
	s_and_saveexec_b32 s23, s17
	s_xor_b32 s17, exec_lo, s23
	s_cbranch_execz .LBB2_3316
; %bb.3115:                             ;   in Loop: Header=BB2_2968 Depth=3
	v_cmp_eq_u16_sdwa s72, v9, v101 src0_sel:BYTE_3 src1_sel:DWORD
	s_mov_b32 s16, -1
	s_and_saveexec_b32 s23, s72
; %bb.3116:                             ;   in Loop: Header=BB2_2968 Depth=3
	s_xor_b32 s16, exec_lo, -1
; %bb.3117:                             ;   in Loop: Header=BB2_2968 Depth=3
	s_or_b32 exec_lo, exec_lo, s23
	s_and_b32 s16, s16, exec_lo
	s_or_saveexec_b32 s17, s17
	v_mov_b32_e32 v13, 0x7f800001
	s_xor_b32 exec_lo, exec_lo, s17
	s_cbranch_execnz .LBB2_3317
.LBB2_3118:                             ;   in Loop: Header=BB2_2968 Depth=3
	s_or_b32 exec_lo, exec_lo, s17
	s_and_saveexec_b32 s17, s16
	s_cbranch_execz .LBB2_3120
.LBB2_3119:                             ;   in Loop: Header=BB2_2968 Depth=3
	v_and_b32_sdwa v13, v9, v113 dst_sel:DWORD dst_unused:UNUSED_PAD src0_sel:BYTE_3 src1_sel:DWORD
	v_bfe_u32 v92, v9, 26, 5
	v_ffbh_u32_e32 v90, v13
	v_cmp_eq_u32_e64 s16, 0, v92
	v_min_u32_e32 v90, 32, v90
	v_subrev_nc_u32_e32 v91, 29, v90
	v_sub_nc_u32_e32 v90, 30, v90
	v_lshlrev_b32_sdwa v91, v91, v9 dst_sel:DWORD dst_unused:UNUSED_PAD src0_sel:DWORD src1_sel:BYTE_3
	v_cndmask_b32_e64 v90, v92, v90, s16
	v_and_b32_e32 v9, 0x80000000, v9
	v_and_b32_e32 v91, 3, v91
	v_lshl_add_u32 v90, v90, 23, 0x37800000
	v_cndmask_b32_e64 v13, v13, v91, s16
	v_lshlrev_b32_e32 v13, 21, v13
	v_or3_b32 v13, v9, v90, v13
.LBB2_3120:                             ;   in Loop: Header=BB2_2968 Depth=3
	s_or_b32 exec_lo, exec_lo, s17
	v_mul_f32_e32 v13, v89, v13
	v_and_b32_e32 v9, 0x7f800000, v13
	v_cmp_ne_u32_e64 s16, 0x7f800000, v9
	v_mov_b32_e32 v9, 0x8000
	s_and_saveexec_b32 s23, s16
	s_cbranch_execz .LBB2_3128
; %bb.3121:                             ;   in Loop: Header=BB2_2968 Depth=3
	v_mov_b32_e32 v9, 0
	s_mov_b32 s72, exec_lo
	v_cmpx_ne_u32_e32 0, v13
	s_cbranch_execz .LBB2_3127
; %bb.3122:                             ;   in Loop: Header=BB2_2968 Depth=3
	v_bfe_u32 v9, v13, 23, 8
	v_and_b32_e32 v89, 0x7fffff, v13
	v_sub_nc_u32_e32 v90, 0x70, v9
	v_cmp_gt_u32_e64 s16, 0x71, v9
	v_or_b32_e32 v91, 0x800000, v89
	v_cndmask_b32_e64 v90, 0, v90, s16
	v_cmp_eq_u32_e64 s16, 0, v9
	v_add_nc_u32_e32 v9, 0xffffff91, v9
	v_cndmask_b32_e64 v90, v90, 0x6f, s16
	v_cndmask_b32_e64 v89, v91, v89, s16
	;; [unrolled: 1-line block ×3, first 2 shown]
	v_lshl_add_u32 v91, 0x200000, v90, -1
	v_lshrrev_b32_e32 v92, v90, v89
	v_lshlrev_b32_e64 v94, v90, 0x100000
	v_add_nc_u32_e32 v90, v90, v9
	v_and_b32_e32 v89, v91, v89
	v_bfe_u32 v93, v92, 21, 1
	v_cmp_eq_u32_e64 s17, v89, v94
	v_add_nc_u32_e32 v91, -1, v93
	v_cndmask_b32_e64 v89, 0, v91, s17
	v_lshrrev_b32_e32 v91, 23, v92
	s_mov_b32 s17, exec_lo
	v_add_nc_u32_e32 v89, v89, v92
	v_xor_b32_e32 v91, 1, v91
	v_and_b32_e32 v9, 0x1fffff, v89
	v_add_nc_u32_e32 v89, v9, v92
                                        ; implicit-def: $vgpr9
	v_cmpx_ne_u32_e64 v90, v91
	s_xor_b32 s17, exec_lo, s17
; %bb.3123:                             ;   in Loop: Header=BB2_2968 Depth=3
	v_cmp_lt_u32_e64 s16, 0xffffff, v89
	v_sub_nc_u32_e32 v9, v90, v91
	v_cndmask_b32_e64 v90, 0, 1, s16
	v_add_co_ci_u32_e64 v9, null, 0, v9, s16
	v_lshrrev_b32_e32 v89, v90, v89
; %bb.3124:                             ;   in Loop: Header=BB2_2968 Depth=3
	s_andn2_saveexec_b32 s16, s17
; %bb.3125:                             ;   in Loop: Header=BB2_2968 Depth=3
	v_bfe_u32 v9, v89, 23, 1
; %bb.3126:                             ;   in Loop: Header=BB2_2968 Depth=3
	s_or_b32 exec_lo, exec_lo, s16
	v_lshrrev_b32_e32 v89, 21, v89
	v_min_i32_e32 v90, 31, v9
	v_cmp_gt_i32_e64 s16, 32, v9
	v_and_b32_sdwa v13, v13, v101 dst_sel:DWORD dst_unused:UNUSED_PAD src0_sel:BYTE_3 src1_sel:DWORD
	v_lshlrev_b32_e32 v90, 2, v90
	v_cndmask_b32_e64 v89, 3, v89, s16
	v_and_b32_e32 v90, 0xfc, v90
	v_and_b32_e32 v91, 3, v89
	v_or_b32_e32 v9, v9, v89
	v_or3_b32 v13, v13, v90, v91
	v_cmp_ne_u32_e64 s16, 0, v9
	v_lshlrev_b32_e32 v13, 8, v13
	v_cndmask_b32_e64 v9, 0, v13, s16
.LBB2_3127:                             ;   in Loop: Header=BB2_2968 Depth=3
	s_or_b32 exec_lo, exec_lo, s72
.LBB2_3128:                             ;   in Loop: Header=BB2_2968 Depth=3
	s_or_b32 exec_lo, exec_lo, s23
	v_cmp_gt_i16_sdwa s17, v14, v100 src0_sel:BYTE_0 src1_sel:DWORD
	s_mov_b32 s16, 0
	s_and_saveexec_b32 s23, s17
	s_xor_b32 s17, exec_lo, s23
	s_cbranch_execz .LBB2_3318
; %bb.3129:                             ;   in Loop: Header=BB2_2968 Depth=3
	v_cmp_eq_u16_sdwa s72, v14, v101 src0_sel:BYTE_0 src1_sel:DWORD
	s_mov_b32 s16, -1
	s_and_saveexec_b32 s23, s72
; %bb.3130:                             ;   in Loop: Header=BB2_2968 Depth=3
	s_xor_b32 s16, exec_lo, -1
; %bb.3131:                             ;   in Loop: Header=BB2_2968 Depth=3
	s_or_b32 exec_lo, exec_lo, s23
	s_and_b32 s16, s16, exec_lo
	s_or_saveexec_b32 s17, s17
	v_mov_b32_e32 v13, 0x7f800001
	s_xor_b32 exec_lo, exec_lo, s17
	s_cbranch_execnz .LBB2_3319
.LBB2_3132:                             ;   in Loop: Header=BB2_2968 Depth=3
	s_or_b32 exec_lo, exec_lo, s17
	s_and_saveexec_b32 s17, s16
	s_cbranch_execz .LBB2_3134
.LBB2_3133:                             ;   in Loop: Header=BB2_2968 Depth=3
	v_and_b32_e32 v13, 3, v14
	v_bfe_u32 v91, v14, 2, 5
	v_lshlrev_b32_e32 v92, 24, v14
	v_ffbh_u32_e32 v89, v13
	v_cmp_eq_u32_e64 s16, 0, v91
	v_min_u32_e32 v89, 32, v89
	v_subrev_nc_u32_e32 v90, 29, v89
	v_sub_nc_u32_e32 v89, 30, v89
	v_lshlrev_b32_e32 v90, v90, v14
	v_cndmask_b32_e64 v89, v91, v89, s16
	v_and_b32_e32 v90, 3, v90
	v_lshl_add_u32 v89, v89, 23, 0x37800000
	v_cndmask_b32_e64 v13, v13, v90, s16
	v_and_b32_e32 v90, 0x80000000, v92
	v_lshlrev_b32_e32 v13, 21, v13
	v_or3_b32 v13, v90, v89, v13
.LBB2_3134:                             ;   in Loop: Header=BB2_2968 Depth=3
	s_or_b32 exec_lo, exec_lo, s17
	v_cmp_gt_i16_sdwa s17, v10, v100 src0_sel:BYTE_0 src1_sel:DWORD
	s_mov_b32 s16, 0
	s_and_saveexec_b32 s23, s17
	s_xor_b32 s17, exec_lo, s23
	s_cbranch_execz .LBB2_3320
; %bb.3135:                             ;   in Loop: Header=BB2_2968 Depth=3
	v_cmp_eq_u16_sdwa s72, v10, v101 src0_sel:BYTE_0 src1_sel:DWORD
	s_mov_b32 s16, -1
	s_and_saveexec_b32 s23, s72
; %bb.3136:                             ;   in Loop: Header=BB2_2968 Depth=3
	s_xor_b32 s16, exec_lo, -1
; %bb.3137:                             ;   in Loop: Header=BB2_2968 Depth=3
	s_or_b32 exec_lo, exec_lo, s23
	s_and_b32 s16, s16, exec_lo
	s_or_saveexec_b32 s17, s17
	v_mov_b32_e32 v89, 0x7f800001
	s_xor_b32 exec_lo, exec_lo, s17
	s_cbranch_execnz .LBB2_3321
.LBB2_3138:                             ;   in Loop: Header=BB2_2968 Depth=3
	s_or_b32 exec_lo, exec_lo, s17
	s_and_saveexec_b32 s17, s16
	s_cbranch_execz .LBB2_3140
.LBB2_3139:                             ;   in Loop: Header=BB2_2968 Depth=3
	v_and_b32_e32 v89, 3, v10
	v_bfe_u32 v92, v10, 2, 5
	v_lshlrev_b32_e32 v93, 24, v10
	v_ffbh_u32_e32 v90, v89
	v_cmp_eq_u32_e64 s16, 0, v92
	v_min_u32_e32 v90, 32, v90
	v_subrev_nc_u32_e32 v91, 29, v90
	v_sub_nc_u32_e32 v90, 30, v90
	v_lshlrev_b32_e32 v91, v91, v10
	v_cndmask_b32_e64 v90, v92, v90, s16
	v_and_b32_e32 v91, 3, v91
	v_lshl_add_u32 v90, v90, 23, 0x37800000
	v_cndmask_b32_e64 v89, v89, v91, s16
	v_and_b32_e32 v91, 0x80000000, v93
	v_lshlrev_b32_e32 v89, 21, v89
	v_or3_b32 v89, v91, v90, v89
.LBB2_3140:                             ;   in Loop: Header=BB2_2968 Depth=3
	s_or_b32 exec_lo, exec_lo, s17
	v_mul_f32_e32 v89, v13, v89
	v_and_b32_e32 v13, 0x7f800000, v89
	v_cmp_ne_u32_e64 s16, 0x7f800000, v13
	v_mov_b32_e32 v13, 0x80
	s_and_saveexec_b32 s23, s16
	s_cbranch_execz .LBB2_3148
; %bb.3141:                             ;   in Loop: Header=BB2_2968 Depth=3
	v_mov_b32_e32 v13, 0
	s_mov_b32 s72, exec_lo
	v_cmpx_ne_u32_e32 0, v89
	s_cbranch_execz .LBB2_3147
; %bb.3142:                             ;   in Loop: Header=BB2_2968 Depth=3
	v_bfe_u32 v13, v89, 23, 8
	v_and_b32_e32 v90, 0x7fffff, v89
	v_sub_nc_u32_e32 v91, 0x70, v13
	v_cmp_gt_u32_e64 s16, 0x71, v13
	v_or_b32_e32 v92, 0x800000, v90
	v_cndmask_b32_e64 v91, 0, v91, s16
	v_cmp_eq_u32_e64 s16, 0, v13
	v_add_nc_u32_e32 v13, 0xffffff91, v13
	v_cndmask_b32_e64 v91, v91, 0x6f, s16
	v_cndmask_b32_e64 v90, v92, v90, s16
	;; [unrolled: 1-line block ×3, first 2 shown]
	v_lshl_add_u32 v92, 0x200000, v91, -1
	v_lshrrev_b32_e32 v93, v91, v90
	v_lshlrev_b32_e64 v95, v91, 0x100000
	v_add_nc_u32_e32 v91, v91, v13
	v_and_b32_e32 v90, v92, v90
	v_bfe_u32 v94, v93, 21, 1
	v_cmp_eq_u32_e64 s17, v90, v95
	v_add_nc_u32_e32 v92, -1, v94
	v_cndmask_b32_e64 v90, 0, v92, s17
	v_lshrrev_b32_e32 v92, 23, v93
	s_mov_b32 s17, exec_lo
	v_add_nc_u32_e32 v90, v90, v93
	v_xor_b32_e32 v92, 1, v92
	v_and_b32_e32 v13, 0x1fffff, v90
	v_add_nc_u32_e32 v90, v13, v93
                                        ; implicit-def: $vgpr13
	v_cmpx_ne_u32_e64 v91, v92
	s_xor_b32 s17, exec_lo, s17
; %bb.3143:                             ;   in Loop: Header=BB2_2968 Depth=3
	v_cmp_lt_u32_e64 s16, 0xffffff, v90
	v_sub_nc_u32_e32 v13, v91, v92
	v_cndmask_b32_e64 v91, 0, 1, s16
	v_add_co_ci_u32_e64 v13, null, 0, v13, s16
	v_lshrrev_b32_e32 v90, v91, v90
; %bb.3144:                             ;   in Loop: Header=BB2_2968 Depth=3
	s_andn2_saveexec_b32 s16, s17
; %bb.3145:                             ;   in Loop: Header=BB2_2968 Depth=3
	v_bfe_u32 v13, v90, 23, 1
; %bb.3146:                             ;   in Loop: Header=BB2_2968 Depth=3
	s_or_b32 exec_lo, exec_lo, s16
	v_lshrrev_b32_e32 v90, 21, v90
	v_min_i32_e32 v91, 31, v13
	v_cmp_gt_i32_e64 s16, 32, v13
	v_and_b32_sdwa v89, v89, v101 dst_sel:DWORD dst_unused:UNUSED_PAD src0_sel:BYTE_3 src1_sel:DWORD
	v_lshlrev_b32_e32 v91, 2, v91
	v_cndmask_b32_e64 v90, 3, v90, s16
	v_and_b32_e32 v91, 0xfc, v91
	v_and_b32_e32 v92, 3, v90
	v_or_b32_e32 v13, v13, v90
	v_or3_b32 v89, v91, v89, v92
	v_cmp_ne_u32_e64 s16, 0, v13
	v_cndmask_b32_e64 v13, 0, v89, s16
.LBB2_3147:                             ;   in Loop: Header=BB2_2968 Depth=3
	s_or_b32 exec_lo, exec_lo, s72
.LBB2_3148:                             ;   in Loop: Header=BB2_2968 Depth=3
	s_or_b32 exec_lo, exec_lo, s23
	v_cmp_gt_i16_sdwa s17, v14, v100 src0_sel:BYTE_1 src1_sel:DWORD
	s_mov_b32 s16, 0
	s_and_saveexec_b32 s23, s17
	s_xor_b32 s17, exec_lo, s23
	s_cbranch_execz .LBB2_3322
; %bb.3149:                             ;   in Loop: Header=BB2_2968 Depth=3
	v_cmp_eq_u16_sdwa s72, v14, v101 src0_sel:BYTE_1 src1_sel:DWORD
	s_mov_b32 s16, -1
	s_and_saveexec_b32 s23, s72
; %bb.3150:                             ;   in Loop: Header=BB2_2968 Depth=3
	s_xor_b32 s16, exec_lo, -1
; %bb.3151:                             ;   in Loop: Header=BB2_2968 Depth=3
	s_or_b32 exec_lo, exec_lo, s23
	s_and_b32 s16, s16, exec_lo
	s_or_saveexec_b32 s17, s17
	v_mov_b32_e32 v89, 0x7f800001
	s_xor_b32 exec_lo, exec_lo, s17
	s_cbranch_execnz .LBB2_3323
.LBB2_3152:                             ;   in Loop: Header=BB2_2968 Depth=3
	s_or_b32 exec_lo, exec_lo, s17
	s_and_saveexec_b32 s17, s16
	s_cbranch_execz .LBB2_3154
.LBB2_3153:                             ;   in Loop: Header=BB2_2968 Depth=3
	v_and_b32_sdwa v89, v102, v14 dst_sel:DWORD dst_unused:UNUSED_PAD src0_sel:DWORD src1_sel:BYTE_1
	v_and_b32_e32 v90, 3, v89
	v_bfe_u32 v93, v89, 2, 5
	v_ffbh_u32_e32 v91, v90
	v_cmp_eq_u32_e64 s16, 0, v93
	v_min_u32_e32 v91, 32, v91
	v_subrev_nc_u32_e32 v92, 29, v91
	v_sub_nc_u32_e32 v91, 30, v91
	v_lshlrev_b32_e32 v89, v92, v89
	v_lshlrev_b32_sdwa v92, v103, v14 dst_sel:DWORD dst_unused:UNUSED_PAD src0_sel:DWORD src1_sel:BYTE_1
	v_cndmask_b32_e64 v91, v93, v91, s16
	v_and_b32_e32 v89, 3, v89
	v_lshl_add_u32 v91, v91, 23, 0x37800000
	v_cndmask_b32_e64 v89, v90, v89, s16
	v_and_b32_e32 v90, 0x80000000, v92
	v_lshlrev_b32_e32 v89, 21, v89
	v_or3_b32 v89, v90, v91, v89
.LBB2_3154:                             ;   in Loop: Header=BB2_2968 Depth=3
	s_or_b32 exec_lo, exec_lo, s17
	v_cmp_gt_i16_sdwa s17, v10, v100 src0_sel:BYTE_1 src1_sel:DWORD
	s_mov_b32 s16, 0
	s_and_saveexec_b32 s23, s17
	s_xor_b32 s17, exec_lo, s23
	s_cbranch_execz .LBB2_3324
; %bb.3155:                             ;   in Loop: Header=BB2_2968 Depth=3
	v_cmp_eq_u16_sdwa s72, v10, v101 src0_sel:BYTE_1 src1_sel:DWORD
	s_mov_b32 s16, -1
	s_and_saveexec_b32 s23, s72
; %bb.3156:                             ;   in Loop: Header=BB2_2968 Depth=3
	s_xor_b32 s16, exec_lo, -1
; %bb.3157:                             ;   in Loop: Header=BB2_2968 Depth=3
	s_or_b32 exec_lo, exec_lo, s23
	s_and_b32 s16, s16, exec_lo
	s_or_saveexec_b32 s17, s17
	v_mov_b32_e32 v90, 0x7f800001
	s_xor_b32 exec_lo, exec_lo, s17
	s_cbranch_execnz .LBB2_3325
.LBB2_3158:                             ;   in Loop: Header=BB2_2968 Depth=3
	s_or_b32 exec_lo, exec_lo, s17
	s_and_saveexec_b32 s17, s16
	s_cbranch_execz .LBB2_3160
.LBB2_3159:                             ;   in Loop: Header=BB2_2968 Depth=3
	v_and_b32_sdwa v90, v102, v10 dst_sel:DWORD dst_unused:UNUSED_PAD src0_sel:DWORD src1_sel:BYTE_1
	v_and_b32_e32 v91, 3, v90
	v_bfe_u32 v94, v90, 2, 5
	v_ffbh_u32_e32 v92, v91
	v_cmp_eq_u32_e64 s16, 0, v94
	v_min_u32_e32 v92, 32, v92
	v_subrev_nc_u32_e32 v93, 29, v92
	v_sub_nc_u32_e32 v92, 30, v92
	v_lshlrev_b32_e32 v90, v93, v90
	v_lshlrev_b32_sdwa v93, v103, v10 dst_sel:DWORD dst_unused:UNUSED_PAD src0_sel:DWORD src1_sel:BYTE_1
	v_cndmask_b32_e64 v92, v94, v92, s16
	v_and_b32_e32 v90, 3, v90
	v_lshl_add_u32 v92, v92, 23, 0x37800000
	v_cndmask_b32_e64 v90, v91, v90, s16
	v_and_b32_e32 v91, 0x80000000, v93
	v_lshlrev_b32_e32 v90, 21, v90
	v_or3_b32 v90, v91, v92, v90
.LBB2_3160:                             ;   in Loop: Header=BB2_2968 Depth=3
	s_or_b32 exec_lo, exec_lo, s17
	v_mul_f32_e32 v90, v89, v90
	v_and_b32_e32 v89, 0x7f800000, v90
	v_cmp_ne_u32_e64 s16, 0x7f800000, v89
	v_mov_b32_e32 v89, 0x8000
	s_and_saveexec_b32 s23, s16
	s_cbranch_execz .LBB2_3168
; %bb.3161:                             ;   in Loop: Header=BB2_2968 Depth=3
	v_mov_b32_e32 v89, 0
	s_mov_b32 s72, exec_lo
	v_cmpx_ne_u32_e32 0, v90
	s_cbranch_execz .LBB2_3167
; %bb.3162:                             ;   in Loop: Header=BB2_2968 Depth=3
	v_bfe_u32 v89, v90, 23, 8
	v_and_b32_e32 v91, 0x7fffff, v90
	v_sub_nc_u32_e32 v92, 0x70, v89
	v_cmp_gt_u32_e64 s16, 0x71, v89
	v_or_b32_e32 v93, 0x800000, v91
	v_cndmask_b32_e64 v92, 0, v92, s16
	v_cmp_eq_u32_e64 s16, 0, v89
	v_add_nc_u32_e32 v89, 0xffffff91, v89
	v_cndmask_b32_e64 v92, v92, 0x6f, s16
	v_cndmask_b32_e64 v91, v93, v91, s16
	;; [unrolled: 1-line block ×3, first 2 shown]
	v_lshl_add_u32 v93, 0x200000, v92, -1
	v_lshrrev_b32_e32 v94, v92, v91
	v_lshlrev_b32_e64 v104, v92, 0x100000
	v_add_nc_u32_e32 v92, v92, v89
	v_and_b32_e32 v91, v93, v91
	v_bfe_u32 v95, v94, 21, 1
	v_cmp_eq_u32_e64 s17, v91, v104
	v_add_nc_u32_e32 v93, -1, v95
	v_cndmask_b32_e64 v91, 0, v93, s17
	v_lshrrev_b32_e32 v93, 23, v94
	s_mov_b32 s17, exec_lo
	v_add_nc_u32_e32 v91, v91, v94
	v_xor_b32_e32 v93, 1, v93
	v_and_b32_e32 v89, 0x1fffff, v91
	v_add_nc_u32_e32 v91, v89, v94
                                        ; implicit-def: $vgpr89
	v_cmpx_ne_u32_e64 v92, v93
	s_xor_b32 s17, exec_lo, s17
; %bb.3163:                             ;   in Loop: Header=BB2_2968 Depth=3
	v_cmp_lt_u32_e64 s16, 0xffffff, v91
	v_sub_nc_u32_e32 v89, v92, v93
	v_cndmask_b32_e64 v92, 0, 1, s16
	v_add_co_ci_u32_e64 v89, null, 0, v89, s16
	v_lshrrev_b32_e32 v91, v92, v91
; %bb.3164:                             ;   in Loop: Header=BB2_2968 Depth=3
	s_andn2_saveexec_b32 s16, s17
; %bb.3165:                             ;   in Loop: Header=BB2_2968 Depth=3
	v_bfe_u32 v89, v91, 23, 1
; %bb.3166:                             ;   in Loop: Header=BB2_2968 Depth=3
	s_or_b32 exec_lo, exec_lo, s16
	v_lshrrev_b32_e32 v91, 21, v91
	v_min_i32_e32 v92, 31, v89
	v_cmp_gt_i32_e64 s16, 32, v89
	v_and_b32_sdwa v90, v90, v101 dst_sel:DWORD dst_unused:UNUSED_PAD src0_sel:BYTE_3 src1_sel:DWORD
	v_lshlrev_b32_e32 v92, 2, v92
	v_cndmask_b32_e64 v91, 3, v91, s16
	v_and_b32_e32 v92, 0xfc, v92
	v_and_b32_e32 v93, 3, v91
	v_or_b32_e32 v89, v89, v91
	v_or3_b32 v90, v90, v92, v93
	v_cmp_ne_u32_e64 s16, 0, v89
	v_lshlrev_b32_e32 v90, 8, v90
	v_cndmask_b32_e64 v89, 0, v90, s16
.LBB2_3167:                             ;   in Loop: Header=BB2_2968 Depth=3
	s_or_b32 exec_lo, exec_lo, s72
.LBB2_3168:                             ;   in Loop: Header=BB2_2968 Depth=3
	s_or_b32 exec_lo, exec_lo, s23
	v_and_b32_sdwa v91, v14, v112 dst_sel:DWORD dst_unused:UNUSED_PAD src0_sel:WORD_1 src1_sel:DWORD
	s_mov_b32 s17, 0
	s_mov_b32 s23, exec_lo
	v_cmpx_lt_i16_e32 0x7f, v91
	s_xor_b32 s23, exec_lo, s23
	s_cbranch_execz .LBB2_3326
; %bb.3169:                             ;   in Loop: Header=BB2_2968 Depth=3
	s_mov_b32 s17, -1
	s_mov_b32 s72, exec_lo
	v_cmpx_eq_u16_e32 0x80, v91
; %bb.3170:                             ;   in Loop: Header=BB2_2968 Depth=3
	s_xor_b32 s17, exec_lo, -1
; %bb.3171:                             ;   in Loop: Header=BB2_2968 Depth=3
	s_or_b32 exec_lo, exec_lo, s72
	s_and_b32 s17, s17, exec_lo
                                        ; implicit-def: $vgpr91
	s_or_saveexec_b32 s23, s23
	v_mov_b32_e32 v90, 0x7f800001
	s_xor_b32 exec_lo, exec_lo, s23
	s_cbranch_execnz .LBB2_3327
.LBB2_3172:                             ;   in Loop: Header=BB2_2968 Depth=3
	s_or_b32 exec_lo, exec_lo, s23
	s_and_saveexec_b32 s23, s17
	s_cbranch_execz .LBB2_3174
.LBB2_3173:                             ;   in Loop: Header=BB2_2968 Depth=3
	v_bfe_u32 v90, v14, 16, 2
	v_bfe_u32 v93, v14, 18, 5
	v_lshlrev_b32_e32 v94, 8, v14
	v_ffbh_u32_e32 v91, v90
	v_cmp_eq_u32_e64 s16, 0, v93
	v_min_u32_e32 v91, 32, v91
	v_subrev_nc_u32_e32 v92, 29, v91
	v_sub_nc_u32_e32 v91, 30, v91
	v_lshlrev_b32_sdwa v92, v92, v14 dst_sel:DWORD dst_unused:UNUSED_PAD src0_sel:DWORD src1_sel:WORD_1
	v_cndmask_b32_e64 v91, v93, v91, s16
	v_and_b32_e32 v92, 3, v92
	v_lshl_add_u32 v91, v91, 23, 0x37800000
	v_cndmask_b32_e64 v90, v90, v92, s16
	v_and_b32_e32 v92, 0x80000000, v94
	v_lshlrev_b32_e32 v90, 21, v90
	v_or3_b32 v90, v92, v91, v90
.LBB2_3174:                             ;   in Loop: Header=BB2_2968 Depth=3
	s_or_b32 exec_lo, exec_lo, s23
	v_and_b32_sdwa v92, v10, v112 dst_sel:DWORD dst_unused:UNUSED_PAD src0_sel:WORD_1 src1_sel:DWORD
	s_mov_b32 s17, 0
	s_mov_b32 s23, exec_lo
	v_cmpx_lt_i16_e32 0x7f, v92
	s_xor_b32 s23, exec_lo, s23
	s_cbranch_execz .LBB2_3328
; %bb.3175:                             ;   in Loop: Header=BB2_2968 Depth=3
	s_mov_b32 s17, -1
	s_mov_b32 s72, exec_lo
	v_cmpx_eq_u16_e32 0x80, v92
; %bb.3176:                             ;   in Loop: Header=BB2_2968 Depth=3
	s_xor_b32 s17, exec_lo, -1
; %bb.3177:                             ;   in Loop: Header=BB2_2968 Depth=3
	s_or_b32 exec_lo, exec_lo, s72
	s_and_b32 s17, s17, exec_lo
                                        ; implicit-def: $vgpr92
	s_or_saveexec_b32 s23, s23
	v_mov_b32_e32 v91, 0x7f800001
	s_xor_b32 exec_lo, exec_lo, s23
	s_cbranch_execnz .LBB2_3329
.LBB2_3178:                             ;   in Loop: Header=BB2_2968 Depth=3
	s_or_b32 exec_lo, exec_lo, s23
	s_and_saveexec_b32 s23, s17
	s_cbranch_execz .LBB2_3180
.LBB2_3179:                             ;   in Loop: Header=BB2_2968 Depth=3
	v_and_b32_sdwa v91, v10, v113 dst_sel:DWORD dst_unused:UNUSED_PAD src0_sel:WORD_1 src1_sel:DWORD
	v_bfe_u32 v94, v10, 18, 5
	v_lshlrev_b32_sdwa v95, v103, v10 dst_sel:DWORD dst_unused:UNUSED_PAD src0_sel:DWORD src1_sel:WORD_1
	v_ffbh_u32_e32 v92, v91
	v_cmp_eq_u32_e64 s16, 0, v94
	v_min_u32_e32 v92, 32, v92
	v_subrev_nc_u32_e32 v93, 29, v92
	v_sub_nc_u32_e32 v92, 30, v92
	v_lshlrev_b32_sdwa v93, v93, v10 dst_sel:DWORD dst_unused:UNUSED_PAD src0_sel:DWORD src1_sel:WORD_1
	v_cndmask_b32_e64 v92, v94, v92, s16
	v_and_b32_e32 v93, 3, v93
	v_lshl_add_u32 v92, v92, 23, 0x37800000
	v_cndmask_b32_e64 v91, v91, v93, s16
	v_and_b32_e32 v93, 0x80000000, v95
	v_lshlrev_b32_e32 v91, 21, v91
	v_or3_b32 v91, v93, v92, v91
.LBB2_3180:                             ;   in Loop: Header=BB2_2968 Depth=3
	s_or_b32 exec_lo, exec_lo, s23
	v_mul_f32_e32 v91, v90, v91
	v_and_b32_e32 v90, 0x7f800000, v91
	v_cmp_ne_u32_e64 s16, 0x7f800000, v90
	v_mov_b32_e32 v90, 0x80
	s_and_saveexec_b32 s23, s16
	s_cbranch_execz .LBB2_3188
; %bb.3181:                             ;   in Loop: Header=BB2_2968 Depth=3
	v_mov_b32_e32 v90, 0
	s_mov_b32 s72, exec_lo
	v_cmpx_ne_u32_e32 0, v91
	s_cbranch_execz .LBB2_3187
; %bb.3182:                             ;   in Loop: Header=BB2_2968 Depth=3
	v_bfe_u32 v90, v91, 23, 8
	v_and_b32_e32 v92, 0x7fffff, v91
	v_sub_nc_u32_e32 v93, 0x70, v90
	v_cmp_gt_u32_e64 s16, 0x71, v90
	v_or_b32_e32 v94, 0x800000, v92
	v_cndmask_b32_e64 v93, 0, v93, s16
	v_cmp_eq_u32_e64 s16, 0, v90
	v_add_nc_u32_e32 v90, 0xffffff91, v90
	v_cndmask_b32_e64 v93, v93, 0x6f, s16
	v_cndmask_b32_e64 v92, v94, v92, s16
	;; [unrolled: 1-line block ×3, first 2 shown]
	v_lshl_add_u32 v94, 0x200000, v93, -1
	v_lshrrev_b32_e32 v95, v93, v92
	v_lshlrev_b32_e64 v105, v93, 0x100000
	v_add_nc_u32_e32 v93, v93, v90
	v_and_b32_e32 v92, v94, v92
	v_bfe_u32 v104, v95, 21, 1
	v_cmp_eq_u32_e64 s17, v92, v105
	v_add_nc_u32_e32 v94, -1, v104
	v_cndmask_b32_e64 v92, 0, v94, s17
	v_lshrrev_b32_e32 v94, 23, v95
	s_mov_b32 s17, exec_lo
	v_add_nc_u32_e32 v92, v92, v95
	v_xor_b32_e32 v94, 1, v94
	v_and_b32_e32 v90, 0x1fffff, v92
	v_add_nc_u32_e32 v92, v90, v95
                                        ; implicit-def: $vgpr90
	v_cmpx_ne_u32_e64 v93, v94
	s_xor_b32 s17, exec_lo, s17
; %bb.3183:                             ;   in Loop: Header=BB2_2968 Depth=3
	v_cmp_lt_u32_e64 s16, 0xffffff, v92
	v_sub_nc_u32_e32 v90, v93, v94
	v_cndmask_b32_e64 v93, 0, 1, s16
	v_add_co_ci_u32_e64 v90, null, 0, v90, s16
	v_lshrrev_b32_e32 v92, v93, v92
; %bb.3184:                             ;   in Loop: Header=BB2_2968 Depth=3
	s_andn2_saveexec_b32 s16, s17
; %bb.3185:                             ;   in Loop: Header=BB2_2968 Depth=3
	v_bfe_u32 v90, v92, 23, 1
; %bb.3186:                             ;   in Loop: Header=BB2_2968 Depth=3
	s_or_b32 exec_lo, exec_lo, s16
	v_lshrrev_b32_e32 v92, 21, v92
	v_min_i32_e32 v93, 31, v90
	v_cmp_gt_i32_e64 s16, 32, v90
	v_and_b32_sdwa v91, v91, v101 dst_sel:DWORD dst_unused:UNUSED_PAD src0_sel:BYTE_3 src1_sel:DWORD
	v_lshlrev_b32_e32 v93, 2, v93
	v_cndmask_b32_e64 v92, 3, v92, s16
	v_and_b32_e32 v93, 0xfc, v93
	v_and_b32_e32 v94, 3, v92
	v_or_b32_e32 v90, v90, v92
	v_or3_b32 v91, v93, v91, v94
	v_cmp_ne_u32_e64 s16, 0, v90
	v_cndmask_b32_e64 v90, 0, v91, s16
.LBB2_3187:                             ;   in Loop: Header=BB2_2968 Depth=3
	s_or_b32 exec_lo, exec_lo, s72
.LBB2_3188:                             ;   in Loop: Header=BB2_2968 Depth=3
	s_or_b32 exec_lo, exec_lo, s23
	v_cmp_gt_i16_sdwa s17, v14, v100 src0_sel:BYTE_3 src1_sel:DWORD
	s_mov_b32 s16, 0
	s_and_saveexec_b32 s23, s17
	s_xor_b32 s17, exec_lo, s23
	s_cbranch_execz .LBB2_3330
; %bb.3189:                             ;   in Loop: Header=BB2_2968 Depth=3
	v_cmp_eq_u16_sdwa s72, v14, v101 src0_sel:BYTE_3 src1_sel:DWORD
	s_mov_b32 s16, -1
	s_and_saveexec_b32 s23, s72
; %bb.3190:                             ;   in Loop: Header=BB2_2968 Depth=3
	s_xor_b32 s16, exec_lo, -1
; %bb.3191:                             ;   in Loop: Header=BB2_2968 Depth=3
	s_or_b32 exec_lo, exec_lo, s23
	s_and_b32 s16, s16, exec_lo
	s_or_saveexec_b32 s17, s17
	v_mov_b32_e32 v91, 0x7f800001
	s_xor_b32 exec_lo, exec_lo, s17
	s_cbranch_execnz .LBB2_3331
.LBB2_3192:                             ;   in Loop: Header=BB2_2968 Depth=3
	s_or_b32 exec_lo, exec_lo, s17
	s_and_saveexec_b32 s17, s16
	s_cbranch_execz .LBB2_3194
.LBB2_3193:                             ;   in Loop: Header=BB2_2968 Depth=3
	v_bfe_u32 v91, v14, 24, 2
	v_bfe_u32 v94, v14, 26, 5
	v_ffbh_u32_e32 v92, v91
	v_cmp_eq_u32_e64 s16, 0, v94
	v_min_u32_e32 v92, 32, v92
	v_subrev_nc_u32_e32 v93, 29, v92
	v_sub_nc_u32_e32 v92, 30, v92
	v_lshlrev_b32_sdwa v93, v93, v14 dst_sel:DWORD dst_unused:UNUSED_PAD src0_sel:DWORD src1_sel:BYTE_3
	v_cndmask_b32_e64 v92, v94, v92, s16
	v_and_b32_e32 v14, 0x80000000, v14
	v_and_b32_e32 v93, 3, v93
	v_lshl_add_u32 v92, v92, 23, 0x37800000
	v_cndmask_b32_e64 v91, v91, v93, s16
	v_lshlrev_b32_e32 v91, 21, v91
	v_or3_b32 v91, v14, v92, v91
.LBB2_3194:                             ;   in Loop: Header=BB2_2968 Depth=3
	s_or_b32 exec_lo, exec_lo, s17
	v_cmp_gt_i16_sdwa s17, v10, v100 src0_sel:BYTE_3 src1_sel:DWORD
	s_mov_b32 s16, 0
	s_and_saveexec_b32 s23, s17
	s_xor_b32 s17, exec_lo, s23
	s_cbranch_execz .LBB2_3332
; %bb.3195:                             ;   in Loop: Header=BB2_2968 Depth=3
	v_cmp_eq_u16_sdwa s72, v10, v101 src0_sel:BYTE_3 src1_sel:DWORD
	s_mov_b32 s16, -1
	s_and_saveexec_b32 s23, s72
; %bb.3196:                             ;   in Loop: Header=BB2_2968 Depth=3
	s_xor_b32 s16, exec_lo, -1
; %bb.3197:                             ;   in Loop: Header=BB2_2968 Depth=3
	s_or_b32 exec_lo, exec_lo, s23
	s_and_b32 s16, s16, exec_lo
	s_or_saveexec_b32 s17, s17
	v_mov_b32_e32 v14, 0x7f800001
	s_xor_b32 exec_lo, exec_lo, s17
	s_cbranch_execnz .LBB2_3333
.LBB2_3198:                             ;   in Loop: Header=BB2_2968 Depth=3
	s_or_b32 exec_lo, exec_lo, s17
	s_and_saveexec_b32 s17, s16
	s_cbranch_execz .LBB2_3200
.LBB2_3199:                             ;   in Loop: Header=BB2_2968 Depth=3
	v_and_b32_sdwa v14, v10, v113 dst_sel:DWORD dst_unused:UNUSED_PAD src0_sel:BYTE_3 src1_sel:DWORD
	v_bfe_u32 v94, v10, 26, 5
	v_ffbh_u32_e32 v92, v14
	v_cmp_eq_u32_e64 s16, 0, v94
	v_min_u32_e32 v92, 32, v92
	v_subrev_nc_u32_e32 v93, 29, v92
	v_sub_nc_u32_e32 v92, 30, v92
	v_lshlrev_b32_sdwa v93, v93, v10 dst_sel:DWORD dst_unused:UNUSED_PAD src0_sel:DWORD src1_sel:BYTE_3
	v_cndmask_b32_e64 v92, v94, v92, s16
	v_and_b32_e32 v10, 0x80000000, v10
	v_and_b32_e32 v93, 3, v93
	v_lshl_add_u32 v92, v92, 23, 0x37800000
	v_cndmask_b32_e64 v14, v14, v93, s16
	v_lshlrev_b32_e32 v14, 21, v14
	v_or3_b32 v14, v10, v92, v14
.LBB2_3200:                             ;   in Loop: Header=BB2_2968 Depth=3
	s_or_b32 exec_lo, exec_lo, s17
	v_mul_f32_e32 v14, v91, v14
	v_and_b32_e32 v10, 0x7f800000, v14
	v_cmp_ne_u32_e64 s16, 0x7f800000, v10
	v_mov_b32_e32 v10, 0x8000
	s_and_saveexec_b32 s23, s16
	s_cbranch_execz .LBB2_3208
; %bb.3201:                             ;   in Loop: Header=BB2_2968 Depth=3
	v_mov_b32_e32 v10, 0
	s_mov_b32 s72, exec_lo
	v_cmpx_ne_u32_e32 0, v14
	s_cbranch_execz .LBB2_3207
; %bb.3202:                             ;   in Loop: Header=BB2_2968 Depth=3
	v_bfe_u32 v10, v14, 23, 8
	v_and_b32_e32 v91, 0x7fffff, v14
	v_sub_nc_u32_e32 v92, 0x70, v10
	v_cmp_gt_u32_e64 s16, 0x71, v10
	v_or_b32_e32 v93, 0x800000, v91
	v_cndmask_b32_e64 v92, 0, v92, s16
	v_cmp_eq_u32_e64 s16, 0, v10
	v_add_nc_u32_e32 v10, 0xffffff91, v10
	v_cndmask_b32_e64 v92, v92, 0x6f, s16
	v_cndmask_b32_e64 v91, v93, v91, s16
	;; [unrolled: 1-line block ×3, first 2 shown]
	v_lshl_add_u32 v93, 0x200000, v92, -1
	v_lshrrev_b32_e32 v94, v92, v91
	v_lshlrev_b32_e64 v104, v92, 0x100000
	v_add_nc_u32_e32 v92, v92, v10
	v_and_b32_e32 v91, v93, v91
	v_bfe_u32 v95, v94, 21, 1
	v_cmp_eq_u32_e64 s17, v91, v104
	v_add_nc_u32_e32 v93, -1, v95
	v_cndmask_b32_e64 v91, 0, v93, s17
	v_lshrrev_b32_e32 v93, 23, v94
	s_mov_b32 s17, exec_lo
	v_add_nc_u32_e32 v91, v91, v94
	v_xor_b32_e32 v93, 1, v93
	v_and_b32_e32 v10, 0x1fffff, v91
	v_add_nc_u32_e32 v91, v10, v94
                                        ; implicit-def: $vgpr10
	v_cmpx_ne_u32_e64 v92, v93
	s_xor_b32 s17, exec_lo, s17
; %bb.3203:                             ;   in Loop: Header=BB2_2968 Depth=3
	v_cmp_lt_u32_e64 s16, 0xffffff, v91
	v_sub_nc_u32_e32 v10, v92, v93
	v_cndmask_b32_e64 v92, 0, 1, s16
	v_add_co_ci_u32_e64 v10, null, 0, v10, s16
	v_lshrrev_b32_e32 v91, v92, v91
; %bb.3204:                             ;   in Loop: Header=BB2_2968 Depth=3
	s_andn2_saveexec_b32 s16, s17
; %bb.3205:                             ;   in Loop: Header=BB2_2968 Depth=3
	v_bfe_u32 v10, v91, 23, 1
; %bb.3206:                             ;   in Loop: Header=BB2_2968 Depth=3
	s_or_b32 exec_lo, exec_lo, s16
	v_lshrrev_b32_e32 v91, 21, v91
	v_min_i32_e32 v92, 31, v10
	v_cmp_gt_i32_e64 s16, 32, v10
	v_and_b32_sdwa v14, v14, v101 dst_sel:DWORD dst_unused:UNUSED_PAD src0_sel:BYTE_3 src1_sel:DWORD
	v_lshlrev_b32_e32 v92, 2, v92
	v_cndmask_b32_e64 v91, 3, v91, s16
	v_and_b32_e32 v92, 0xfc, v92
	v_and_b32_e32 v93, 3, v91
	v_or_b32_e32 v10, v10, v91
	v_or3_b32 v14, v14, v92, v93
	v_cmp_ne_u32_e64 s16, 0, v10
	v_lshlrev_b32_e32 v14, 8, v14
	v_cndmask_b32_e64 v10, 0, v14, s16
.LBB2_3207:                             ;   in Loop: Header=BB2_2968 Depth=3
	s_or_b32 exec_lo, exec_lo, s72
.LBB2_3208:                             ;   in Loop: Header=BB2_2968 Depth=3
	s_or_b32 exec_lo, exec_lo, s23
	v_cmp_gt_i16_sdwa s17, v15, v100 src0_sel:BYTE_0 src1_sel:DWORD
	s_mov_b32 s16, 0
	s_and_saveexec_b32 s23, s17
	s_xor_b32 s17, exec_lo, s23
	s_cbranch_execz .LBB2_3334
; %bb.3209:                             ;   in Loop: Header=BB2_2968 Depth=3
	v_cmp_eq_u16_sdwa s72, v15, v101 src0_sel:BYTE_0 src1_sel:DWORD
	s_mov_b32 s16, -1
	s_and_saveexec_b32 s23, s72
; %bb.3210:                             ;   in Loop: Header=BB2_2968 Depth=3
	s_xor_b32 s16, exec_lo, -1
; %bb.3211:                             ;   in Loop: Header=BB2_2968 Depth=3
	s_or_b32 exec_lo, exec_lo, s23
	s_and_b32 s16, s16, exec_lo
	s_or_saveexec_b32 s17, s17
	v_mov_b32_e32 v14, 0x7f800001
	s_xor_b32 exec_lo, exec_lo, s17
	s_cbranch_execnz .LBB2_3335
.LBB2_3212:                             ;   in Loop: Header=BB2_2968 Depth=3
	s_or_b32 exec_lo, exec_lo, s17
	s_and_saveexec_b32 s17, s16
	s_cbranch_execz .LBB2_3214
.LBB2_3213:                             ;   in Loop: Header=BB2_2968 Depth=3
	v_and_b32_e32 v14, 3, v15
	v_bfe_u32 v93, v15, 2, 5
	v_lshlrev_b32_e32 v94, 24, v15
	v_ffbh_u32_e32 v91, v14
	v_cmp_eq_u32_e64 s16, 0, v93
	v_min_u32_e32 v91, 32, v91
	v_subrev_nc_u32_e32 v92, 29, v91
	v_sub_nc_u32_e32 v91, 30, v91
	v_lshlrev_b32_e32 v92, v92, v15
	v_cndmask_b32_e64 v91, v93, v91, s16
	v_and_b32_e32 v92, 3, v92
	v_lshl_add_u32 v91, v91, 23, 0x37800000
	v_cndmask_b32_e64 v14, v14, v92, s16
	v_and_b32_e32 v92, 0x80000000, v94
	v_lshlrev_b32_e32 v14, 21, v14
	v_or3_b32 v14, v92, v91, v14
.LBB2_3214:                             ;   in Loop: Header=BB2_2968 Depth=3
	s_or_b32 exec_lo, exec_lo, s17
	v_cmp_gt_i16_sdwa s17, v11, v100 src0_sel:BYTE_0 src1_sel:DWORD
	s_mov_b32 s16, 0
	s_and_saveexec_b32 s23, s17
	s_xor_b32 s17, exec_lo, s23
	s_cbranch_execz .LBB2_3336
; %bb.3215:                             ;   in Loop: Header=BB2_2968 Depth=3
	v_cmp_eq_u16_sdwa s72, v11, v101 src0_sel:BYTE_0 src1_sel:DWORD
	s_mov_b32 s16, -1
	s_and_saveexec_b32 s23, s72
; %bb.3216:                             ;   in Loop: Header=BB2_2968 Depth=3
	s_xor_b32 s16, exec_lo, -1
; %bb.3217:                             ;   in Loop: Header=BB2_2968 Depth=3
	s_or_b32 exec_lo, exec_lo, s23
	s_and_b32 s16, s16, exec_lo
	s_or_saveexec_b32 s17, s17
	v_mov_b32_e32 v91, 0x7f800001
	s_xor_b32 exec_lo, exec_lo, s17
	s_cbranch_execnz .LBB2_3337
.LBB2_3218:                             ;   in Loop: Header=BB2_2968 Depth=3
	s_or_b32 exec_lo, exec_lo, s17
	s_and_saveexec_b32 s17, s16
	s_cbranch_execz .LBB2_3220
.LBB2_3219:                             ;   in Loop: Header=BB2_2968 Depth=3
	v_and_b32_e32 v91, 3, v11
	v_bfe_u32 v94, v11, 2, 5
	v_lshlrev_b32_e32 v95, 24, v11
	v_ffbh_u32_e32 v92, v91
	v_cmp_eq_u32_e64 s16, 0, v94
	v_min_u32_e32 v92, 32, v92
	v_subrev_nc_u32_e32 v93, 29, v92
	v_sub_nc_u32_e32 v92, 30, v92
	v_lshlrev_b32_e32 v93, v93, v11
	v_cndmask_b32_e64 v92, v94, v92, s16
	v_and_b32_e32 v93, 3, v93
	v_lshl_add_u32 v92, v92, 23, 0x37800000
	v_cndmask_b32_e64 v91, v91, v93, s16
	v_and_b32_e32 v93, 0x80000000, v95
	v_lshlrev_b32_e32 v91, 21, v91
	v_or3_b32 v91, v93, v92, v91
.LBB2_3220:                             ;   in Loop: Header=BB2_2968 Depth=3
	s_or_b32 exec_lo, exec_lo, s17
	v_mul_f32_e32 v91, v14, v91
	v_and_b32_e32 v14, 0x7f800000, v91
	v_cmp_ne_u32_e64 s16, 0x7f800000, v14
	v_mov_b32_e32 v14, 0x80
	s_and_saveexec_b32 s23, s16
	s_cbranch_execz .LBB2_3228
; %bb.3221:                             ;   in Loop: Header=BB2_2968 Depth=3
	v_mov_b32_e32 v14, 0
	s_mov_b32 s72, exec_lo
	v_cmpx_ne_u32_e32 0, v91
	s_cbranch_execz .LBB2_3227
; %bb.3222:                             ;   in Loop: Header=BB2_2968 Depth=3
	v_bfe_u32 v14, v91, 23, 8
	v_and_b32_e32 v92, 0x7fffff, v91
	v_sub_nc_u32_e32 v93, 0x70, v14
	v_cmp_gt_u32_e64 s16, 0x71, v14
	v_or_b32_e32 v94, 0x800000, v92
	v_cndmask_b32_e64 v93, 0, v93, s16
	v_cmp_eq_u32_e64 s16, 0, v14
	v_add_nc_u32_e32 v14, 0xffffff91, v14
	v_cndmask_b32_e64 v93, v93, 0x6f, s16
	v_cndmask_b32_e64 v92, v94, v92, s16
	;; [unrolled: 1-line block ×3, first 2 shown]
	v_lshl_add_u32 v94, 0x200000, v93, -1
	v_lshrrev_b32_e32 v95, v93, v92
	v_lshlrev_b32_e64 v105, v93, 0x100000
	v_add_nc_u32_e32 v93, v93, v14
	v_and_b32_e32 v92, v94, v92
	v_bfe_u32 v104, v95, 21, 1
	v_cmp_eq_u32_e64 s17, v92, v105
	v_add_nc_u32_e32 v94, -1, v104
	v_cndmask_b32_e64 v92, 0, v94, s17
	v_lshrrev_b32_e32 v94, 23, v95
	s_mov_b32 s17, exec_lo
	v_add_nc_u32_e32 v92, v92, v95
	v_xor_b32_e32 v94, 1, v94
	v_and_b32_e32 v14, 0x1fffff, v92
	v_add_nc_u32_e32 v92, v14, v95
                                        ; implicit-def: $vgpr14
	v_cmpx_ne_u32_e64 v93, v94
	s_xor_b32 s17, exec_lo, s17
; %bb.3223:                             ;   in Loop: Header=BB2_2968 Depth=3
	v_cmp_lt_u32_e64 s16, 0xffffff, v92
	v_sub_nc_u32_e32 v14, v93, v94
	v_cndmask_b32_e64 v93, 0, 1, s16
	v_add_co_ci_u32_e64 v14, null, 0, v14, s16
	v_lshrrev_b32_e32 v92, v93, v92
; %bb.3224:                             ;   in Loop: Header=BB2_2968 Depth=3
	s_andn2_saveexec_b32 s16, s17
; %bb.3225:                             ;   in Loop: Header=BB2_2968 Depth=3
	v_bfe_u32 v14, v92, 23, 1
; %bb.3226:                             ;   in Loop: Header=BB2_2968 Depth=3
	s_or_b32 exec_lo, exec_lo, s16
	v_lshrrev_b32_e32 v92, 21, v92
	v_min_i32_e32 v93, 31, v14
	v_cmp_gt_i32_e64 s16, 32, v14
	v_and_b32_sdwa v91, v91, v101 dst_sel:DWORD dst_unused:UNUSED_PAD src0_sel:BYTE_3 src1_sel:DWORD
	v_lshlrev_b32_e32 v93, 2, v93
	v_cndmask_b32_e64 v92, 3, v92, s16
	v_and_b32_e32 v93, 0xfc, v93
	v_and_b32_e32 v94, 3, v92
	v_or_b32_e32 v14, v14, v92
	v_or3_b32 v91, v93, v91, v94
	v_cmp_ne_u32_e64 s16, 0, v14
	v_cndmask_b32_e64 v14, 0, v91, s16
.LBB2_3227:                             ;   in Loop: Header=BB2_2968 Depth=3
	s_or_b32 exec_lo, exec_lo, s72
.LBB2_3228:                             ;   in Loop: Header=BB2_2968 Depth=3
	s_or_b32 exec_lo, exec_lo, s23
	v_cmp_gt_i16_sdwa s17, v15, v100 src0_sel:BYTE_1 src1_sel:DWORD
	s_mov_b32 s16, 0
	s_and_saveexec_b32 s23, s17
	s_xor_b32 s17, exec_lo, s23
	s_cbranch_execz .LBB2_3338
; %bb.3229:                             ;   in Loop: Header=BB2_2968 Depth=3
	v_cmp_eq_u16_sdwa s72, v15, v101 src0_sel:BYTE_1 src1_sel:DWORD
	s_mov_b32 s16, -1
	s_and_saveexec_b32 s23, s72
; %bb.3230:                             ;   in Loop: Header=BB2_2968 Depth=3
	s_xor_b32 s16, exec_lo, -1
; %bb.3231:                             ;   in Loop: Header=BB2_2968 Depth=3
	s_or_b32 exec_lo, exec_lo, s23
	s_and_b32 s16, s16, exec_lo
	s_or_saveexec_b32 s17, s17
	v_mov_b32_e32 v91, 0x7f800001
	s_xor_b32 exec_lo, exec_lo, s17
	s_cbranch_execnz .LBB2_3339
.LBB2_3232:                             ;   in Loop: Header=BB2_2968 Depth=3
	s_or_b32 exec_lo, exec_lo, s17
	s_and_saveexec_b32 s17, s16
	s_cbranch_execz .LBB2_3234
.LBB2_3233:                             ;   in Loop: Header=BB2_2968 Depth=3
	v_and_b32_sdwa v91, v102, v15 dst_sel:DWORD dst_unused:UNUSED_PAD src0_sel:DWORD src1_sel:BYTE_1
	v_and_b32_e32 v92, 3, v91
	v_bfe_u32 v95, v91, 2, 5
	v_ffbh_u32_e32 v93, v92
	v_cmp_eq_u32_e64 s16, 0, v95
	v_min_u32_e32 v93, 32, v93
	v_subrev_nc_u32_e32 v94, 29, v93
	v_sub_nc_u32_e32 v93, 30, v93
	v_lshlrev_b32_e32 v91, v94, v91
	v_lshlrev_b32_sdwa v94, v103, v15 dst_sel:DWORD dst_unused:UNUSED_PAD src0_sel:DWORD src1_sel:BYTE_1
	v_cndmask_b32_e64 v93, v95, v93, s16
	v_and_b32_e32 v91, 3, v91
	v_lshl_add_u32 v93, v93, 23, 0x37800000
	v_cndmask_b32_e64 v91, v92, v91, s16
	v_and_b32_e32 v92, 0x80000000, v94
	v_lshlrev_b32_e32 v91, 21, v91
	v_or3_b32 v91, v92, v93, v91
.LBB2_3234:                             ;   in Loop: Header=BB2_2968 Depth=3
	s_or_b32 exec_lo, exec_lo, s17
	v_cmp_gt_i16_sdwa s17, v11, v100 src0_sel:BYTE_1 src1_sel:DWORD
	s_mov_b32 s16, 0
	s_and_saveexec_b32 s23, s17
	s_xor_b32 s17, exec_lo, s23
	s_cbranch_execz .LBB2_3340
; %bb.3235:                             ;   in Loop: Header=BB2_2968 Depth=3
	v_cmp_eq_u16_sdwa s72, v11, v101 src0_sel:BYTE_1 src1_sel:DWORD
	s_mov_b32 s16, -1
	s_and_saveexec_b32 s23, s72
; %bb.3236:                             ;   in Loop: Header=BB2_2968 Depth=3
	s_xor_b32 s16, exec_lo, -1
; %bb.3237:                             ;   in Loop: Header=BB2_2968 Depth=3
	s_or_b32 exec_lo, exec_lo, s23
	s_and_b32 s16, s16, exec_lo
	s_or_saveexec_b32 s17, s17
	v_mov_b32_e32 v92, 0x7f800001
	s_xor_b32 exec_lo, exec_lo, s17
	s_cbranch_execnz .LBB2_3341
.LBB2_3238:                             ;   in Loop: Header=BB2_2968 Depth=3
	s_or_b32 exec_lo, exec_lo, s17
	s_and_saveexec_b32 s17, s16
	s_cbranch_execz .LBB2_3240
.LBB2_3239:                             ;   in Loop: Header=BB2_2968 Depth=3
	v_and_b32_sdwa v92, v102, v11 dst_sel:DWORD dst_unused:UNUSED_PAD src0_sel:DWORD src1_sel:BYTE_1
	v_and_b32_e32 v93, 3, v92
	v_bfe_u32 v104, v92, 2, 5
	v_ffbh_u32_e32 v94, v93
	v_cmp_eq_u32_e64 s16, 0, v104
	v_min_u32_e32 v94, 32, v94
	v_subrev_nc_u32_e32 v95, 29, v94
	v_sub_nc_u32_e32 v94, 30, v94
	v_lshlrev_b32_e32 v92, v95, v92
	v_lshlrev_b32_sdwa v95, v103, v11 dst_sel:DWORD dst_unused:UNUSED_PAD src0_sel:DWORD src1_sel:BYTE_1
	v_cndmask_b32_e64 v94, v104, v94, s16
	v_and_b32_e32 v92, 3, v92
	v_lshl_add_u32 v94, v94, 23, 0x37800000
	v_cndmask_b32_e64 v92, v93, v92, s16
	v_and_b32_e32 v93, 0x80000000, v95
	v_lshlrev_b32_e32 v92, 21, v92
	v_or3_b32 v92, v93, v94, v92
.LBB2_3240:                             ;   in Loop: Header=BB2_2968 Depth=3
	s_or_b32 exec_lo, exec_lo, s17
	v_mul_f32_e32 v92, v91, v92
	v_and_b32_e32 v91, 0x7f800000, v92
	v_cmp_ne_u32_e64 s16, 0x7f800000, v91
	v_mov_b32_e32 v91, 0x8000
	s_and_saveexec_b32 s23, s16
	s_cbranch_execz .LBB2_3248
; %bb.3241:                             ;   in Loop: Header=BB2_2968 Depth=3
	v_mov_b32_e32 v91, 0
	s_mov_b32 s72, exec_lo
	v_cmpx_ne_u32_e32 0, v92
	s_cbranch_execz .LBB2_3247
; %bb.3242:                             ;   in Loop: Header=BB2_2968 Depth=3
	v_bfe_u32 v91, v92, 23, 8
	v_and_b32_e32 v93, 0x7fffff, v92
	v_sub_nc_u32_e32 v94, 0x70, v91
	v_cmp_gt_u32_e64 s16, 0x71, v91
	v_or_b32_e32 v95, 0x800000, v93
	v_cndmask_b32_e64 v94, 0, v94, s16
	v_cmp_eq_u32_e64 s16, 0, v91
	v_add_nc_u32_e32 v91, 0xffffff91, v91
	v_cndmask_b32_e64 v94, v94, 0x6f, s16
	v_cndmask_b32_e64 v93, v95, v93, s16
	;; [unrolled: 1-line block ×3, first 2 shown]
	v_lshl_add_u32 v95, 0x200000, v94, -1
	v_lshrrev_b32_e32 v104, v94, v93
	v_lshlrev_b32_e64 v106, v94, 0x100000
	v_add_nc_u32_e32 v94, v94, v91
	v_and_b32_e32 v93, v95, v93
	v_bfe_u32 v105, v104, 21, 1
	v_cmp_eq_u32_e64 s17, v93, v106
	v_add_nc_u32_e32 v95, -1, v105
	v_cndmask_b32_e64 v93, 0, v95, s17
	v_lshrrev_b32_e32 v95, 23, v104
	s_mov_b32 s17, exec_lo
	v_add_nc_u32_e32 v93, v93, v104
	v_xor_b32_e32 v95, 1, v95
	v_and_b32_e32 v91, 0x1fffff, v93
	v_add_nc_u32_e32 v93, v91, v104
                                        ; implicit-def: $vgpr91
	v_cmpx_ne_u32_e64 v94, v95
	s_xor_b32 s17, exec_lo, s17
; %bb.3243:                             ;   in Loop: Header=BB2_2968 Depth=3
	v_cmp_lt_u32_e64 s16, 0xffffff, v93
	v_sub_nc_u32_e32 v91, v94, v95
	v_cndmask_b32_e64 v94, 0, 1, s16
	v_add_co_ci_u32_e64 v91, null, 0, v91, s16
	v_lshrrev_b32_e32 v93, v94, v93
; %bb.3244:                             ;   in Loop: Header=BB2_2968 Depth=3
	s_andn2_saveexec_b32 s16, s17
; %bb.3245:                             ;   in Loop: Header=BB2_2968 Depth=3
	v_bfe_u32 v91, v93, 23, 1
; %bb.3246:                             ;   in Loop: Header=BB2_2968 Depth=3
	s_or_b32 exec_lo, exec_lo, s16
	v_lshrrev_b32_e32 v93, 21, v93
	v_min_i32_e32 v94, 31, v91
	v_cmp_gt_i32_e64 s16, 32, v91
	v_and_b32_sdwa v92, v92, v101 dst_sel:DWORD dst_unused:UNUSED_PAD src0_sel:BYTE_3 src1_sel:DWORD
	v_lshlrev_b32_e32 v94, 2, v94
	v_cndmask_b32_e64 v93, 3, v93, s16
	v_and_b32_e32 v94, 0xfc, v94
	v_and_b32_e32 v95, 3, v93
	v_or_b32_e32 v91, v91, v93
	v_or3_b32 v92, v92, v94, v95
	v_cmp_ne_u32_e64 s16, 0, v91
	v_lshlrev_b32_e32 v92, 8, v92
	v_cndmask_b32_e64 v91, 0, v92, s16
.LBB2_3247:                             ;   in Loop: Header=BB2_2968 Depth=3
	s_or_b32 exec_lo, exec_lo, s72
.LBB2_3248:                             ;   in Loop: Header=BB2_2968 Depth=3
	s_or_b32 exec_lo, exec_lo, s23
	v_and_b32_sdwa v93, v15, v112 dst_sel:DWORD dst_unused:UNUSED_PAD src0_sel:WORD_1 src1_sel:DWORD
	s_mov_b32 s17, 0
	s_mov_b32 s23, exec_lo
	v_cmpx_lt_i16_e32 0x7f, v93
	s_xor_b32 s23, exec_lo, s23
	s_cbranch_execz .LBB2_3342
; %bb.3249:                             ;   in Loop: Header=BB2_2968 Depth=3
	s_mov_b32 s17, -1
	s_mov_b32 s72, exec_lo
	v_cmpx_eq_u16_e32 0x80, v93
; %bb.3250:                             ;   in Loop: Header=BB2_2968 Depth=3
	s_xor_b32 s17, exec_lo, -1
; %bb.3251:                             ;   in Loop: Header=BB2_2968 Depth=3
	s_or_b32 exec_lo, exec_lo, s72
	s_and_b32 s17, s17, exec_lo
                                        ; implicit-def: $vgpr93
	s_or_saveexec_b32 s23, s23
	v_mov_b32_e32 v92, 0x7f800001
	s_xor_b32 exec_lo, exec_lo, s23
	s_cbranch_execnz .LBB2_3343
.LBB2_3252:                             ;   in Loop: Header=BB2_2968 Depth=3
	s_or_b32 exec_lo, exec_lo, s23
	s_and_saveexec_b32 s23, s17
	s_cbranch_execz .LBB2_3254
.LBB2_3253:                             ;   in Loop: Header=BB2_2968 Depth=3
	v_bfe_u32 v92, v15, 16, 2
	v_bfe_u32 v95, v15, 18, 5
	v_lshlrev_b32_e32 v104, 8, v15
	v_ffbh_u32_e32 v93, v92
	v_cmp_eq_u32_e64 s16, 0, v95
	v_min_u32_e32 v93, 32, v93
	v_subrev_nc_u32_e32 v94, 29, v93
	v_sub_nc_u32_e32 v93, 30, v93
	v_lshlrev_b32_sdwa v94, v94, v15 dst_sel:DWORD dst_unused:UNUSED_PAD src0_sel:DWORD src1_sel:WORD_1
	v_cndmask_b32_e64 v93, v95, v93, s16
	v_and_b32_e32 v94, 3, v94
	v_lshl_add_u32 v93, v93, 23, 0x37800000
	v_cndmask_b32_e64 v92, v92, v94, s16
	v_and_b32_e32 v94, 0x80000000, v104
	v_lshlrev_b32_e32 v92, 21, v92
	v_or3_b32 v92, v94, v93, v92
.LBB2_3254:                             ;   in Loop: Header=BB2_2968 Depth=3
	s_or_b32 exec_lo, exec_lo, s23
	v_and_b32_sdwa v94, v11, v112 dst_sel:DWORD dst_unused:UNUSED_PAD src0_sel:WORD_1 src1_sel:DWORD
	s_mov_b32 s17, 0
	s_mov_b32 s23, exec_lo
	v_cmpx_lt_i16_e32 0x7f, v94
	s_xor_b32 s23, exec_lo, s23
	s_cbranch_execz .LBB2_3344
; %bb.3255:                             ;   in Loop: Header=BB2_2968 Depth=3
	s_mov_b32 s17, -1
	s_mov_b32 s72, exec_lo
	v_cmpx_eq_u16_e32 0x80, v94
; %bb.3256:                             ;   in Loop: Header=BB2_2968 Depth=3
	s_xor_b32 s17, exec_lo, -1
; %bb.3257:                             ;   in Loop: Header=BB2_2968 Depth=3
	s_or_b32 exec_lo, exec_lo, s72
	s_and_b32 s17, s17, exec_lo
                                        ; implicit-def: $vgpr94
	s_or_saveexec_b32 s23, s23
	v_mov_b32_e32 v93, 0x7f800001
	s_xor_b32 exec_lo, exec_lo, s23
	s_cbranch_execnz .LBB2_3345
.LBB2_3258:                             ;   in Loop: Header=BB2_2968 Depth=3
	s_or_b32 exec_lo, exec_lo, s23
	s_and_saveexec_b32 s23, s17
	s_cbranch_execz .LBB2_3260
.LBB2_3259:                             ;   in Loop: Header=BB2_2968 Depth=3
	v_and_b32_sdwa v93, v11, v113 dst_sel:DWORD dst_unused:UNUSED_PAD src0_sel:WORD_1 src1_sel:DWORD
	v_bfe_u32 v104, v11, 18, 5
	v_lshlrev_b32_sdwa v105, v103, v11 dst_sel:DWORD dst_unused:UNUSED_PAD src0_sel:DWORD src1_sel:WORD_1
	v_ffbh_u32_e32 v94, v93
	v_cmp_eq_u32_e64 s16, 0, v104
	v_min_u32_e32 v94, 32, v94
	v_subrev_nc_u32_e32 v95, 29, v94
	v_sub_nc_u32_e32 v94, 30, v94
	v_lshlrev_b32_sdwa v95, v95, v11 dst_sel:DWORD dst_unused:UNUSED_PAD src0_sel:DWORD src1_sel:WORD_1
	v_cndmask_b32_e64 v94, v104, v94, s16
	v_and_b32_e32 v95, 3, v95
	v_lshl_add_u32 v94, v94, 23, 0x37800000
	v_cndmask_b32_e64 v93, v93, v95, s16
	v_and_b32_e32 v95, 0x80000000, v105
	v_lshlrev_b32_e32 v93, 21, v93
	v_or3_b32 v93, v95, v94, v93
.LBB2_3260:                             ;   in Loop: Header=BB2_2968 Depth=3
	s_or_b32 exec_lo, exec_lo, s23
	v_mul_f32_e32 v93, v92, v93
	v_and_b32_e32 v92, 0x7f800000, v93
	v_cmp_ne_u32_e64 s16, 0x7f800000, v92
	v_mov_b32_e32 v92, 0x80
	s_and_saveexec_b32 s23, s16
	s_cbranch_execz .LBB2_3268
; %bb.3261:                             ;   in Loop: Header=BB2_2968 Depth=3
	v_mov_b32_e32 v92, 0
	s_mov_b32 s72, exec_lo
	v_cmpx_ne_u32_e32 0, v93
	s_cbranch_execz .LBB2_3267
; %bb.3262:                             ;   in Loop: Header=BB2_2968 Depth=3
	v_bfe_u32 v92, v93, 23, 8
	v_and_b32_e32 v94, 0x7fffff, v93
	v_sub_nc_u32_e32 v95, 0x70, v92
	v_cmp_gt_u32_e64 s16, 0x71, v92
	v_or_b32_e32 v104, 0x800000, v94
	v_cndmask_b32_e64 v95, 0, v95, s16
	v_cmp_eq_u32_e64 s16, 0, v92
	v_add_nc_u32_e32 v92, 0xffffff91, v92
	v_cndmask_b32_e64 v95, v95, 0x6f, s16
	v_cndmask_b32_e64 v94, v104, v94, s16
	v_cndmask_b32_e64 v92, v92, 0xffffff92, s16
	v_lshl_add_u32 v104, 0x200000, v95, -1
	v_lshrrev_b32_e32 v105, v95, v94
	v_lshlrev_b32_e64 v107, v95, 0x100000
	v_add_nc_u32_e32 v95, v95, v92
	v_and_b32_e32 v94, v104, v94
	v_bfe_u32 v106, v105, 21, 1
	v_cmp_eq_u32_e64 s17, v94, v107
	v_add_nc_u32_e32 v104, -1, v106
	v_cndmask_b32_e64 v94, 0, v104, s17
	v_lshrrev_b32_e32 v104, 23, v105
	s_mov_b32 s17, exec_lo
	v_add_nc_u32_e32 v94, v94, v105
	v_xor_b32_e32 v104, 1, v104
	v_and_b32_e32 v92, 0x1fffff, v94
	v_add_nc_u32_e32 v94, v92, v105
                                        ; implicit-def: $vgpr92
	v_cmpx_ne_u32_e64 v95, v104
	s_xor_b32 s17, exec_lo, s17
; %bb.3263:                             ;   in Loop: Header=BB2_2968 Depth=3
	v_cmp_lt_u32_e64 s16, 0xffffff, v94
	v_sub_nc_u32_e32 v92, v95, v104
	v_cndmask_b32_e64 v95, 0, 1, s16
	v_add_co_ci_u32_e64 v92, null, 0, v92, s16
	v_lshrrev_b32_e32 v94, v95, v94
; %bb.3264:                             ;   in Loop: Header=BB2_2968 Depth=3
	s_andn2_saveexec_b32 s16, s17
; %bb.3265:                             ;   in Loop: Header=BB2_2968 Depth=3
	v_bfe_u32 v92, v94, 23, 1
; %bb.3266:                             ;   in Loop: Header=BB2_2968 Depth=3
	s_or_b32 exec_lo, exec_lo, s16
	v_lshrrev_b32_e32 v94, 21, v94
	v_min_i32_e32 v95, 31, v92
	v_cmp_gt_i32_e64 s16, 32, v92
	v_and_b32_sdwa v93, v93, v101 dst_sel:DWORD dst_unused:UNUSED_PAD src0_sel:BYTE_3 src1_sel:DWORD
	v_lshlrev_b32_e32 v95, 2, v95
	v_cndmask_b32_e64 v94, 3, v94, s16
	v_and_b32_e32 v95, 0xfc, v95
	v_and_b32_e32 v104, 3, v94
	v_or_b32_e32 v92, v92, v94
	v_or3_b32 v93, v95, v93, v104
	v_cmp_ne_u32_e64 s16, 0, v92
	v_cndmask_b32_e64 v92, 0, v93, s16
.LBB2_3267:                             ;   in Loop: Header=BB2_2968 Depth=3
	s_or_b32 exec_lo, exec_lo, s72
.LBB2_3268:                             ;   in Loop: Header=BB2_2968 Depth=3
	s_or_b32 exec_lo, exec_lo, s23
	v_cmp_gt_i16_sdwa s17, v15, v100 src0_sel:BYTE_3 src1_sel:DWORD
	s_mov_b32 s16, 0
	s_and_saveexec_b32 s23, s17
	s_xor_b32 s17, exec_lo, s23
	s_cbranch_execz .LBB2_3346
; %bb.3269:                             ;   in Loop: Header=BB2_2968 Depth=3
	v_cmp_eq_u16_sdwa s72, v15, v101 src0_sel:BYTE_3 src1_sel:DWORD
	s_mov_b32 s16, -1
	s_and_saveexec_b32 s23, s72
; %bb.3270:                             ;   in Loop: Header=BB2_2968 Depth=3
	s_xor_b32 s16, exec_lo, -1
; %bb.3271:                             ;   in Loop: Header=BB2_2968 Depth=3
	s_or_b32 exec_lo, exec_lo, s23
	s_and_b32 s16, s16, exec_lo
	s_or_saveexec_b32 s17, s17
	v_mov_b32_e32 v93, 0x7f800001
	s_xor_b32 exec_lo, exec_lo, s17
	s_cbranch_execnz .LBB2_3347
.LBB2_3272:                             ;   in Loop: Header=BB2_2968 Depth=3
	s_or_b32 exec_lo, exec_lo, s17
	s_and_saveexec_b32 s17, s16
	s_cbranch_execz .LBB2_3274
.LBB2_3273:                             ;   in Loop: Header=BB2_2968 Depth=3
	v_bfe_u32 v93, v15, 24, 2
	v_bfe_u32 v104, v15, 26, 5
	v_ffbh_u32_e32 v94, v93
	v_cmp_eq_u32_e64 s16, 0, v104
	v_min_u32_e32 v94, 32, v94
	v_subrev_nc_u32_e32 v95, 29, v94
	v_sub_nc_u32_e32 v94, 30, v94
	v_lshlrev_b32_sdwa v95, v95, v15 dst_sel:DWORD dst_unused:UNUSED_PAD src0_sel:DWORD src1_sel:BYTE_3
	v_cndmask_b32_e64 v94, v104, v94, s16
	v_and_b32_e32 v15, 0x80000000, v15
	v_and_b32_e32 v95, 3, v95
	v_lshl_add_u32 v94, v94, 23, 0x37800000
	v_cndmask_b32_e64 v93, v93, v95, s16
	v_lshlrev_b32_e32 v93, 21, v93
	v_or3_b32 v93, v15, v94, v93
.LBB2_3274:                             ;   in Loop: Header=BB2_2968 Depth=3
	s_or_b32 exec_lo, exec_lo, s17
	v_cmp_gt_i16_sdwa s17, v11, v100 src0_sel:BYTE_3 src1_sel:DWORD
	s_mov_b32 s16, 0
	s_and_saveexec_b32 s23, s17
	s_xor_b32 s17, exec_lo, s23
	s_cbranch_execz .LBB2_3348
; %bb.3275:                             ;   in Loop: Header=BB2_2968 Depth=3
	v_cmp_eq_u16_sdwa s72, v11, v101 src0_sel:BYTE_3 src1_sel:DWORD
	s_mov_b32 s16, -1
	s_and_saveexec_b32 s23, s72
; %bb.3276:                             ;   in Loop: Header=BB2_2968 Depth=3
	s_xor_b32 s16, exec_lo, -1
; %bb.3277:                             ;   in Loop: Header=BB2_2968 Depth=3
	s_or_b32 exec_lo, exec_lo, s23
	s_and_b32 s16, s16, exec_lo
	s_or_saveexec_b32 s17, s17
	v_mov_b32_e32 v15, 0x7f800001
	s_xor_b32 exec_lo, exec_lo, s17
	s_cbranch_execnz .LBB2_3349
.LBB2_3278:                             ;   in Loop: Header=BB2_2968 Depth=3
	s_or_b32 exec_lo, exec_lo, s17
	s_and_saveexec_b32 s17, s16
	s_cbranch_execz .LBB2_3280
.LBB2_3279:                             ;   in Loop: Header=BB2_2968 Depth=3
	v_and_b32_sdwa v15, v11, v113 dst_sel:DWORD dst_unused:UNUSED_PAD src0_sel:BYTE_3 src1_sel:DWORD
	v_bfe_u32 v104, v11, 26, 5
	v_ffbh_u32_e32 v94, v15
	v_cmp_eq_u32_e64 s16, 0, v104
	v_min_u32_e32 v94, 32, v94
	v_subrev_nc_u32_e32 v95, 29, v94
	v_sub_nc_u32_e32 v94, 30, v94
	v_lshlrev_b32_sdwa v95, v95, v11 dst_sel:DWORD dst_unused:UNUSED_PAD src0_sel:DWORD src1_sel:BYTE_3
	v_cndmask_b32_e64 v94, v104, v94, s16
	v_and_b32_e32 v11, 0x80000000, v11
	v_and_b32_e32 v95, 3, v95
	v_lshl_add_u32 v94, v94, 23, 0x37800000
	v_cndmask_b32_e64 v15, v15, v95, s16
	v_lshlrev_b32_e32 v15, 21, v15
	v_or3_b32 v15, v11, v94, v15
.LBB2_3280:                             ;   in Loop: Header=BB2_2968 Depth=3
	s_or_b32 exec_lo, exec_lo, s17
	v_mul_f32_e32 v11, v93, v15
	v_and_b32_e32 v15, 0x7f800000, v11
	v_cmp_ne_u32_e64 s16, 0x7f800000, v15
	v_mov_b32_e32 v15, 0x8000
	s_and_saveexec_b32 s23, s16
	s_cbranch_execz .LBB2_2967
; %bb.3281:                             ;   in Loop: Header=BB2_2968 Depth=3
	v_mov_b32_e32 v15, 0
	s_mov_b32 s72, exec_lo
	v_cmpx_ne_u32_e32 0, v11
	s_cbranch_execz .LBB2_2966
; %bb.3282:                             ;   in Loop: Header=BB2_2968 Depth=3
	v_bfe_u32 v15, v11, 23, 8
	v_and_b32_e32 v93, 0x7fffff, v11
	v_sub_nc_u32_e32 v94, 0x70, v15
	v_cmp_gt_u32_e64 s16, 0x71, v15
	v_or_b32_e32 v95, 0x800000, v93
	v_cndmask_b32_e64 v94, 0, v94, s16
	v_cmp_eq_u32_e64 s16, 0, v15
	v_add_nc_u32_e32 v15, 0xffffff91, v15
	v_cndmask_b32_e64 v94, v94, 0x6f, s16
	v_cndmask_b32_e64 v93, v95, v93, s16
	;; [unrolled: 1-line block ×3, first 2 shown]
	v_lshl_add_u32 v95, 0x200000, v94, -1
	v_lshrrev_b32_e32 v104, v94, v93
	v_lshlrev_b32_e64 v106, v94, 0x100000
	v_add_nc_u32_e32 v94, v94, v15
	v_and_b32_e32 v93, v95, v93
	v_bfe_u32 v105, v104, 21, 1
	v_cmp_eq_u32_e64 s17, v93, v106
	v_add_nc_u32_e32 v95, -1, v105
	v_cndmask_b32_e64 v93, 0, v95, s17
	v_lshrrev_b32_e32 v95, 23, v104
	s_mov_b32 s17, exec_lo
	v_add_nc_u32_e32 v93, v93, v104
	v_xor_b32_e32 v95, 1, v95
	v_and_b32_e32 v15, 0x1fffff, v93
	v_add_nc_u32_e32 v93, v15, v104
                                        ; implicit-def: $vgpr15
	v_cmpx_ne_u32_e64 v94, v95
	s_xor_b32 s17, exec_lo, s17
; %bb.3283:                             ;   in Loop: Header=BB2_2968 Depth=3
	v_cmp_lt_u32_e64 s16, 0xffffff, v93
	v_sub_nc_u32_e32 v15, v94, v95
	v_cndmask_b32_e64 v94, 0, 1, s16
	v_add_co_ci_u32_e64 v15, null, 0, v15, s16
	v_lshrrev_b32_e32 v93, v94, v93
; %bb.3284:                             ;   in Loop: Header=BB2_2968 Depth=3
	s_andn2_saveexec_b32 s16, s17
	s_cbranch_execz .LBB2_2965
; %bb.3285:                             ;   in Loop: Header=BB2_2968 Depth=3
	v_bfe_u32 v15, v93, 23, 1
	s_branch .LBB2_2965
.LBB2_3286:                             ;   in Loop: Header=BB2_2968 Depth=3
	s_or_saveexec_b32 s17, s17
	v_mov_b32_e32 v76, 0x7f800001
	s_xor_b32 exec_lo, exec_lo, s17
	s_cbranch_execz .LBB2_2972
.LBB2_3287:                             ;   in Loop: Header=BB2_2968 Depth=3
	v_cmp_ne_u16_sdwa s23, v12, v2 src0_sel:BYTE_0 src1_sel:DWORD
	v_mov_b32_e32 v76, 0
	s_andn2_b32 s16, s16, exec_lo
	s_and_b32 s23, s23, exec_lo
	s_or_b32 s16, s16, s23
	s_or_b32 exec_lo, exec_lo, s17
	s_and_saveexec_b32 s17, s16
	s_cbranch_execnz .LBB2_2973
	s_branch .LBB2_2974
.LBB2_3288:                             ;   in Loop: Header=BB2_2968 Depth=3
	s_or_saveexec_b32 s17, s17
	v_mov_b32_e32 v77, 0x7f800001
	s_xor_b32 exec_lo, exec_lo, s17
	s_cbranch_execz .LBB2_2978
.LBB2_3289:                             ;   in Loop: Header=BB2_2968 Depth=3
	v_cmp_ne_u16_sdwa s23, v8, v2 src0_sel:BYTE_0 src1_sel:DWORD
	v_mov_b32_e32 v77, 0
	s_andn2_b32 s16, s16, exec_lo
	s_and_b32 s23, s23, exec_lo
	s_or_b32 s16, s16, s23
	s_or_b32 exec_lo, exec_lo, s17
	s_and_saveexec_b32 s17, s16
	s_cbranch_execnz .LBB2_2979
	s_branch .LBB2_2980
.LBB2_3290:                             ;   in Loop: Header=BB2_2968 Depth=3
	s_or_saveexec_b32 s17, s17
	v_mov_b32_e32 v77, 0x7f800001
	s_xor_b32 exec_lo, exec_lo, s17
	s_cbranch_execz .LBB2_2992
.LBB2_3291:                             ;   in Loop: Header=BB2_2968 Depth=3
	v_cmp_ne_u16_sdwa s23, v12, v2 src0_sel:BYTE_1 src1_sel:DWORD
	v_mov_b32_e32 v77, 0
	s_andn2_b32 s16, s16, exec_lo
	s_and_b32 s23, s23, exec_lo
	s_or_b32 s16, s16, s23
	s_or_b32 exec_lo, exec_lo, s17
	s_and_saveexec_b32 s17, s16
	s_cbranch_execnz .LBB2_2993
	s_branch .LBB2_2994
.LBB2_3292:                             ;   in Loop: Header=BB2_2968 Depth=3
	s_or_saveexec_b32 s17, s17
	v_mov_b32_e32 v78, 0x7f800001
	s_xor_b32 exec_lo, exec_lo, s17
	s_cbranch_execz .LBB2_2998
.LBB2_3293:                             ;   in Loop: Header=BB2_2968 Depth=3
	v_cmp_ne_u16_sdwa s23, v8, v2 src0_sel:BYTE_1 src1_sel:DWORD
	v_mov_b32_e32 v78, 0
	s_andn2_b32 s16, s16, exec_lo
	s_and_b32 s23, s23, exec_lo
	s_or_b32 s16, s16, s23
	s_or_b32 exec_lo, exec_lo, s17
	s_and_saveexec_b32 s17, s16
	s_cbranch_execnz .LBB2_2999
	s_branch .LBB2_3000
.LBB2_3294:                             ;   in Loop: Header=BB2_2968 Depth=3
	s_or_saveexec_b32 s23, s23
	v_mov_b32_e32 v78, 0x7f800001
	s_xor_b32 exec_lo, exec_lo, s23
	s_cbranch_execz .LBB2_3012
.LBB2_3295:                             ;   in Loop: Header=BB2_2968 Depth=3
	v_cmp_ne_u16_e64 s16, 0, v79
	v_mov_b32_e32 v78, 0
	s_andn2_b32 s17, s17, exec_lo
	s_and_b32 s16, s16, exec_lo
	s_or_b32 s17, s17, s16
	s_or_b32 exec_lo, exec_lo, s23
	s_and_saveexec_b32 s23, s17
	s_cbranch_execnz .LBB2_3013
	s_branch .LBB2_3014
.LBB2_3296:                             ;   in Loop: Header=BB2_2968 Depth=3
	s_or_saveexec_b32 s23, s23
	v_mov_b32_e32 v79, 0x7f800001
	s_xor_b32 exec_lo, exec_lo, s23
	s_cbranch_execz .LBB2_3018
.LBB2_3297:                             ;   in Loop: Header=BB2_2968 Depth=3
	v_cmp_ne_u16_e64 s16, 0, v88
	v_mov_b32_e32 v79, 0
	s_andn2_b32 s17, s17, exec_lo
	s_and_b32 s16, s16, exec_lo
	s_or_b32 s17, s17, s16
	s_or_b32 exec_lo, exec_lo, s23
	s_and_saveexec_b32 s23, s17
	s_cbranch_execnz .LBB2_3019
	s_branch .LBB2_3020
.LBB2_3298:                             ;   in Loop: Header=BB2_2968 Depth=3
	s_or_saveexec_b32 s17, s17
	v_mov_b32_e32 v79, 0x7f800001
	s_xor_b32 exec_lo, exec_lo, s17
	s_cbranch_execz .LBB2_3032
.LBB2_3299:                             ;   in Loop: Header=BB2_2968 Depth=3
	v_cmp_ne_u16_sdwa s23, v12, v2 src0_sel:BYTE_3 src1_sel:DWORD
	v_mov_b32_e32 v79, 0
	s_andn2_b32 s16, s16, exec_lo
	s_and_b32 s23, s23, exec_lo
	s_or_b32 s16, s16, s23
	s_or_b32 exec_lo, exec_lo, s17
	s_and_saveexec_b32 s17, s16
	s_cbranch_execnz .LBB2_3033
	s_branch .LBB2_3034
.LBB2_3300:                             ;   in Loop: Header=BB2_2968 Depth=3
	s_or_saveexec_b32 s17, s17
	v_mov_b32_e32 v12, 0x7f800001
	s_xor_b32 exec_lo, exec_lo, s17
	s_cbranch_execz .LBB2_3038
.LBB2_3301:                             ;   in Loop: Header=BB2_2968 Depth=3
	v_cmp_ne_u16_sdwa s23, v8, v2 src0_sel:BYTE_3 src1_sel:DWORD
	v_mov_b32_e32 v12, 0
	s_andn2_b32 s16, s16, exec_lo
	s_and_b32 s23, s23, exec_lo
	s_or_b32 s16, s16, s23
	s_or_b32 exec_lo, exec_lo, s17
	s_and_saveexec_b32 s17, s16
	s_cbranch_execnz .LBB2_3039
	s_branch .LBB2_3040
.LBB2_3302:                             ;   in Loop: Header=BB2_2968 Depth=3
	s_or_saveexec_b32 s17, s17
	v_mov_b32_e32 v12, 0x7f800001
	s_xor_b32 exec_lo, exec_lo, s17
	s_cbranch_execz .LBB2_3052
.LBB2_3303:                             ;   in Loop: Header=BB2_2968 Depth=3
	v_cmp_ne_u16_sdwa s23, v13, v2 src0_sel:BYTE_0 src1_sel:DWORD
	v_mov_b32_e32 v12, 0
	s_andn2_b32 s16, s16, exec_lo
	s_and_b32 s23, s23, exec_lo
	s_or_b32 s16, s16, s23
	s_or_b32 exec_lo, exec_lo, s17
	s_and_saveexec_b32 s17, s16
	s_cbranch_execnz .LBB2_3053
	s_branch .LBB2_3054
.LBB2_3304:                             ;   in Loop: Header=BB2_2968 Depth=3
	s_or_saveexec_b32 s17, s17
	v_mov_b32_e32 v79, 0x7f800001
	s_xor_b32 exec_lo, exec_lo, s17
	s_cbranch_execz .LBB2_3058
.LBB2_3305:                             ;   in Loop: Header=BB2_2968 Depth=3
	v_cmp_ne_u16_sdwa s23, v9, v2 src0_sel:BYTE_0 src1_sel:DWORD
	v_mov_b32_e32 v79, 0
	s_andn2_b32 s16, s16, exec_lo
	s_and_b32 s23, s23, exec_lo
	s_or_b32 s16, s16, s23
	s_or_b32 exec_lo, exec_lo, s17
	s_and_saveexec_b32 s17, s16
	s_cbranch_execnz .LBB2_3059
	s_branch .LBB2_3060
.LBB2_3306:                             ;   in Loop: Header=BB2_2968 Depth=3
	s_or_saveexec_b32 s17, s17
	v_mov_b32_e32 v79, 0x7f800001
	s_xor_b32 exec_lo, exec_lo, s17
	s_cbranch_execz .LBB2_3072
.LBB2_3307:                             ;   in Loop: Header=BB2_2968 Depth=3
	v_cmp_ne_u16_sdwa s23, v13, v2 src0_sel:BYTE_1 src1_sel:DWORD
	v_mov_b32_e32 v79, 0
	s_andn2_b32 s16, s16, exec_lo
	s_and_b32 s23, s23, exec_lo
	s_or_b32 s16, s16, s23
	s_or_b32 exec_lo, exec_lo, s17
	s_and_saveexec_b32 s17, s16
	s_cbranch_execnz .LBB2_3073
	s_branch .LBB2_3074
.LBB2_3308:                             ;   in Loop: Header=BB2_2968 Depth=3
	s_or_saveexec_b32 s17, s17
	v_mov_b32_e32 v88, 0x7f800001
	s_xor_b32 exec_lo, exec_lo, s17
	s_cbranch_execz .LBB2_3078
.LBB2_3309:                             ;   in Loop: Header=BB2_2968 Depth=3
	v_cmp_ne_u16_sdwa s23, v9, v2 src0_sel:BYTE_1 src1_sel:DWORD
	v_mov_b32_e32 v88, 0
	s_andn2_b32 s16, s16, exec_lo
	s_and_b32 s23, s23, exec_lo
	s_or_b32 s16, s16, s23
	s_or_b32 exec_lo, exec_lo, s17
	s_and_saveexec_b32 s17, s16
	s_cbranch_execnz .LBB2_3079
	s_branch .LBB2_3080
.LBB2_3310:                             ;   in Loop: Header=BB2_2968 Depth=3
	s_or_saveexec_b32 s23, s23
	v_mov_b32_e32 v88, 0x7f800001
	s_xor_b32 exec_lo, exec_lo, s23
	s_cbranch_execz .LBB2_3092
.LBB2_3311:                             ;   in Loop: Header=BB2_2968 Depth=3
	v_cmp_ne_u16_e64 s16, 0, v89
	v_mov_b32_e32 v88, 0
	s_andn2_b32 s17, s17, exec_lo
	s_and_b32 s16, s16, exec_lo
	s_or_b32 s17, s17, s16
	s_or_b32 exec_lo, exec_lo, s23
	s_and_saveexec_b32 s23, s17
	s_cbranch_execnz .LBB2_3093
	s_branch .LBB2_3094
.LBB2_3312:                             ;   in Loop: Header=BB2_2968 Depth=3
	s_or_saveexec_b32 s23, s23
	v_mov_b32_e32 v89, 0x7f800001
	s_xor_b32 exec_lo, exec_lo, s23
	s_cbranch_execz .LBB2_3098
.LBB2_3313:                             ;   in Loop: Header=BB2_2968 Depth=3
	v_cmp_ne_u16_e64 s16, 0, v90
	v_mov_b32_e32 v89, 0
	s_andn2_b32 s17, s17, exec_lo
	s_and_b32 s16, s16, exec_lo
	s_or_b32 s17, s17, s16
	s_or_b32 exec_lo, exec_lo, s23
	s_and_saveexec_b32 s23, s17
	s_cbranch_execnz .LBB2_3099
	s_branch .LBB2_3100
.LBB2_3314:                             ;   in Loop: Header=BB2_2968 Depth=3
	s_or_saveexec_b32 s17, s17
	v_mov_b32_e32 v89, 0x7f800001
	s_xor_b32 exec_lo, exec_lo, s17
	s_cbranch_execz .LBB2_3112
.LBB2_3315:                             ;   in Loop: Header=BB2_2968 Depth=3
	v_cmp_ne_u16_sdwa s23, v13, v2 src0_sel:BYTE_3 src1_sel:DWORD
	v_mov_b32_e32 v89, 0
	s_andn2_b32 s16, s16, exec_lo
	s_and_b32 s23, s23, exec_lo
	s_or_b32 s16, s16, s23
	s_or_b32 exec_lo, exec_lo, s17
	s_and_saveexec_b32 s17, s16
	s_cbranch_execnz .LBB2_3113
	s_branch .LBB2_3114
.LBB2_3316:                             ;   in Loop: Header=BB2_2968 Depth=3
	s_or_saveexec_b32 s17, s17
	v_mov_b32_e32 v13, 0x7f800001
	s_xor_b32 exec_lo, exec_lo, s17
	s_cbranch_execz .LBB2_3118
.LBB2_3317:                             ;   in Loop: Header=BB2_2968 Depth=3
	v_cmp_ne_u16_sdwa s23, v9, v2 src0_sel:BYTE_3 src1_sel:DWORD
	v_mov_b32_e32 v13, 0
	s_andn2_b32 s16, s16, exec_lo
	s_and_b32 s23, s23, exec_lo
	s_or_b32 s16, s16, s23
	s_or_b32 exec_lo, exec_lo, s17
	s_and_saveexec_b32 s17, s16
	s_cbranch_execnz .LBB2_3119
	s_branch .LBB2_3120
.LBB2_3318:                             ;   in Loop: Header=BB2_2968 Depth=3
	s_or_saveexec_b32 s17, s17
	v_mov_b32_e32 v13, 0x7f800001
	s_xor_b32 exec_lo, exec_lo, s17
	s_cbranch_execz .LBB2_3132
.LBB2_3319:                             ;   in Loop: Header=BB2_2968 Depth=3
	v_cmp_ne_u16_sdwa s23, v14, v2 src0_sel:BYTE_0 src1_sel:DWORD
	v_mov_b32_e32 v13, 0
	s_andn2_b32 s16, s16, exec_lo
	s_and_b32 s23, s23, exec_lo
	s_or_b32 s16, s16, s23
	s_or_b32 exec_lo, exec_lo, s17
	s_and_saveexec_b32 s17, s16
	s_cbranch_execnz .LBB2_3133
	s_branch .LBB2_3134
.LBB2_3320:                             ;   in Loop: Header=BB2_2968 Depth=3
	s_or_saveexec_b32 s17, s17
	v_mov_b32_e32 v89, 0x7f800001
	s_xor_b32 exec_lo, exec_lo, s17
	s_cbranch_execz .LBB2_3138
.LBB2_3321:                             ;   in Loop: Header=BB2_2968 Depth=3
	v_cmp_ne_u16_sdwa s23, v10, v2 src0_sel:BYTE_0 src1_sel:DWORD
	v_mov_b32_e32 v89, 0
	s_andn2_b32 s16, s16, exec_lo
	s_and_b32 s23, s23, exec_lo
	s_or_b32 s16, s16, s23
	s_or_b32 exec_lo, exec_lo, s17
	s_and_saveexec_b32 s17, s16
	s_cbranch_execnz .LBB2_3139
	s_branch .LBB2_3140
.LBB2_3322:                             ;   in Loop: Header=BB2_2968 Depth=3
	s_or_saveexec_b32 s17, s17
	v_mov_b32_e32 v89, 0x7f800001
	s_xor_b32 exec_lo, exec_lo, s17
	s_cbranch_execz .LBB2_3152
.LBB2_3323:                             ;   in Loop: Header=BB2_2968 Depth=3
	v_cmp_ne_u16_sdwa s23, v14, v2 src0_sel:BYTE_1 src1_sel:DWORD
	v_mov_b32_e32 v89, 0
	s_andn2_b32 s16, s16, exec_lo
	s_and_b32 s23, s23, exec_lo
	s_or_b32 s16, s16, s23
	s_or_b32 exec_lo, exec_lo, s17
	s_and_saveexec_b32 s17, s16
	s_cbranch_execnz .LBB2_3153
	s_branch .LBB2_3154
.LBB2_3324:                             ;   in Loop: Header=BB2_2968 Depth=3
	s_or_saveexec_b32 s17, s17
	v_mov_b32_e32 v90, 0x7f800001
	s_xor_b32 exec_lo, exec_lo, s17
	s_cbranch_execz .LBB2_3158
.LBB2_3325:                             ;   in Loop: Header=BB2_2968 Depth=3
	v_cmp_ne_u16_sdwa s23, v10, v2 src0_sel:BYTE_1 src1_sel:DWORD
	v_mov_b32_e32 v90, 0
	s_andn2_b32 s16, s16, exec_lo
	s_and_b32 s23, s23, exec_lo
	s_or_b32 s16, s16, s23
	s_or_b32 exec_lo, exec_lo, s17
	s_and_saveexec_b32 s17, s16
	s_cbranch_execnz .LBB2_3159
	s_branch .LBB2_3160
.LBB2_3326:                             ;   in Loop: Header=BB2_2968 Depth=3
	s_or_saveexec_b32 s23, s23
	v_mov_b32_e32 v90, 0x7f800001
	s_xor_b32 exec_lo, exec_lo, s23
	s_cbranch_execz .LBB2_3172
.LBB2_3327:                             ;   in Loop: Header=BB2_2968 Depth=3
	v_cmp_ne_u16_e64 s16, 0, v91
	v_mov_b32_e32 v90, 0
	s_andn2_b32 s17, s17, exec_lo
	s_and_b32 s16, s16, exec_lo
	s_or_b32 s17, s17, s16
	s_or_b32 exec_lo, exec_lo, s23
	s_and_saveexec_b32 s23, s17
	s_cbranch_execnz .LBB2_3173
	s_branch .LBB2_3174
.LBB2_3328:                             ;   in Loop: Header=BB2_2968 Depth=3
	s_or_saveexec_b32 s23, s23
	v_mov_b32_e32 v91, 0x7f800001
	s_xor_b32 exec_lo, exec_lo, s23
	s_cbranch_execz .LBB2_3178
.LBB2_3329:                             ;   in Loop: Header=BB2_2968 Depth=3
	v_cmp_ne_u16_e64 s16, 0, v92
	v_mov_b32_e32 v91, 0
	s_andn2_b32 s17, s17, exec_lo
	s_and_b32 s16, s16, exec_lo
	s_or_b32 s17, s17, s16
	s_or_b32 exec_lo, exec_lo, s23
	s_and_saveexec_b32 s23, s17
	s_cbranch_execnz .LBB2_3179
	s_branch .LBB2_3180
.LBB2_3330:                             ;   in Loop: Header=BB2_2968 Depth=3
	s_or_saveexec_b32 s17, s17
	v_mov_b32_e32 v91, 0x7f800001
	s_xor_b32 exec_lo, exec_lo, s17
	s_cbranch_execz .LBB2_3192
.LBB2_3331:                             ;   in Loop: Header=BB2_2968 Depth=3
	v_cmp_ne_u16_sdwa s23, v14, v2 src0_sel:BYTE_3 src1_sel:DWORD
	v_mov_b32_e32 v91, 0
	s_andn2_b32 s16, s16, exec_lo
	s_and_b32 s23, s23, exec_lo
	s_or_b32 s16, s16, s23
	s_or_b32 exec_lo, exec_lo, s17
	s_and_saveexec_b32 s17, s16
	s_cbranch_execnz .LBB2_3193
	s_branch .LBB2_3194
.LBB2_3332:                             ;   in Loop: Header=BB2_2968 Depth=3
	s_or_saveexec_b32 s17, s17
	v_mov_b32_e32 v14, 0x7f800001
	s_xor_b32 exec_lo, exec_lo, s17
	s_cbranch_execz .LBB2_3198
.LBB2_3333:                             ;   in Loop: Header=BB2_2968 Depth=3
	v_cmp_ne_u16_sdwa s23, v10, v2 src0_sel:BYTE_3 src1_sel:DWORD
	v_mov_b32_e32 v14, 0
	s_andn2_b32 s16, s16, exec_lo
	s_and_b32 s23, s23, exec_lo
	s_or_b32 s16, s16, s23
	s_or_b32 exec_lo, exec_lo, s17
	s_and_saveexec_b32 s17, s16
	s_cbranch_execnz .LBB2_3199
	s_branch .LBB2_3200
.LBB2_3334:                             ;   in Loop: Header=BB2_2968 Depth=3
	s_or_saveexec_b32 s17, s17
	v_mov_b32_e32 v14, 0x7f800001
	s_xor_b32 exec_lo, exec_lo, s17
	s_cbranch_execz .LBB2_3212
.LBB2_3335:                             ;   in Loop: Header=BB2_2968 Depth=3
	v_cmp_ne_u16_sdwa s23, v15, v2 src0_sel:BYTE_0 src1_sel:DWORD
	v_mov_b32_e32 v14, 0
	s_andn2_b32 s16, s16, exec_lo
	s_and_b32 s23, s23, exec_lo
	s_or_b32 s16, s16, s23
	s_or_b32 exec_lo, exec_lo, s17
	s_and_saveexec_b32 s17, s16
	s_cbranch_execnz .LBB2_3213
	s_branch .LBB2_3214
.LBB2_3336:                             ;   in Loop: Header=BB2_2968 Depth=3
	s_or_saveexec_b32 s17, s17
	v_mov_b32_e32 v91, 0x7f800001
	s_xor_b32 exec_lo, exec_lo, s17
	s_cbranch_execz .LBB2_3218
.LBB2_3337:                             ;   in Loop: Header=BB2_2968 Depth=3
	v_cmp_ne_u16_sdwa s23, v11, v2 src0_sel:BYTE_0 src1_sel:DWORD
	v_mov_b32_e32 v91, 0
	s_andn2_b32 s16, s16, exec_lo
	s_and_b32 s23, s23, exec_lo
	s_or_b32 s16, s16, s23
	s_or_b32 exec_lo, exec_lo, s17
	s_and_saveexec_b32 s17, s16
	s_cbranch_execnz .LBB2_3219
	s_branch .LBB2_3220
.LBB2_3338:                             ;   in Loop: Header=BB2_2968 Depth=3
	s_or_saveexec_b32 s17, s17
	v_mov_b32_e32 v91, 0x7f800001
	s_xor_b32 exec_lo, exec_lo, s17
	s_cbranch_execz .LBB2_3232
.LBB2_3339:                             ;   in Loop: Header=BB2_2968 Depth=3
	v_cmp_ne_u16_sdwa s23, v15, v2 src0_sel:BYTE_1 src1_sel:DWORD
	v_mov_b32_e32 v91, 0
	s_andn2_b32 s16, s16, exec_lo
	s_and_b32 s23, s23, exec_lo
	s_or_b32 s16, s16, s23
	s_or_b32 exec_lo, exec_lo, s17
	s_and_saveexec_b32 s17, s16
	s_cbranch_execnz .LBB2_3233
	s_branch .LBB2_3234
.LBB2_3340:                             ;   in Loop: Header=BB2_2968 Depth=3
	s_or_saveexec_b32 s17, s17
	v_mov_b32_e32 v92, 0x7f800001
	s_xor_b32 exec_lo, exec_lo, s17
	s_cbranch_execz .LBB2_3238
.LBB2_3341:                             ;   in Loop: Header=BB2_2968 Depth=3
	v_cmp_ne_u16_sdwa s23, v11, v2 src0_sel:BYTE_1 src1_sel:DWORD
	v_mov_b32_e32 v92, 0
	s_andn2_b32 s16, s16, exec_lo
	s_and_b32 s23, s23, exec_lo
	s_or_b32 s16, s16, s23
	s_or_b32 exec_lo, exec_lo, s17
	s_and_saveexec_b32 s17, s16
	s_cbranch_execnz .LBB2_3239
	s_branch .LBB2_3240
.LBB2_3342:                             ;   in Loop: Header=BB2_2968 Depth=3
	s_or_saveexec_b32 s23, s23
	v_mov_b32_e32 v92, 0x7f800001
	s_xor_b32 exec_lo, exec_lo, s23
	s_cbranch_execz .LBB2_3252
.LBB2_3343:                             ;   in Loop: Header=BB2_2968 Depth=3
	v_cmp_ne_u16_e64 s16, 0, v93
	v_mov_b32_e32 v92, 0
	s_andn2_b32 s17, s17, exec_lo
	s_and_b32 s16, s16, exec_lo
	s_or_b32 s17, s17, s16
	s_or_b32 exec_lo, exec_lo, s23
	s_and_saveexec_b32 s23, s17
	s_cbranch_execnz .LBB2_3253
	s_branch .LBB2_3254
.LBB2_3344:                             ;   in Loop: Header=BB2_2968 Depth=3
	s_or_saveexec_b32 s23, s23
	v_mov_b32_e32 v93, 0x7f800001
	s_xor_b32 exec_lo, exec_lo, s23
	s_cbranch_execz .LBB2_3258
.LBB2_3345:                             ;   in Loop: Header=BB2_2968 Depth=3
	v_cmp_ne_u16_e64 s16, 0, v94
	v_mov_b32_e32 v93, 0
	s_andn2_b32 s17, s17, exec_lo
	s_and_b32 s16, s16, exec_lo
	s_or_b32 s17, s17, s16
	s_or_b32 exec_lo, exec_lo, s23
	s_and_saveexec_b32 s23, s17
	s_cbranch_execnz .LBB2_3259
	s_branch .LBB2_3260
.LBB2_3346:                             ;   in Loop: Header=BB2_2968 Depth=3
	s_or_saveexec_b32 s17, s17
	v_mov_b32_e32 v93, 0x7f800001
	s_xor_b32 exec_lo, exec_lo, s17
	s_cbranch_execz .LBB2_3272
.LBB2_3347:                             ;   in Loop: Header=BB2_2968 Depth=3
	v_cmp_ne_u16_sdwa s23, v15, v2 src0_sel:BYTE_3 src1_sel:DWORD
	v_mov_b32_e32 v93, 0
	s_andn2_b32 s16, s16, exec_lo
	s_and_b32 s23, s23, exec_lo
	s_or_b32 s16, s16, s23
	s_or_b32 exec_lo, exec_lo, s17
	s_and_saveexec_b32 s17, s16
	s_cbranch_execnz .LBB2_3273
	s_branch .LBB2_3274
.LBB2_3348:                             ;   in Loop: Header=BB2_2968 Depth=3
	s_or_saveexec_b32 s17, s17
	v_mov_b32_e32 v15, 0x7f800001
	s_xor_b32 exec_lo, exec_lo, s17
	s_cbranch_execz .LBB2_3278
.LBB2_3349:                             ;   in Loop: Header=BB2_2968 Depth=3
	v_cmp_ne_u16_sdwa s23, v11, v2 src0_sel:BYTE_3 src1_sel:DWORD
	v_mov_b32_e32 v15, 0
	s_andn2_b32 s16, s16, exec_lo
	s_and_b32 s23, s23, exec_lo
	s_or_b32 s16, s16, s23
	s_or_b32 exec_lo, exec_lo, s17
	s_and_saveexec_b32 s17, s16
	s_cbranch_execnz .LBB2_3279
	s_branch .LBB2_3280
.LBB2_3350:                             ;   in Loop: Header=BB2_1479 Depth=2
	s_or_b32 exec_lo, exec_lo, s22
.LBB2_3351:                             ;   in Loop: Header=BB2_1479 Depth=2
	s_or_b32 exec_lo, exec_lo, s19
	v_and_b32_e32 v9, 15, v62
	v_mov_b32_e32 v14, 0
	s_mov_b32 s17, 0
	s_mov_b32 s19, exec_lo
                                        ; implicit-def: $vgpr68
                                        ; implicit-def: $vgpr8
	v_cndmask_b32_e32 v15, v63, v9, vcc_lo
	v_cmpx_ne_u32_e32 0, v15
	s_cbranch_execz .LBB2_3353
; %bb.3352:                             ;   in Loop: Header=BB2_1479 Depth=2
	v_cmp_lt_i32_e64 s16, 0, v74
	v_sub_nc_u32_e32 v9, v63, v9
	s_mov_b32 s17, exec_lo
	v_cndmask_b32_e64 v8, 0, v87, s16
	v_cndmask_b32_e32 v9, 0, v9, vcc_lo
	v_sub_nc_u32_e32 v8, v8, v74
	v_add3_u32 v14, v72, v61, v9
	v_lshl_add_u32 v68, v8, 5, v73
	v_ashrrev_i32_e32 v8, 31, v68
	v_lshrrev_b32_e32 v8, 27, v8
	v_add_nc_u32_e32 v8, v68, v8
	v_ashrrev_i32_e32 v8, 5, v8
.LBB2_3353:                             ;   in Loop: Header=BB2_1479 Depth=2
	s_or_b32 exec_lo, exec_lo, s19
	s_and_b32 s19, s17, exec_lo
.LBB2_3354:                             ;   in Loop: Header=BB2_1479 Depth=2
	s_or_b32 exec_lo, exec_lo, s18
	s_and_saveexec_b32 s17, s19
	s_cbranch_execz .LBB2_3579
.LBB2_3355:                             ;   in Loop: Header=BB2_1479 Depth=2
	v_ashrrev_i32_e32 v9, 31, v15
	s_mov_b32 s18, exec_lo
	v_add_nc_u32_sdwa v9, v15, v9 dst_sel:DWORD dst_unused:UNUSED_PAD src0_sel:DWORD src1_sel:BYTE_3
	v_ashrrev_i32_e32 v71, 8, v9
	v_ashrrev_i32_e32 v9, 31, v68
	v_sub_nc_u32_e32 v69, v71, v8
	v_lshrrev_b32_e32 v70, 27, v9
	v_cmpx_lt_i32_e32 0, v69
	s_cbranch_execz .LBB2_3551
; %bb.3356:                             ;   in Loop: Header=BB2_1479 Depth=2
	v_add_nc_u32_e32 v9, v68, v70
	s_trap 2
	ds_read_b64 v[10:11], v0
	v_lshlrev_b32_e32 v8, 8, v8
	v_add_co_u32 v66, vcc_lo, 0xe0, v66
	v_and_b32_e32 v9, 0xffffffe0, v9
	v_add_co_ci_u32_e64 v67, null, 0, v67, vcc_lo
	s_mov_b32 s19, 0
	v_sub_nc_u32_e32 v9, v68, v9
	v_add3_u32 v12, v14, v9, v8
	v_ashrrev_i32_e32 v13, 31, v12
	v_add_co_u32 v8, vcc_lo, v12, v64
	v_add_co_ci_u32_e64 v9, null, v13, v65, vcc_lo
	s_waitcnt lgkmcnt(0)
	v_add_co_u32 v10, vcc_lo, v10, v12
	v_add_co_ci_u32_e64 v11, null, v11, v13, vcc_lo
	v_add_co_u32 v12, vcc_lo, v66, v12
	v_add_co_ci_u32_e64 v13, null, v67, v13, vcc_lo
	s_branch .LBB2_3360
.LBB2_3357:                             ;   in Loop: Header=BB2_3360 Depth=3
	s_or_b32 exec_lo, exec_lo, s16
	v_lshrrev_b32_e32 v80, 21, v80
	v_cmp_gt_i32_e32 vcc_lo, 32, v65
	v_min_i32_e32 v62, 31, v65
	v_and_b32_sdwa v64, v64, v101 dst_sel:DWORD dst_unused:UNUSED_PAD src0_sel:BYTE_3 src1_sel:DWORD
	v_cndmask_b32_e32 v80, 3, v80, vcc_lo
	v_lshlrev_b32_e32 v62, 2, v62
	v_and_b32_e32 v73, 3, v80
	v_or_b32_e32 v65, v65, v80
	v_or3_b32 v64, v62, v64, v73
	v_cmp_ne_u32_e32 vcc_lo, 0, v65
	v_cndmask_b32_e32 v65, 0, v64, vcc_lo
.LBB2_3358:                             ;   in Loop: Header=BB2_3360 Depth=3
	s_or_b32 exec_lo, exec_lo, s23
.LBB2_3359:                             ;   in Loop: Header=BB2_3360 Depth=3
	s_or_b32 exec_lo, exec_lo, s22
	v_add_co_u32 v75, vcc_lo, 0xffffff20, v12
	v_add_co_ci_u32_e64 v76, null, -1, v13, vcc_lo
	v_add_co_u32 v77, vcc_lo, 0xffffff40, v12
	v_add_co_ci_u32_e64 v78, null, -1, v13, vcc_lo
	v_add_co_u32 v80, vcc_lo, 0xffffff60, v12
	flat_store_byte v[75:76], v66 glc slc
	flat_store_byte v[77:78], v81 glc slc
	v_add_co_ci_u32_e64 v81, null, -1, v13, vcc_lo
	v_add_co_u32 v75, vcc_lo, 0xffffff80, v12
	v_add_co_ci_u32_e64 v76, null, -1, v13, vcc_lo
	v_add_co_u32 v77, vcc_lo, 0xffffffa0, v12
	;; [unrolled: 2-line block ×4, first 2 shown]
	v_sub_nc_u32_e32 v69, v69, v87
	v_add_co_ci_u32_e64 v91, null, -1, v13, vcc_lo
	v_add_co_u32 v8, vcc_lo, v8, v117
	v_add_co_ci_u32_e64 v9, null, 0, v9, vcc_lo
	v_add_co_u32 v10, vcc_lo, v10, v117
	flat_store_byte v[80:81], v63 glc slc
	flat_store_byte v[75:76], v74 glc slc
	flat_store_byte v[77:78], v72 glc slc
	flat_store_byte v[88:89], v61 glc slc
	flat_store_byte v[90:91], v67 glc slc
	flat_store_byte v[12:13], v65 glc slc
	v_add_co_ci_u32_e64 v11, null, 0, v11, vcc_lo
	v_cmp_gt_i32_e32 vcc_lo, 1, v69
	v_add_co_u32 v12, s16, v12, v117
	v_add_co_ci_u32_e64 v13, null, 0, v13, s16
	s_or_b32 s19, vcc_lo, s19
	s_andn2_b32 exec_lo, exec_lo, s19
	s_cbranch_execz .LBB2_3550
.LBB2_3360:                             ;   Parent Loop BB2_47 Depth=1
                                        ;     Parent Loop BB2_1479 Depth=2
                                        ; =>    This Inner Loop Header: Depth=3
	s_clause 0x7
	flat_load_ubyte v79, v[8:9] slc
	flat_load_ubyte v77, v[8:9] offset:32 slc
	flat_load_ubyte v76, v[8:9] offset:64 slc
	;; [unrolled: 1-line block ×7, first 2 shown]
	s_clause 0x7
	flat_load_ubyte v66, v[10:11] slc
	flat_load_ubyte v81, v[10:11] offset:32 slc
	flat_load_ubyte v63, v[10:11] offset:64 slc
	;; [unrolled: 1-line block ×7, first 2 shown]
	s_mov_b32 s16, 0
	s_mov_b32 s22, exec_lo
	s_waitcnt vmcnt(15) lgkmcnt(15)
	v_cmpx_lt_i16_e32 0x7f, v79
	s_xor_b32 s22, exec_lo, s22
	s_cbranch_execz .LBB2_3518
; %bb.3361:                             ;   in Loop: Header=BB2_3360 Depth=3
	s_mov_b32 s16, -1
	s_mov_b32 s23, exec_lo
	v_cmpx_eq_u16_e32 0x80, v79
; %bb.3362:                             ;   in Loop: Header=BB2_3360 Depth=3
	s_xor_b32 s16, exec_lo, -1
; %bb.3363:                             ;   in Loop: Header=BB2_3360 Depth=3
	s_or_b32 exec_lo, exec_lo, s23
	s_and_b32 s16, s16, exec_lo
	s_or_saveexec_b32 s22, s22
	v_mov_b32_e32 v78, 0x7f800001
	s_xor_b32 exec_lo, exec_lo, s22
	s_cbranch_execnz .LBB2_3519
.LBB2_3364:                             ;   in Loop: Header=BB2_3360 Depth=3
	s_or_b32 exec_lo, exec_lo, s22
	s_and_saveexec_b32 s22, s16
	s_cbranch_execz .LBB2_3366
.LBB2_3365:                             ;   in Loop: Header=BB2_3360 Depth=3
	v_and_b32_e32 v78, 0xffff, v79
	v_lshlrev_b32_e32 v79, 24, v79
	v_and_b32_e32 v88, 3, v78
	v_bfe_u32 v91, v78, 2, 5
	v_and_b32_e32 v79, 0x80000000, v79
	v_ffbh_u32_e32 v89, v88
	v_cmp_eq_u32_e32 vcc_lo, 0, v91
	v_min_u32_e32 v89, 32, v89
	v_subrev_nc_u32_e32 v90, 29, v89
	v_sub_nc_u32_e32 v89, 30, v89
	v_lshlrev_b32_e32 v78, v90, v78
	v_cndmask_b32_e32 v89, v91, v89, vcc_lo
	v_and_b32_e32 v78, 3, v78
	v_cndmask_b32_e32 v78, v88, v78, vcc_lo
	v_lshl_add_u32 v88, v89, 23, 0x37800000
	v_lshlrev_b32_e32 v78, 21, v78
	v_or3_b32 v78, v79, v88, v78
.LBB2_3366:                             ;   in Loop: Header=BB2_3360 Depth=3
	s_or_b32 exec_lo, exec_lo, s22
	s_waitcnt vmcnt(7) lgkmcnt(7)
	v_cmp_gt_i16_sdwa s22, v66, v100 src0_sel:BYTE_0 src1_sel:DWORD
	s_mov_b32 s16, 0
	s_and_saveexec_b32 s23, s22
	s_xor_b32 s22, exec_lo, s23
	s_cbranch_execz .LBB2_3520
; %bb.3367:                             ;   in Loop: Header=BB2_3360 Depth=3
	v_cmp_eq_u16_sdwa s72, v66, v101 src0_sel:BYTE_0 src1_sel:DWORD
	s_mov_b32 s16, -1
	s_and_saveexec_b32 s23, s72
; %bb.3368:                             ;   in Loop: Header=BB2_3360 Depth=3
	s_xor_b32 s16, exec_lo, -1
; %bb.3369:                             ;   in Loop: Header=BB2_3360 Depth=3
	s_or_b32 exec_lo, exec_lo, s23
	s_and_b32 s16, s16, exec_lo
	s_or_saveexec_b32 s22, s22
	v_mov_b32_e32 v79, 0x7f800001
	s_xor_b32 exec_lo, exec_lo, s22
	s_cbranch_execnz .LBB2_3521
.LBB2_3370:                             ;   in Loop: Header=BB2_3360 Depth=3
	s_or_b32 exec_lo, exec_lo, s22
	s_and_saveexec_b32 s22, s16
	s_cbranch_execz .LBB2_3372
.LBB2_3371:                             ;   in Loop: Header=BB2_3360 Depth=3
	v_and_b32_e32 v79, 3, v66
	v_lshrrev_b16 v89, 2, v66
	v_ffbh_u32_e32 v88, v79
	v_and_b32_e32 v89, 31, v89
	v_min_u32_e32 v88, 32, v88
	v_cmp_eq_u32_e32 vcc_lo, 0, v89
	v_subrev_nc_u32_e32 v90, 29, v88
	v_sub_nc_u32_e32 v88, 30, v88
	v_lshlrev_b32_e32 v90, v90, v66
	v_lshlrev_b32_e32 v66, 24, v66
	v_cndmask_b32_e32 v88, v89, v88, vcc_lo
	v_and_b32_e32 v90, 3, v90
	v_and_b32_e32 v66, 0x80000000, v66
	v_lshl_add_u32 v88, v88, 23, 0x37800000
	v_cndmask_b32_e32 v79, v79, v90, vcc_lo
	v_lshlrev_b32_e32 v79, 21, v79
	v_or3_b32 v79, v66, v88, v79
.LBB2_3372:                             ;   in Loop: Header=BB2_3360 Depth=3
	s_or_b32 exec_lo, exec_lo, s22
	v_mul_f32_e32 v78, v78, v79
	v_and_b32_e32 v66, 0x7f800000, v78
	v_cmp_ne_u32_e32 vcc_lo, 0x7f800000, v66
	v_mov_b32_e32 v66, 0x80
	s_and_saveexec_b32 s22, vcc_lo
	s_cbranch_execz .LBB2_3380
; %bb.3373:                             ;   in Loop: Header=BB2_3360 Depth=3
	v_mov_b32_e32 v66, 0
	s_mov_b32 s23, exec_lo
	v_cmpx_ne_u32_e32 0, v78
	s_cbranch_execz .LBB2_3379
; %bb.3374:                             ;   in Loop: Header=BB2_3360 Depth=3
	v_bfe_u32 v66, v78, 23, 8
	v_and_b32_e32 v79, 0x7fffff, v78
	v_sub_nc_u32_e32 v88, 0x70, v66
	v_cmp_gt_u32_e32 vcc_lo, 0x71, v66
	v_or_b32_e32 v89, 0x800000, v79
	v_cndmask_b32_e32 v88, 0, v88, vcc_lo
	v_cmp_eq_u32_e32 vcc_lo, 0, v66
	v_add_nc_u32_e32 v66, 0xffffff91, v66
	v_cndmask_b32_e64 v88, v88, 0x6f, vcc_lo
	v_cndmask_b32_e32 v79, v89, v79, vcc_lo
	v_cndmask_b32_e64 v66, v66, 0xffffff92, vcc_lo
	v_lshl_add_u32 v89, 0x200000, v88, -1
	v_lshrrev_b32_e32 v90, v88, v79
	v_lshlrev_b32_e64 v92, v88, 0x100000
	v_add_nc_u32_e32 v88, v88, v66
	v_and_b32_e32 v79, v89, v79
	v_bfe_u32 v91, v90, 21, 1
	v_cmp_eq_u32_e64 s16, v79, v92
	v_add_nc_u32_e32 v89, -1, v91
	v_cndmask_b32_e64 v79, 0, v89, s16
	v_lshrrev_b32_e32 v89, 23, v90
	s_mov_b32 s16, exec_lo
	v_add_nc_u32_e32 v79, v79, v90
	v_xor_b32_e32 v89, 1, v89
	v_and_b32_e32 v66, 0x1fffff, v79
	v_add_nc_u32_e32 v79, v66, v90
                                        ; implicit-def: $vgpr66
	v_cmpx_ne_u32_e64 v88, v89
	s_xor_b32 s16, exec_lo, s16
; %bb.3375:                             ;   in Loop: Header=BB2_3360 Depth=3
	v_cmp_lt_u32_e32 vcc_lo, 0xffffff, v79
	v_sub_nc_u32_e32 v66, v88, v89
	v_cndmask_b32_e64 v88, 0, 1, vcc_lo
	v_add_co_ci_u32_e64 v66, null, 0, v66, vcc_lo
	v_lshrrev_b32_e32 v79, v88, v79
; %bb.3376:                             ;   in Loop: Header=BB2_3360 Depth=3
	s_andn2_saveexec_b32 s16, s16
; %bb.3377:                             ;   in Loop: Header=BB2_3360 Depth=3
	v_bfe_u32 v66, v79, 23, 1
; %bb.3378:                             ;   in Loop: Header=BB2_3360 Depth=3
	s_or_b32 exec_lo, exec_lo, s16
	v_lshrrev_b32_e32 v79, 21, v79
	v_cmp_gt_i32_e32 vcc_lo, 32, v66
	v_min_i32_e32 v88, 31, v66
	v_and_b32_sdwa v78, v78, v101 dst_sel:DWORD dst_unused:UNUSED_PAD src0_sel:BYTE_3 src1_sel:DWORD
	v_cndmask_b32_e32 v79, 3, v79, vcc_lo
	v_lshlrev_b32_e32 v88, 2, v88
	v_and_b32_e32 v89, 3, v79
	v_or_b32_e32 v66, v66, v79
	v_or3_b32 v78, v88, v78, v89
	v_cmp_ne_u32_e32 vcc_lo, 0, v66
	v_cndmask_b32_e32 v66, 0, v78, vcc_lo
.LBB2_3379:                             ;   in Loop: Header=BB2_3360 Depth=3
	s_or_b32 exec_lo, exec_lo, s23
.LBB2_3380:                             ;   in Loop: Header=BB2_3360 Depth=3
	s_or_b32 exec_lo, exec_lo, s22
	v_cmp_gt_i16_sdwa s22, v77, v100 src0_sel:BYTE_0 src1_sel:DWORD
	s_mov_b32 s16, 0
	s_and_saveexec_b32 s23, s22
	s_xor_b32 s22, exec_lo, s23
	s_cbranch_execz .LBB2_3522
; %bb.3381:                             ;   in Loop: Header=BB2_3360 Depth=3
	v_cmp_eq_u16_sdwa s72, v77, v101 src0_sel:BYTE_0 src1_sel:DWORD
	s_mov_b32 s16, -1
	s_and_saveexec_b32 s23, s72
; %bb.3382:                             ;   in Loop: Header=BB2_3360 Depth=3
	s_xor_b32 s16, exec_lo, -1
; %bb.3383:                             ;   in Loop: Header=BB2_3360 Depth=3
	s_or_b32 exec_lo, exec_lo, s23
	s_and_b32 s16, s16, exec_lo
	s_or_saveexec_b32 s22, s22
	v_mov_b32_e32 v78, 0x7f800001
	s_xor_b32 exec_lo, exec_lo, s22
	s_cbranch_execnz .LBB2_3523
.LBB2_3384:                             ;   in Loop: Header=BB2_3360 Depth=3
	s_or_b32 exec_lo, exec_lo, s22
	s_and_saveexec_b32 s22, s16
	s_cbranch_execz .LBB2_3386
.LBB2_3385:                             ;   in Loop: Header=BB2_3360 Depth=3
	v_and_b32_e32 v78, 3, v77
	v_lshrrev_b16 v88, 2, v77
	v_ffbh_u32_e32 v79, v78
	v_and_b32_e32 v88, 31, v88
	v_min_u32_e32 v79, 32, v79
	v_cmp_eq_u32_e32 vcc_lo, 0, v88
	v_subrev_nc_u32_e32 v89, 29, v79
	v_sub_nc_u32_e32 v79, 30, v79
	v_lshlrev_b32_e32 v89, v89, v77
	v_lshlrev_b32_e32 v77, 24, v77
	v_cndmask_b32_e32 v79, v88, v79, vcc_lo
	v_and_b32_e32 v89, 3, v89
	v_and_b32_e32 v77, 0x80000000, v77
	v_lshl_add_u32 v79, v79, 23, 0x37800000
	v_cndmask_b32_e32 v78, v78, v89, vcc_lo
	v_lshlrev_b32_e32 v78, 21, v78
	v_or3_b32 v78, v77, v79, v78
.LBB2_3386:                             ;   in Loop: Header=BB2_3360 Depth=3
	s_or_b32 exec_lo, exec_lo, s22
	s_waitcnt vmcnt(6) lgkmcnt(6)
	v_cmp_gt_i16_sdwa s22, v81, v100 src0_sel:BYTE_0 src1_sel:DWORD
	s_mov_b32 s16, 0
	s_and_saveexec_b32 s23, s22
	s_xor_b32 s22, exec_lo, s23
	s_cbranch_execz .LBB2_3524
; %bb.3387:                             ;   in Loop: Header=BB2_3360 Depth=3
	v_cmp_eq_u16_sdwa s72, v81, v101 src0_sel:BYTE_0 src1_sel:DWORD
	s_mov_b32 s16, -1
	s_and_saveexec_b32 s23, s72
; %bb.3388:                             ;   in Loop: Header=BB2_3360 Depth=3
	s_xor_b32 s16, exec_lo, -1
; %bb.3389:                             ;   in Loop: Header=BB2_3360 Depth=3
	s_or_b32 exec_lo, exec_lo, s23
	s_and_b32 s16, s16, exec_lo
	s_or_saveexec_b32 s22, s22
	v_mov_b32_e32 v77, 0x7f800001
	s_xor_b32 exec_lo, exec_lo, s22
	s_cbranch_execnz .LBB2_3525
.LBB2_3390:                             ;   in Loop: Header=BB2_3360 Depth=3
	s_or_b32 exec_lo, exec_lo, s22
	s_and_saveexec_b32 s22, s16
	s_cbranch_execz .LBB2_3392
.LBB2_3391:                             ;   in Loop: Header=BB2_3360 Depth=3
	v_and_b32_e32 v77, 3, v81
	v_lshrrev_b16 v88, 2, v81
	v_ffbh_u32_e32 v79, v77
	v_and_b32_e32 v88, 31, v88
	v_min_u32_e32 v79, 32, v79
	v_cmp_eq_u32_e32 vcc_lo, 0, v88
	v_subrev_nc_u32_e32 v89, 29, v79
	v_sub_nc_u32_e32 v79, 30, v79
	v_lshlrev_b32_e32 v89, v89, v81
	v_lshlrev_b32_e32 v81, 24, v81
	v_cndmask_b32_e32 v79, v88, v79, vcc_lo
	v_and_b32_e32 v89, 3, v89
	v_and_b32_e32 v81, 0x80000000, v81
	v_lshl_add_u32 v79, v79, 23, 0x37800000
	v_cndmask_b32_e32 v77, v77, v89, vcc_lo
	v_lshlrev_b32_e32 v77, 21, v77
	v_or3_b32 v77, v81, v79, v77
.LBB2_3392:                             ;   in Loop: Header=BB2_3360 Depth=3
	s_or_b32 exec_lo, exec_lo, s22
	v_mul_f32_e32 v77, v78, v77
	v_and_b32_e32 v81, 0x7f800000, v77
	v_cmp_ne_u32_e32 vcc_lo, 0x7f800000, v81
	v_mov_b32_e32 v81, 0x80
	s_and_saveexec_b32 s22, vcc_lo
	s_cbranch_execz .LBB2_3400
; %bb.3393:                             ;   in Loop: Header=BB2_3360 Depth=3
	v_mov_b32_e32 v81, 0
	s_mov_b32 s23, exec_lo
	v_cmpx_ne_u32_e32 0, v77
	s_cbranch_execz .LBB2_3399
; %bb.3394:                             ;   in Loop: Header=BB2_3360 Depth=3
	v_bfe_u32 v81, v77, 23, 8
	v_and_b32_e32 v78, 0x7fffff, v77
	v_sub_nc_u32_e32 v79, 0x70, v81
	v_cmp_gt_u32_e32 vcc_lo, 0x71, v81
	v_or_b32_e32 v88, 0x800000, v78
	v_cndmask_b32_e32 v79, 0, v79, vcc_lo
	v_cmp_eq_u32_e32 vcc_lo, 0, v81
	v_add_nc_u32_e32 v81, 0xffffff91, v81
	v_cndmask_b32_e64 v79, v79, 0x6f, vcc_lo
	v_cndmask_b32_e32 v78, v88, v78, vcc_lo
	v_cndmask_b32_e64 v81, v81, 0xffffff92, vcc_lo
	v_lshl_add_u32 v88, 0x200000, v79, -1
	v_lshrrev_b32_e32 v89, v79, v78
	v_lshlrev_b32_e64 v91, v79, 0x100000
	v_add_nc_u32_e32 v79, v79, v81
	v_and_b32_e32 v78, v88, v78
	v_bfe_u32 v90, v89, 21, 1
	v_cmp_eq_u32_e64 s16, v78, v91
	v_add_nc_u32_e32 v88, -1, v90
	v_cndmask_b32_e64 v78, 0, v88, s16
	v_lshrrev_b32_e32 v88, 23, v89
	s_mov_b32 s16, exec_lo
	v_add_nc_u32_e32 v78, v78, v89
	v_xor_b32_e32 v88, 1, v88
	v_and_b32_e32 v81, 0x1fffff, v78
	v_add_nc_u32_e32 v78, v81, v89
                                        ; implicit-def: $vgpr81
	v_cmpx_ne_u32_e64 v79, v88
	s_xor_b32 s16, exec_lo, s16
; %bb.3395:                             ;   in Loop: Header=BB2_3360 Depth=3
	v_cmp_lt_u32_e32 vcc_lo, 0xffffff, v78
	v_sub_nc_u32_e32 v81, v79, v88
	v_cndmask_b32_e64 v79, 0, 1, vcc_lo
	v_add_co_ci_u32_e64 v81, null, 0, v81, vcc_lo
	v_lshrrev_b32_e32 v78, v79, v78
; %bb.3396:                             ;   in Loop: Header=BB2_3360 Depth=3
	s_andn2_saveexec_b32 s16, s16
; %bb.3397:                             ;   in Loop: Header=BB2_3360 Depth=3
	v_bfe_u32 v81, v78, 23, 1
; %bb.3398:                             ;   in Loop: Header=BB2_3360 Depth=3
	s_or_b32 exec_lo, exec_lo, s16
	v_lshrrev_b32_e32 v78, 21, v78
	v_cmp_gt_i32_e32 vcc_lo, 32, v81
	v_min_i32_e32 v79, 31, v81
	v_and_b32_sdwa v77, v77, v101 dst_sel:DWORD dst_unused:UNUSED_PAD src0_sel:BYTE_3 src1_sel:DWORD
	v_cndmask_b32_e32 v78, 3, v78, vcc_lo
	v_lshlrev_b32_e32 v79, 2, v79
	v_and_b32_e32 v88, 3, v78
	v_or_b32_e32 v81, v81, v78
	v_or3_b32 v77, v79, v77, v88
	v_cmp_ne_u32_e32 vcc_lo, 0, v81
	v_cndmask_b32_e32 v81, 0, v77, vcc_lo
.LBB2_3399:                             ;   in Loop: Header=BB2_3360 Depth=3
	s_or_b32 exec_lo, exec_lo, s23
.LBB2_3400:                             ;   in Loop: Header=BB2_3360 Depth=3
	s_or_b32 exec_lo, exec_lo, s22
	v_cmp_gt_i16_sdwa s22, v76, v100 src0_sel:BYTE_0 src1_sel:DWORD
	s_mov_b32 s16, 0
	s_and_saveexec_b32 s23, s22
	s_xor_b32 s22, exec_lo, s23
	s_cbranch_execz .LBB2_3526
; %bb.3401:                             ;   in Loop: Header=BB2_3360 Depth=3
	v_cmp_eq_u16_sdwa s72, v76, v101 src0_sel:BYTE_0 src1_sel:DWORD
	s_mov_b32 s16, -1
	s_and_saveexec_b32 s23, s72
; %bb.3402:                             ;   in Loop: Header=BB2_3360 Depth=3
	s_xor_b32 s16, exec_lo, -1
; %bb.3403:                             ;   in Loop: Header=BB2_3360 Depth=3
	s_or_b32 exec_lo, exec_lo, s23
	s_and_b32 s16, s16, exec_lo
	s_or_saveexec_b32 s22, s22
	v_mov_b32_e32 v77, 0x7f800001
	s_xor_b32 exec_lo, exec_lo, s22
	s_cbranch_execnz .LBB2_3527
.LBB2_3404:                             ;   in Loop: Header=BB2_3360 Depth=3
	s_or_b32 exec_lo, exec_lo, s22
	s_and_saveexec_b32 s22, s16
	s_cbranch_execz .LBB2_3406
.LBB2_3405:                             ;   in Loop: Header=BB2_3360 Depth=3
	v_and_b32_e32 v77, 3, v76
	v_lshrrev_b16 v79, 2, v76
	v_ffbh_u32_e32 v78, v77
	v_and_b32_e32 v79, 31, v79
	v_min_u32_e32 v78, 32, v78
	v_cmp_eq_u32_e32 vcc_lo, 0, v79
	v_subrev_nc_u32_e32 v88, 29, v78
	v_sub_nc_u32_e32 v78, 30, v78
	v_lshlrev_b32_e32 v88, v88, v76
	v_lshlrev_b32_e32 v76, 24, v76
	v_cndmask_b32_e32 v78, v79, v78, vcc_lo
	v_and_b32_e32 v88, 3, v88
	v_and_b32_e32 v76, 0x80000000, v76
	v_lshl_add_u32 v78, v78, 23, 0x37800000
	v_cndmask_b32_e32 v77, v77, v88, vcc_lo
	v_lshlrev_b32_e32 v77, 21, v77
	v_or3_b32 v77, v76, v78, v77
.LBB2_3406:                             ;   in Loop: Header=BB2_3360 Depth=3
	s_or_b32 exec_lo, exec_lo, s22
	s_waitcnt vmcnt(5) lgkmcnt(5)
	v_cmp_gt_i16_sdwa s22, v63, v100 src0_sel:BYTE_0 src1_sel:DWORD
	s_mov_b32 s16, 0
	s_and_saveexec_b32 s23, s22
	s_xor_b32 s22, exec_lo, s23
	s_cbranch_execz .LBB2_3528
; %bb.3407:                             ;   in Loop: Header=BB2_3360 Depth=3
	v_cmp_eq_u16_sdwa s72, v63, v101 src0_sel:BYTE_0 src1_sel:DWORD
	s_mov_b32 s16, -1
	s_and_saveexec_b32 s23, s72
; %bb.3408:                             ;   in Loop: Header=BB2_3360 Depth=3
	s_xor_b32 s16, exec_lo, -1
; %bb.3409:                             ;   in Loop: Header=BB2_3360 Depth=3
	s_or_b32 exec_lo, exec_lo, s23
	s_and_b32 s16, s16, exec_lo
	s_or_saveexec_b32 s22, s22
	v_mov_b32_e32 v76, 0x7f800001
	s_xor_b32 exec_lo, exec_lo, s22
	s_cbranch_execnz .LBB2_3529
.LBB2_3410:                             ;   in Loop: Header=BB2_3360 Depth=3
	s_or_b32 exec_lo, exec_lo, s22
	s_and_saveexec_b32 s22, s16
	s_cbranch_execz .LBB2_3412
.LBB2_3411:                             ;   in Loop: Header=BB2_3360 Depth=3
	v_and_b32_e32 v76, 3, v63
	v_lshrrev_b16 v79, 2, v63
	v_ffbh_u32_e32 v78, v76
	v_and_b32_e32 v79, 31, v79
	v_min_u32_e32 v78, 32, v78
	v_cmp_eq_u32_e32 vcc_lo, 0, v79
	v_subrev_nc_u32_e32 v88, 29, v78
	v_sub_nc_u32_e32 v78, 30, v78
	v_lshlrev_b32_e32 v88, v88, v63
	v_lshlrev_b32_e32 v63, 24, v63
	v_cndmask_b32_e32 v78, v79, v78, vcc_lo
	v_and_b32_e32 v88, 3, v88
	v_and_b32_e32 v63, 0x80000000, v63
	v_lshl_add_u32 v78, v78, 23, 0x37800000
	v_cndmask_b32_e32 v76, v76, v88, vcc_lo
	v_lshlrev_b32_e32 v76, 21, v76
	v_or3_b32 v76, v63, v78, v76
.LBB2_3412:                             ;   in Loop: Header=BB2_3360 Depth=3
	s_or_b32 exec_lo, exec_lo, s22
	v_mul_f32_e32 v76, v77, v76
	v_and_b32_e32 v63, 0x7f800000, v76
	v_cmp_ne_u32_e32 vcc_lo, 0x7f800000, v63
	v_mov_b32_e32 v63, 0x80
	s_and_saveexec_b32 s22, vcc_lo
	s_cbranch_execz .LBB2_3420
; %bb.3413:                             ;   in Loop: Header=BB2_3360 Depth=3
	v_mov_b32_e32 v63, 0
	s_mov_b32 s23, exec_lo
	v_cmpx_ne_u32_e32 0, v76
	s_cbranch_execz .LBB2_3419
; %bb.3414:                             ;   in Loop: Header=BB2_3360 Depth=3
	v_bfe_u32 v63, v76, 23, 8
	v_and_b32_e32 v77, 0x7fffff, v76
	v_sub_nc_u32_e32 v78, 0x70, v63
	v_cmp_gt_u32_e32 vcc_lo, 0x71, v63
	v_or_b32_e32 v79, 0x800000, v77
	v_cndmask_b32_e32 v78, 0, v78, vcc_lo
	v_cmp_eq_u32_e32 vcc_lo, 0, v63
	v_add_nc_u32_e32 v63, 0xffffff91, v63
	v_cndmask_b32_e64 v78, v78, 0x6f, vcc_lo
	v_cndmask_b32_e32 v77, v79, v77, vcc_lo
	v_cndmask_b32_e64 v63, v63, 0xffffff92, vcc_lo
	v_lshl_add_u32 v79, 0x200000, v78, -1
	v_lshrrev_b32_e32 v88, v78, v77
	v_lshlrev_b32_e64 v90, v78, 0x100000
	v_add_nc_u32_e32 v78, v78, v63
	v_and_b32_e32 v77, v79, v77
	v_bfe_u32 v89, v88, 21, 1
	v_cmp_eq_u32_e64 s16, v77, v90
	v_add_nc_u32_e32 v79, -1, v89
	v_cndmask_b32_e64 v77, 0, v79, s16
	v_lshrrev_b32_e32 v79, 23, v88
	s_mov_b32 s16, exec_lo
	v_add_nc_u32_e32 v77, v77, v88
	v_xor_b32_e32 v79, 1, v79
	v_and_b32_e32 v63, 0x1fffff, v77
	v_add_nc_u32_e32 v77, v63, v88
                                        ; implicit-def: $vgpr63
	v_cmpx_ne_u32_e64 v78, v79
	s_xor_b32 s16, exec_lo, s16
; %bb.3415:                             ;   in Loop: Header=BB2_3360 Depth=3
	v_cmp_lt_u32_e32 vcc_lo, 0xffffff, v77
	v_sub_nc_u32_e32 v63, v78, v79
	v_cndmask_b32_e64 v78, 0, 1, vcc_lo
	v_add_co_ci_u32_e64 v63, null, 0, v63, vcc_lo
	v_lshrrev_b32_e32 v77, v78, v77
; %bb.3416:                             ;   in Loop: Header=BB2_3360 Depth=3
	s_andn2_saveexec_b32 s16, s16
; %bb.3417:                             ;   in Loop: Header=BB2_3360 Depth=3
	v_bfe_u32 v63, v77, 23, 1
; %bb.3418:                             ;   in Loop: Header=BB2_3360 Depth=3
	s_or_b32 exec_lo, exec_lo, s16
	v_lshrrev_b32_e32 v77, 21, v77
	v_cmp_gt_i32_e32 vcc_lo, 32, v63
	v_min_i32_e32 v78, 31, v63
	v_and_b32_sdwa v76, v76, v101 dst_sel:DWORD dst_unused:UNUSED_PAD src0_sel:BYTE_3 src1_sel:DWORD
	v_cndmask_b32_e32 v77, 3, v77, vcc_lo
	v_lshlrev_b32_e32 v78, 2, v78
	v_and_b32_e32 v79, 3, v77
	v_or_b32_e32 v63, v63, v77
	v_or3_b32 v76, v78, v76, v79
	v_cmp_ne_u32_e32 vcc_lo, 0, v63
	v_cndmask_b32_e32 v63, 0, v76, vcc_lo
.LBB2_3419:                             ;   in Loop: Header=BB2_3360 Depth=3
	s_or_b32 exec_lo, exec_lo, s23
.LBB2_3420:                             ;   in Loop: Header=BB2_3360 Depth=3
	s_or_b32 exec_lo, exec_lo, s22
	v_cmp_gt_i16_sdwa s22, v75, v100 src0_sel:BYTE_0 src1_sel:DWORD
	s_mov_b32 s16, 0
	s_and_saveexec_b32 s23, s22
	s_xor_b32 s22, exec_lo, s23
	s_cbranch_execz .LBB2_3530
; %bb.3421:                             ;   in Loop: Header=BB2_3360 Depth=3
	v_cmp_eq_u16_sdwa s72, v75, v101 src0_sel:BYTE_0 src1_sel:DWORD
	s_mov_b32 s16, -1
	s_and_saveexec_b32 s23, s72
; %bb.3422:                             ;   in Loop: Header=BB2_3360 Depth=3
	s_xor_b32 s16, exec_lo, -1
; %bb.3423:                             ;   in Loop: Header=BB2_3360 Depth=3
	s_or_b32 exec_lo, exec_lo, s23
	s_and_b32 s16, s16, exec_lo
	s_or_saveexec_b32 s22, s22
	v_mov_b32_e32 v76, 0x7f800001
	s_xor_b32 exec_lo, exec_lo, s22
	s_cbranch_execnz .LBB2_3531
.LBB2_3424:                             ;   in Loop: Header=BB2_3360 Depth=3
	s_or_b32 exec_lo, exec_lo, s22
	s_and_saveexec_b32 s22, s16
	s_cbranch_execz .LBB2_3426
.LBB2_3425:                             ;   in Loop: Header=BB2_3360 Depth=3
	v_and_b32_e32 v76, 3, v75
	v_lshrrev_b16 v78, 2, v75
	v_ffbh_u32_e32 v77, v76
	v_and_b32_e32 v78, 31, v78
	v_min_u32_e32 v77, 32, v77
	v_cmp_eq_u32_e32 vcc_lo, 0, v78
	v_subrev_nc_u32_e32 v79, 29, v77
	v_sub_nc_u32_e32 v77, 30, v77
	v_lshlrev_b32_e32 v79, v79, v75
	v_lshlrev_b32_e32 v75, 24, v75
	v_cndmask_b32_e32 v77, v78, v77, vcc_lo
	v_and_b32_e32 v79, 3, v79
	v_and_b32_e32 v75, 0x80000000, v75
	v_lshl_add_u32 v77, v77, 23, 0x37800000
	v_cndmask_b32_e32 v76, v76, v79, vcc_lo
	v_lshlrev_b32_e32 v76, 21, v76
	v_or3_b32 v76, v75, v77, v76
.LBB2_3426:                             ;   in Loop: Header=BB2_3360 Depth=3
	s_or_b32 exec_lo, exec_lo, s22
	s_waitcnt vmcnt(4) lgkmcnt(4)
	v_cmp_gt_i16_sdwa s22, v74, v100 src0_sel:BYTE_0 src1_sel:DWORD
	s_mov_b32 s16, 0
	s_and_saveexec_b32 s23, s22
	s_xor_b32 s22, exec_lo, s23
	s_cbranch_execz .LBB2_3532
; %bb.3427:                             ;   in Loop: Header=BB2_3360 Depth=3
	v_cmp_eq_u16_sdwa s72, v74, v101 src0_sel:BYTE_0 src1_sel:DWORD
	s_mov_b32 s16, -1
	s_and_saveexec_b32 s23, s72
; %bb.3428:                             ;   in Loop: Header=BB2_3360 Depth=3
	s_xor_b32 s16, exec_lo, -1
; %bb.3429:                             ;   in Loop: Header=BB2_3360 Depth=3
	s_or_b32 exec_lo, exec_lo, s23
	s_and_b32 s16, s16, exec_lo
	s_or_saveexec_b32 s22, s22
	v_mov_b32_e32 v75, 0x7f800001
	s_xor_b32 exec_lo, exec_lo, s22
	s_cbranch_execnz .LBB2_3533
.LBB2_3430:                             ;   in Loop: Header=BB2_3360 Depth=3
	s_or_b32 exec_lo, exec_lo, s22
	s_and_saveexec_b32 s22, s16
	s_cbranch_execz .LBB2_3432
.LBB2_3431:                             ;   in Loop: Header=BB2_3360 Depth=3
	v_and_b32_e32 v75, 3, v74
	v_lshrrev_b16 v78, 2, v74
	v_ffbh_u32_e32 v77, v75
	v_and_b32_e32 v78, 31, v78
	v_min_u32_e32 v77, 32, v77
	v_cmp_eq_u32_e32 vcc_lo, 0, v78
	v_subrev_nc_u32_e32 v79, 29, v77
	v_sub_nc_u32_e32 v77, 30, v77
	v_lshlrev_b32_e32 v79, v79, v74
	v_lshlrev_b32_e32 v74, 24, v74
	v_cndmask_b32_e32 v77, v78, v77, vcc_lo
	v_and_b32_e32 v79, 3, v79
	v_and_b32_e32 v74, 0x80000000, v74
	v_lshl_add_u32 v77, v77, 23, 0x37800000
	v_cndmask_b32_e32 v75, v75, v79, vcc_lo
	v_lshlrev_b32_e32 v75, 21, v75
	v_or3_b32 v75, v74, v77, v75
.LBB2_3432:                             ;   in Loop: Header=BB2_3360 Depth=3
	s_or_b32 exec_lo, exec_lo, s22
	v_mul_f32_e32 v75, v76, v75
	v_and_b32_e32 v74, 0x7f800000, v75
	v_cmp_ne_u32_e32 vcc_lo, 0x7f800000, v74
	v_mov_b32_e32 v74, 0x80
	s_and_saveexec_b32 s22, vcc_lo
	s_cbranch_execz .LBB2_3440
; %bb.3433:                             ;   in Loop: Header=BB2_3360 Depth=3
	v_mov_b32_e32 v74, 0
	s_mov_b32 s23, exec_lo
	v_cmpx_ne_u32_e32 0, v75
	s_cbranch_execz .LBB2_3439
; %bb.3434:                             ;   in Loop: Header=BB2_3360 Depth=3
	v_bfe_u32 v74, v75, 23, 8
	v_and_b32_e32 v76, 0x7fffff, v75
	v_sub_nc_u32_e32 v77, 0x70, v74
	v_cmp_gt_u32_e32 vcc_lo, 0x71, v74
	v_or_b32_e32 v78, 0x800000, v76
	v_cndmask_b32_e32 v77, 0, v77, vcc_lo
	v_cmp_eq_u32_e32 vcc_lo, 0, v74
	v_add_nc_u32_e32 v74, 0xffffff91, v74
	v_cndmask_b32_e64 v77, v77, 0x6f, vcc_lo
	v_cndmask_b32_e32 v76, v78, v76, vcc_lo
	v_cndmask_b32_e64 v74, v74, 0xffffff92, vcc_lo
	v_lshl_add_u32 v78, 0x200000, v77, -1
	v_lshrrev_b32_e32 v79, v77, v76
	v_lshlrev_b32_e64 v89, v77, 0x100000
	v_add_nc_u32_e32 v77, v77, v74
	v_and_b32_e32 v76, v78, v76
	v_bfe_u32 v88, v79, 21, 1
	v_cmp_eq_u32_e64 s16, v76, v89
	v_add_nc_u32_e32 v78, -1, v88
	v_cndmask_b32_e64 v76, 0, v78, s16
	v_lshrrev_b32_e32 v78, 23, v79
	s_mov_b32 s16, exec_lo
	v_add_nc_u32_e32 v76, v76, v79
	v_xor_b32_e32 v78, 1, v78
	v_and_b32_e32 v74, 0x1fffff, v76
	v_add_nc_u32_e32 v76, v74, v79
                                        ; implicit-def: $vgpr74
	v_cmpx_ne_u32_e64 v77, v78
	s_xor_b32 s16, exec_lo, s16
; %bb.3435:                             ;   in Loop: Header=BB2_3360 Depth=3
	v_cmp_lt_u32_e32 vcc_lo, 0xffffff, v76
	v_sub_nc_u32_e32 v74, v77, v78
	v_cndmask_b32_e64 v77, 0, 1, vcc_lo
	v_add_co_ci_u32_e64 v74, null, 0, v74, vcc_lo
	v_lshrrev_b32_e32 v76, v77, v76
; %bb.3436:                             ;   in Loop: Header=BB2_3360 Depth=3
	s_andn2_saveexec_b32 s16, s16
; %bb.3437:                             ;   in Loop: Header=BB2_3360 Depth=3
	v_bfe_u32 v74, v76, 23, 1
; %bb.3438:                             ;   in Loop: Header=BB2_3360 Depth=3
	s_or_b32 exec_lo, exec_lo, s16
	v_lshrrev_b32_e32 v76, 21, v76
	v_cmp_gt_i32_e32 vcc_lo, 32, v74
	v_min_i32_e32 v77, 31, v74
	v_and_b32_sdwa v75, v75, v101 dst_sel:DWORD dst_unused:UNUSED_PAD src0_sel:BYTE_3 src1_sel:DWORD
	v_cndmask_b32_e32 v76, 3, v76, vcc_lo
	v_lshlrev_b32_e32 v77, 2, v77
	v_and_b32_e32 v78, 3, v76
	v_or_b32_e32 v74, v74, v76
	v_or3_b32 v75, v77, v75, v78
	v_cmp_ne_u32_e32 vcc_lo, 0, v74
	v_cndmask_b32_e32 v74, 0, v75, vcc_lo
.LBB2_3439:                             ;   in Loop: Header=BB2_3360 Depth=3
	s_or_b32 exec_lo, exec_lo, s23
.LBB2_3440:                             ;   in Loop: Header=BB2_3360 Depth=3
	s_or_b32 exec_lo, exec_lo, s22
	v_cmp_gt_i16_sdwa s22, v73, v100 src0_sel:BYTE_0 src1_sel:DWORD
	s_mov_b32 s16, 0
	s_and_saveexec_b32 s23, s22
	s_xor_b32 s22, exec_lo, s23
	s_cbranch_execz .LBB2_3534
; %bb.3441:                             ;   in Loop: Header=BB2_3360 Depth=3
	v_cmp_eq_u16_sdwa s72, v73, v101 src0_sel:BYTE_0 src1_sel:DWORD
	s_mov_b32 s16, -1
	s_and_saveexec_b32 s23, s72
; %bb.3442:                             ;   in Loop: Header=BB2_3360 Depth=3
	s_xor_b32 s16, exec_lo, -1
; %bb.3443:                             ;   in Loop: Header=BB2_3360 Depth=3
	s_or_b32 exec_lo, exec_lo, s23
	s_and_b32 s16, s16, exec_lo
	s_or_saveexec_b32 s22, s22
	v_mov_b32_e32 v75, 0x7f800001
	s_xor_b32 exec_lo, exec_lo, s22
	s_cbranch_execnz .LBB2_3535
.LBB2_3444:                             ;   in Loop: Header=BB2_3360 Depth=3
	s_or_b32 exec_lo, exec_lo, s22
	s_and_saveexec_b32 s22, s16
	s_cbranch_execz .LBB2_3446
.LBB2_3445:                             ;   in Loop: Header=BB2_3360 Depth=3
	v_and_b32_e32 v75, 3, v73
	v_lshrrev_b16 v77, 2, v73
	v_ffbh_u32_e32 v76, v75
	v_and_b32_e32 v77, 31, v77
	v_min_u32_e32 v76, 32, v76
	v_cmp_eq_u32_e32 vcc_lo, 0, v77
	v_subrev_nc_u32_e32 v78, 29, v76
	v_sub_nc_u32_e32 v76, 30, v76
	v_lshlrev_b32_e32 v78, v78, v73
	v_lshlrev_b32_e32 v73, 24, v73
	v_cndmask_b32_e32 v76, v77, v76, vcc_lo
	v_and_b32_e32 v78, 3, v78
	v_and_b32_e32 v73, 0x80000000, v73
	v_lshl_add_u32 v76, v76, 23, 0x37800000
	v_cndmask_b32_e32 v75, v75, v78, vcc_lo
	v_lshlrev_b32_e32 v75, 21, v75
	v_or3_b32 v75, v73, v76, v75
.LBB2_3446:                             ;   in Loop: Header=BB2_3360 Depth=3
	s_or_b32 exec_lo, exec_lo, s22
	s_waitcnt vmcnt(3) lgkmcnt(3)
	v_cmp_gt_i16_sdwa s22, v72, v100 src0_sel:BYTE_0 src1_sel:DWORD
	s_mov_b32 s16, 0
	s_and_saveexec_b32 s23, s22
	s_xor_b32 s22, exec_lo, s23
	s_cbranch_execz .LBB2_3536
; %bb.3447:                             ;   in Loop: Header=BB2_3360 Depth=3
	v_cmp_eq_u16_sdwa s72, v72, v101 src0_sel:BYTE_0 src1_sel:DWORD
	s_mov_b32 s16, -1
	s_and_saveexec_b32 s23, s72
; %bb.3448:                             ;   in Loop: Header=BB2_3360 Depth=3
	s_xor_b32 s16, exec_lo, -1
; %bb.3449:                             ;   in Loop: Header=BB2_3360 Depth=3
	s_or_b32 exec_lo, exec_lo, s23
	s_and_b32 s16, s16, exec_lo
	s_or_saveexec_b32 s22, s22
	v_mov_b32_e32 v73, 0x7f800001
	s_xor_b32 exec_lo, exec_lo, s22
	s_cbranch_execnz .LBB2_3537
.LBB2_3450:                             ;   in Loop: Header=BB2_3360 Depth=3
	s_or_b32 exec_lo, exec_lo, s22
	s_and_saveexec_b32 s22, s16
	s_cbranch_execz .LBB2_3452
.LBB2_3451:                             ;   in Loop: Header=BB2_3360 Depth=3
	v_and_b32_e32 v73, 3, v72
	v_lshrrev_b16 v77, 2, v72
	v_ffbh_u32_e32 v76, v73
	v_and_b32_e32 v77, 31, v77
	v_min_u32_e32 v76, 32, v76
	v_cmp_eq_u32_e32 vcc_lo, 0, v77
	v_subrev_nc_u32_e32 v78, 29, v76
	v_sub_nc_u32_e32 v76, 30, v76
	v_lshlrev_b32_e32 v78, v78, v72
	v_lshlrev_b32_e32 v72, 24, v72
	v_cndmask_b32_e32 v76, v77, v76, vcc_lo
	v_and_b32_e32 v78, 3, v78
	v_and_b32_e32 v72, 0x80000000, v72
	v_lshl_add_u32 v76, v76, 23, 0x37800000
	v_cndmask_b32_e32 v73, v73, v78, vcc_lo
	v_lshlrev_b32_e32 v73, 21, v73
	v_or3_b32 v73, v72, v76, v73
.LBB2_3452:                             ;   in Loop: Header=BB2_3360 Depth=3
	s_or_b32 exec_lo, exec_lo, s22
	v_mul_f32_e32 v73, v75, v73
	v_and_b32_e32 v72, 0x7f800000, v73
	v_cmp_ne_u32_e32 vcc_lo, 0x7f800000, v72
	v_mov_b32_e32 v72, 0x80
	s_and_saveexec_b32 s22, vcc_lo
	s_cbranch_execz .LBB2_3460
; %bb.3453:                             ;   in Loop: Header=BB2_3360 Depth=3
	v_mov_b32_e32 v72, 0
	s_mov_b32 s23, exec_lo
	v_cmpx_ne_u32_e32 0, v73
	s_cbranch_execz .LBB2_3459
; %bb.3454:                             ;   in Loop: Header=BB2_3360 Depth=3
	v_bfe_u32 v72, v73, 23, 8
	v_and_b32_e32 v75, 0x7fffff, v73
	v_sub_nc_u32_e32 v76, 0x70, v72
	v_cmp_gt_u32_e32 vcc_lo, 0x71, v72
	v_or_b32_e32 v77, 0x800000, v75
	v_cndmask_b32_e32 v76, 0, v76, vcc_lo
	v_cmp_eq_u32_e32 vcc_lo, 0, v72
	v_add_nc_u32_e32 v72, 0xffffff91, v72
	v_cndmask_b32_e64 v76, v76, 0x6f, vcc_lo
	v_cndmask_b32_e32 v75, v77, v75, vcc_lo
	v_cndmask_b32_e64 v72, v72, 0xffffff92, vcc_lo
	v_lshl_add_u32 v77, 0x200000, v76, -1
	v_lshrrev_b32_e32 v78, v76, v75
	v_lshlrev_b32_e64 v88, v76, 0x100000
	v_add_nc_u32_e32 v76, v76, v72
	v_and_b32_e32 v75, v77, v75
	v_bfe_u32 v79, v78, 21, 1
	v_cmp_eq_u32_e64 s16, v75, v88
	v_add_nc_u32_e32 v77, -1, v79
	v_cndmask_b32_e64 v75, 0, v77, s16
	v_lshrrev_b32_e32 v77, 23, v78
	s_mov_b32 s16, exec_lo
	v_add_nc_u32_e32 v75, v75, v78
	v_xor_b32_e32 v77, 1, v77
	v_and_b32_e32 v72, 0x1fffff, v75
	v_add_nc_u32_e32 v75, v72, v78
                                        ; implicit-def: $vgpr72
	v_cmpx_ne_u32_e64 v76, v77
	s_xor_b32 s16, exec_lo, s16
; %bb.3455:                             ;   in Loop: Header=BB2_3360 Depth=3
	v_cmp_lt_u32_e32 vcc_lo, 0xffffff, v75
	v_sub_nc_u32_e32 v72, v76, v77
	v_cndmask_b32_e64 v76, 0, 1, vcc_lo
	v_add_co_ci_u32_e64 v72, null, 0, v72, vcc_lo
	v_lshrrev_b32_e32 v75, v76, v75
; %bb.3456:                             ;   in Loop: Header=BB2_3360 Depth=3
	s_andn2_saveexec_b32 s16, s16
; %bb.3457:                             ;   in Loop: Header=BB2_3360 Depth=3
	v_bfe_u32 v72, v75, 23, 1
; %bb.3458:                             ;   in Loop: Header=BB2_3360 Depth=3
	s_or_b32 exec_lo, exec_lo, s16
	v_lshrrev_b32_e32 v75, 21, v75
	v_cmp_gt_i32_e32 vcc_lo, 32, v72
	v_min_i32_e32 v76, 31, v72
	v_and_b32_sdwa v73, v73, v101 dst_sel:DWORD dst_unused:UNUSED_PAD src0_sel:BYTE_3 src1_sel:DWORD
	v_cndmask_b32_e32 v75, 3, v75, vcc_lo
	v_lshlrev_b32_e32 v76, 2, v76
	v_and_b32_e32 v77, 3, v75
	v_or_b32_e32 v72, v72, v75
	v_or3_b32 v73, v76, v73, v77
	v_cmp_ne_u32_e32 vcc_lo, 0, v72
	v_cndmask_b32_e32 v72, 0, v73, vcc_lo
.LBB2_3459:                             ;   in Loop: Header=BB2_3360 Depth=3
	s_or_b32 exec_lo, exec_lo, s23
.LBB2_3460:                             ;   in Loop: Header=BB2_3360 Depth=3
	s_or_b32 exec_lo, exec_lo, s22
	v_cmp_gt_i16_sdwa s22, v62, v100 src0_sel:BYTE_0 src1_sel:DWORD
	s_mov_b32 s16, 0
	s_and_saveexec_b32 s23, s22
	s_xor_b32 s22, exec_lo, s23
	s_cbranch_execz .LBB2_3538
; %bb.3461:                             ;   in Loop: Header=BB2_3360 Depth=3
	v_cmp_eq_u16_sdwa s72, v62, v101 src0_sel:BYTE_0 src1_sel:DWORD
	s_mov_b32 s16, -1
	s_and_saveexec_b32 s23, s72
; %bb.3462:                             ;   in Loop: Header=BB2_3360 Depth=3
	s_xor_b32 s16, exec_lo, -1
; %bb.3463:                             ;   in Loop: Header=BB2_3360 Depth=3
	s_or_b32 exec_lo, exec_lo, s23
	s_and_b32 s16, s16, exec_lo
	s_or_saveexec_b32 s22, s22
	v_mov_b32_e32 v73, 0x7f800001
	s_xor_b32 exec_lo, exec_lo, s22
	s_cbranch_execnz .LBB2_3539
.LBB2_3464:                             ;   in Loop: Header=BB2_3360 Depth=3
	s_or_b32 exec_lo, exec_lo, s22
	s_and_saveexec_b32 s22, s16
	s_cbranch_execz .LBB2_3466
.LBB2_3465:                             ;   in Loop: Header=BB2_3360 Depth=3
	v_and_b32_e32 v73, 3, v62
	v_lshrrev_b16 v76, 2, v62
	v_ffbh_u32_e32 v75, v73
	v_and_b32_e32 v76, 31, v76
	v_min_u32_e32 v75, 32, v75
	v_cmp_eq_u32_e32 vcc_lo, 0, v76
	v_subrev_nc_u32_e32 v77, 29, v75
	v_sub_nc_u32_e32 v75, 30, v75
	v_lshlrev_b32_e32 v77, v77, v62
	v_lshlrev_b32_e32 v62, 24, v62
	v_cndmask_b32_e32 v75, v76, v75, vcc_lo
	v_and_b32_e32 v77, 3, v77
	v_and_b32_e32 v62, 0x80000000, v62
	v_lshl_add_u32 v75, v75, 23, 0x37800000
	v_cndmask_b32_e32 v73, v73, v77, vcc_lo
	v_lshlrev_b32_e32 v73, 21, v73
	v_or3_b32 v73, v62, v75, v73
.LBB2_3466:                             ;   in Loop: Header=BB2_3360 Depth=3
	s_or_b32 exec_lo, exec_lo, s22
	s_waitcnt vmcnt(2) lgkmcnt(2)
	v_cmp_gt_i16_sdwa s22, v61, v100 src0_sel:BYTE_0 src1_sel:DWORD
	s_mov_b32 s16, 0
	s_and_saveexec_b32 s23, s22
	s_xor_b32 s22, exec_lo, s23
	s_cbranch_execz .LBB2_3540
; %bb.3467:                             ;   in Loop: Header=BB2_3360 Depth=3
	v_cmp_eq_u16_sdwa s72, v61, v101 src0_sel:BYTE_0 src1_sel:DWORD
	s_mov_b32 s16, -1
	s_and_saveexec_b32 s23, s72
; %bb.3468:                             ;   in Loop: Header=BB2_3360 Depth=3
	s_xor_b32 s16, exec_lo, -1
; %bb.3469:                             ;   in Loop: Header=BB2_3360 Depth=3
	s_or_b32 exec_lo, exec_lo, s23
	s_and_b32 s16, s16, exec_lo
	s_or_saveexec_b32 s22, s22
	v_mov_b32_e32 v62, 0x7f800001
	s_xor_b32 exec_lo, exec_lo, s22
	s_cbranch_execnz .LBB2_3541
.LBB2_3470:                             ;   in Loop: Header=BB2_3360 Depth=3
	s_or_b32 exec_lo, exec_lo, s22
	s_and_saveexec_b32 s22, s16
	s_cbranch_execz .LBB2_3472
.LBB2_3471:                             ;   in Loop: Header=BB2_3360 Depth=3
	v_and_b32_e32 v62, 3, v61
	v_lshrrev_b16 v76, 2, v61
	v_ffbh_u32_e32 v75, v62
	v_and_b32_e32 v76, 31, v76
	v_min_u32_e32 v75, 32, v75
	v_cmp_eq_u32_e32 vcc_lo, 0, v76
	v_subrev_nc_u32_e32 v77, 29, v75
	v_sub_nc_u32_e32 v75, 30, v75
	v_lshlrev_b32_e32 v77, v77, v61
	v_lshlrev_b32_e32 v61, 24, v61
	v_cndmask_b32_e32 v75, v76, v75, vcc_lo
	v_and_b32_e32 v77, 3, v77
	v_and_b32_e32 v61, 0x80000000, v61
	v_lshl_add_u32 v75, v75, 23, 0x37800000
	v_cndmask_b32_e32 v62, v62, v77, vcc_lo
	v_lshlrev_b32_e32 v62, 21, v62
	v_or3_b32 v62, v61, v75, v62
.LBB2_3472:                             ;   in Loop: Header=BB2_3360 Depth=3
	s_or_b32 exec_lo, exec_lo, s22
	v_mul_f32_e32 v62, v73, v62
	v_and_b32_e32 v61, 0x7f800000, v62
	v_cmp_ne_u32_e32 vcc_lo, 0x7f800000, v61
	v_mov_b32_e32 v61, 0x80
	s_and_saveexec_b32 s22, vcc_lo
	s_cbranch_execz .LBB2_3480
; %bb.3473:                             ;   in Loop: Header=BB2_3360 Depth=3
	v_mov_b32_e32 v61, 0
	s_mov_b32 s23, exec_lo
	v_cmpx_ne_u32_e32 0, v62
	s_cbranch_execz .LBB2_3479
; %bb.3474:                             ;   in Loop: Header=BB2_3360 Depth=3
	v_bfe_u32 v61, v62, 23, 8
	v_and_b32_e32 v73, 0x7fffff, v62
	v_sub_nc_u32_e32 v75, 0x70, v61
	v_cmp_gt_u32_e32 vcc_lo, 0x71, v61
	v_or_b32_e32 v76, 0x800000, v73
	v_cndmask_b32_e32 v75, 0, v75, vcc_lo
	v_cmp_eq_u32_e32 vcc_lo, 0, v61
	v_add_nc_u32_e32 v61, 0xffffff91, v61
	v_cndmask_b32_e64 v75, v75, 0x6f, vcc_lo
	v_cndmask_b32_e32 v73, v76, v73, vcc_lo
	v_cndmask_b32_e64 v61, v61, 0xffffff92, vcc_lo
	v_lshl_add_u32 v76, 0x200000, v75, -1
	v_lshrrev_b32_e32 v77, v75, v73
	v_lshlrev_b32_e64 v79, v75, 0x100000
	v_add_nc_u32_e32 v75, v75, v61
	v_and_b32_e32 v73, v76, v73
	v_bfe_u32 v78, v77, 21, 1
	v_cmp_eq_u32_e64 s16, v73, v79
	v_add_nc_u32_e32 v76, -1, v78
	v_cndmask_b32_e64 v73, 0, v76, s16
	v_lshrrev_b32_e32 v76, 23, v77
	s_mov_b32 s16, exec_lo
	v_add_nc_u32_e32 v73, v73, v77
	v_xor_b32_e32 v76, 1, v76
	v_and_b32_e32 v61, 0x1fffff, v73
	v_add_nc_u32_e32 v73, v61, v77
                                        ; implicit-def: $vgpr61
	v_cmpx_ne_u32_e64 v75, v76
	s_xor_b32 s16, exec_lo, s16
; %bb.3475:                             ;   in Loop: Header=BB2_3360 Depth=3
	v_cmp_lt_u32_e32 vcc_lo, 0xffffff, v73
	v_sub_nc_u32_e32 v61, v75, v76
	v_cndmask_b32_e64 v75, 0, 1, vcc_lo
	v_add_co_ci_u32_e64 v61, null, 0, v61, vcc_lo
	v_lshrrev_b32_e32 v73, v75, v73
; %bb.3476:                             ;   in Loop: Header=BB2_3360 Depth=3
	s_andn2_saveexec_b32 s16, s16
; %bb.3477:                             ;   in Loop: Header=BB2_3360 Depth=3
	v_bfe_u32 v61, v73, 23, 1
; %bb.3478:                             ;   in Loop: Header=BB2_3360 Depth=3
	s_or_b32 exec_lo, exec_lo, s16
	v_lshrrev_b32_e32 v73, 21, v73
	v_cmp_gt_i32_e32 vcc_lo, 32, v61
	v_min_i32_e32 v75, 31, v61
	v_and_b32_sdwa v62, v62, v101 dst_sel:DWORD dst_unused:UNUSED_PAD src0_sel:BYTE_3 src1_sel:DWORD
	v_cndmask_b32_e32 v73, 3, v73, vcc_lo
	v_lshlrev_b32_e32 v75, 2, v75
	v_and_b32_e32 v76, 3, v73
	v_or_b32_e32 v61, v61, v73
	v_or3_b32 v62, v75, v62, v76
	v_cmp_ne_u32_e32 vcc_lo, 0, v61
	v_cndmask_b32_e32 v61, 0, v62, vcc_lo
.LBB2_3479:                             ;   in Loop: Header=BB2_3360 Depth=3
	s_or_b32 exec_lo, exec_lo, s23
.LBB2_3480:                             ;   in Loop: Header=BB2_3360 Depth=3
	s_or_b32 exec_lo, exec_lo, s22
	v_cmp_gt_i16_sdwa s22, v80, v100 src0_sel:BYTE_0 src1_sel:DWORD
	s_mov_b32 s16, 0
	s_and_saveexec_b32 s23, s22
	s_xor_b32 s22, exec_lo, s23
	s_cbranch_execz .LBB2_3542
; %bb.3481:                             ;   in Loop: Header=BB2_3360 Depth=3
	v_cmp_eq_u16_sdwa s72, v80, v101 src0_sel:BYTE_0 src1_sel:DWORD
	s_mov_b32 s16, -1
	s_and_saveexec_b32 s23, s72
; %bb.3482:                             ;   in Loop: Header=BB2_3360 Depth=3
	s_xor_b32 s16, exec_lo, -1
; %bb.3483:                             ;   in Loop: Header=BB2_3360 Depth=3
	s_or_b32 exec_lo, exec_lo, s23
	s_and_b32 s16, s16, exec_lo
	s_or_saveexec_b32 s22, s22
	v_mov_b32_e32 v62, 0x7f800001
	s_xor_b32 exec_lo, exec_lo, s22
	s_cbranch_execnz .LBB2_3543
.LBB2_3484:                             ;   in Loop: Header=BB2_3360 Depth=3
	s_or_b32 exec_lo, exec_lo, s22
	s_and_saveexec_b32 s22, s16
	s_cbranch_execz .LBB2_3486
.LBB2_3485:                             ;   in Loop: Header=BB2_3360 Depth=3
	v_and_b32_e32 v62, 3, v80
	v_lshrrev_b16 v75, 2, v80
	v_ffbh_u32_e32 v73, v62
	v_and_b32_e32 v75, 31, v75
	v_min_u32_e32 v73, 32, v73
	v_cmp_eq_u32_e32 vcc_lo, 0, v75
	v_subrev_nc_u32_e32 v76, 29, v73
	v_sub_nc_u32_e32 v73, 30, v73
	v_lshlrev_b32_e32 v76, v76, v80
	v_lshlrev_b32_e32 v80, 24, v80
	v_cndmask_b32_e32 v73, v75, v73, vcc_lo
	v_and_b32_e32 v76, 3, v76
	v_and_b32_e32 v80, 0x80000000, v80
	v_lshl_add_u32 v73, v73, 23, 0x37800000
	v_cndmask_b32_e32 v62, v62, v76, vcc_lo
	v_lshlrev_b32_e32 v62, 21, v62
	v_or3_b32 v62, v80, v73, v62
.LBB2_3486:                             ;   in Loop: Header=BB2_3360 Depth=3
	s_or_b32 exec_lo, exec_lo, s22
	s_waitcnt vmcnt(1) lgkmcnt(1)
	v_cmp_gt_i16_sdwa s22, v67, v100 src0_sel:BYTE_0 src1_sel:DWORD
	s_mov_b32 s16, 0
	s_and_saveexec_b32 s23, s22
	s_xor_b32 s22, exec_lo, s23
	s_cbranch_execz .LBB2_3544
; %bb.3487:                             ;   in Loop: Header=BB2_3360 Depth=3
	v_cmp_eq_u16_sdwa s72, v67, v101 src0_sel:BYTE_0 src1_sel:DWORD
	s_mov_b32 s16, -1
	s_and_saveexec_b32 s23, s72
; %bb.3488:                             ;   in Loop: Header=BB2_3360 Depth=3
	s_xor_b32 s16, exec_lo, -1
; %bb.3489:                             ;   in Loop: Header=BB2_3360 Depth=3
	s_or_b32 exec_lo, exec_lo, s23
	s_and_b32 s16, s16, exec_lo
	s_or_saveexec_b32 s22, s22
	v_mov_b32_e32 v80, 0x7f800001
	s_xor_b32 exec_lo, exec_lo, s22
	s_cbranch_execnz .LBB2_3545
.LBB2_3490:                             ;   in Loop: Header=BB2_3360 Depth=3
	s_or_b32 exec_lo, exec_lo, s22
	s_and_saveexec_b32 s22, s16
	s_cbranch_execz .LBB2_3492
.LBB2_3491:                             ;   in Loop: Header=BB2_3360 Depth=3
	v_and_b32_e32 v80, 3, v67
	v_lshrrev_b16 v75, 2, v67
	v_ffbh_u32_e32 v73, v80
	v_and_b32_e32 v75, 31, v75
	v_min_u32_e32 v73, 32, v73
	v_cmp_eq_u32_e32 vcc_lo, 0, v75
	v_subrev_nc_u32_e32 v76, 29, v73
	v_sub_nc_u32_e32 v73, 30, v73
	v_lshlrev_b32_e32 v76, v76, v67
	v_lshlrev_b32_e32 v67, 24, v67
	v_cndmask_b32_e32 v73, v75, v73, vcc_lo
	v_and_b32_e32 v76, 3, v76
	v_and_b32_e32 v67, 0x80000000, v67
	v_lshl_add_u32 v73, v73, 23, 0x37800000
	v_cndmask_b32_e32 v80, v80, v76, vcc_lo
	v_lshlrev_b32_e32 v80, 21, v80
	v_or3_b32 v80, v67, v73, v80
.LBB2_3492:                             ;   in Loop: Header=BB2_3360 Depth=3
	s_or_b32 exec_lo, exec_lo, s22
	v_mul_f32_e32 v80, v62, v80
	v_and_b32_e32 v67, 0x7f800000, v80
	v_cmp_ne_u32_e32 vcc_lo, 0x7f800000, v67
	v_mov_b32_e32 v67, 0x80
	s_and_saveexec_b32 s22, vcc_lo
	s_cbranch_execz .LBB2_3500
; %bb.3493:                             ;   in Loop: Header=BB2_3360 Depth=3
	v_mov_b32_e32 v67, 0
	s_mov_b32 s23, exec_lo
	v_cmpx_ne_u32_e32 0, v80
	s_cbranch_execz .LBB2_3499
; %bb.3494:                             ;   in Loop: Header=BB2_3360 Depth=3
	v_bfe_u32 v67, v80, 23, 8
	v_and_b32_e32 v62, 0x7fffff, v80
	v_sub_nc_u32_e32 v73, 0x70, v67
	v_cmp_gt_u32_e32 vcc_lo, 0x71, v67
	v_or_b32_e32 v75, 0x800000, v62
	v_cndmask_b32_e32 v73, 0, v73, vcc_lo
	v_cmp_eq_u32_e32 vcc_lo, 0, v67
	v_add_nc_u32_e32 v67, 0xffffff91, v67
	v_cndmask_b32_e64 v73, v73, 0x6f, vcc_lo
	v_cndmask_b32_e32 v62, v75, v62, vcc_lo
	v_cndmask_b32_e64 v67, v67, 0xffffff92, vcc_lo
	v_lshl_add_u32 v75, 0x200000, v73, -1
	v_lshrrev_b32_e32 v76, v73, v62
	v_lshlrev_b32_e64 v78, v73, 0x100000
	v_add_nc_u32_e32 v73, v73, v67
	v_and_b32_e32 v62, v75, v62
	v_bfe_u32 v77, v76, 21, 1
	v_cmp_eq_u32_e64 s16, v62, v78
	v_add_nc_u32_e32 v75, -1, v77
	v_cndmask_b32_e64 v62, 0, v75, s16
	v_lshrrev_b32_e32 v75, 23, v76
	s_mov_b32 s16, exec_lo
	v_add_nc_u32_e32 v62, v62, v76
	v_xor_b32_e32 v75, 1, v75
	v_and_b32_e32 v67, 0x1fffff, v62
	v_add_nc_u32_e32 v62, v67, v76
                                        ; implicit-def: $vgpr67
	v_cmpx_ne_u32_e64 v73, v75
	s_xor_b32 s16, exec_lo, s16
; %bb.3495:                             ;   in Loop: Header=BB2_3360 Depth=3
	v_cmp_lt_u32_e32 vcc_lo, 0xffffff, v62
	v_sub_nc_u32_e32 v67, v73, v75
	v_cndmask_b32_e64 v73, 0, 1, vcc_lo
	v_add_co_ci_u32_e64 v67, null, 0, v67, vcc_lo
	v_lshrrev_b32_e32 v62, v73, v62
; %bb.3496:                             ;   in Loop: Header=BB2_3360 Depth=3
	s_andn2_saveexec_b32 s16, s16
; %bb.3497:                             ;   in Loop: Header=BB2_3360 Depth=3
	v_bfe_u32 v67, v62, 23, 1
; %bb.3498:                             ;   in Loop: Header=BB2_3360 Depth=3
	s_or_b32 exec_lo, exec_lo, s16
	v_lshrrev_b32_e32 v62, 21, v62
	v_cmp_gt_i32_e32 vcc_lo, 32, v67
	v_min_i32_e32 v73, 31, v67
	v_and_b32_sdwa v80, v80, v101 dst_sel:DWORD dst_unused:UNUSED_PAD src0_sel:BYTE_3 src1_sel:DWORD
	v_cndmask_b32_e32 v62, 3, v62, vcc_lo
	v_lshlrev_b32_e32 v73, 2, v73
	v_and_b32_e32 v75, 3, v62
	v_or_b32_e32 v67, v67, v62
	v_or3_b32 v80, v73, v80, v75
	v_cmp_ne_u32_e32 vcc_lo, 0, v67
	v_cndmask_b32_e32 v67, 0, v80, vcc_lo
.LBB2_3499:                             ;   in Loop: Header=BB2_3360 Depth=3
	s_or_b32 exec_lo, exec_lo, s23
.LBB2_3500:                             ;   in Loop: Header=BB2_3360 Depth=3
	s_or_b32 exec_lo, exec_lo, s22
	v_cmp_gt_i16_sdwa s22, v65, v100 src0_sel:BYTE_0 src1_sel:DWORD
	s_mov_b32 s16, 0
	s_and_saveexec_b32 s23, s22
	s_xor_b32 s22, exec_lo, s23
	s_cbranch_execz .LBB2_3546
; %bb.3501:                             ;   in Loop: Header=BB2_3360 Depth=3
	v_cmp_eq_u16_sdwa s72, v65, v101 src0_sel:BYTE_0 src1_sel:DWORD
	s_mov_b32 s16, -1
	s_and_saveexec_b32 s23, s72
; %bb.3502:                             ;   in Loop: Header=BB2_3360 Depth=3
	s_xor_b32 s16, exec_lo, -1
; %bb.3503:                             ;   in Loop: Header=BB2_3360 Depth=3
	s_or_b32 exec_lo, exec_lo, s23
	s_and_b32 s16, s16, exec_lo
	s_or_saveexec_b32 s22, s22
	v_mov_b32_e32 v80, 0x7f800001
	s_xor_b32 exec_lo, exec_lo, s22
	s_cbranch_execnz .LBB2_3547
.LBB2_3504:                             ;   in Loop: Header=BB2_3360 Depth=3
	s_or_b32 exec_lo, exec_lo, s22
	s_and_saveexec_b32 s22, s16
	s_cbranch_execz .LBB2_3506
.LBB2_3505:                             ;   in Loop: Header=BB2_3360 Depth=3
	v_and_b32_e32 v80, 3, v65
	v_lshrrev_b16 v73, 2, v65
	v_ffbh_u32_e32 v62, v80
	v_and_b32_e32 v73, 31, v73
	v_min_u32_e32 v62, 32, v62
	v_cmp_eq_u32_e32 vcc_lo, 0, v73
	v_subrev_nc_u32_e32 v75, 29, v62
	v_sub_nc_u32_e32 v62, 30, v62
	v_lshlrev_b32_e32 v75, v75, v65
	v_lshlrev_b32_e32 v65, 24, v65
	v_cndmask_b32_e32 v62, v73, v62, vcc_lo
	v_and_b32_e32 v75, 3, v75
	v_and_b32_e32 v65, 0x80000000, v65
	v_lshl_add_u32 v62, v62, 23, 0x37800000
	v_cndmask_b32_e32 v80, v80, v75, vcc_lo
	v_lshlrev_b32_e32 v80, 21, v80
	v_or3_b32 v80, v65, v62, v80
.LBB2_3506:                             ;   in Loop: Header=BB2_3360 Depth=3
	s_or_b32 exec_lo, exec_lo, s22
	s_waitcnt vmcnt(0) lgkmcnt(0)
	v_cmp_gt_i16_sdwa s22, v64, v100 src0_sel:BYTE_0 src1_sel:DWORD
	s_mov_b32 s16, 0
	s_and_saveexec_b32 s23, s22
	s_xor_b32 s22, exec_lo, s23
	s_cbranch_execz .LBB2_3548
; %bb.3507:                             ;   in Loop: Header=BB2_3360 Depth=3
	v_cmp_eq_u16_sdwa s72, v64, v101 src0_sel:BYTE_0 src1_sel:DWORD
	s_mov_b32 s16, -1
	s_and_saveexec_b32 s23, s72
; %bb.3508:                             ;   in Loop: Header=BB2_3360 Depth=3
	s_xor_b32 s16, exec_lo, -1
; %bb.3509:                             ;   in Loop: Header=BB2_3360 Depth=3
	s_or_b32 exec_lo, exec_lo, s23
	s_and_b32 s16, s16, exec_lo
	s_or_saveexec_b32 s22, s22
	v_mov_b32_e32 v65, 0x7f800001
	s_xor_b32 exec_lo, exec_lo, s22
	s_cbranch_execnz .LBB2_3549
.LBB2_3510:                             ;   in Loop: Header=BB2_3360 Depth=3
	s_or_b32 exec_lo, exec_lo, s22
	s_and_saveexec_b32 s22, s16
	s_cbranch_execz .LBB2_3512
.LBB2_3511:                             ;   in Loop: Header=BB2_3360 Depth=3
	v_and_b32_e32 v65, 3, v64
	v_lshrrev_b16 v73, 2, v64
	v_ffbh_u32_e32 v62, v65
	v_and_b32_e32 v73, 31, v73
	v_min_u32_e32 v62, 32, v62
	v_cmp_eq_u32_e32 vcc_lo, 0, v73
	v_subrev_nc_u32_e32 v75, 29, v62
	v_sub_nc_u32_e32 v62, 30, v62
	v_lshlrev_b32_e32 v75, v75, v64
	v_lshlrev_b32_e32 v64, 24, v64
	v_cndmask_b32_e32 v62, v73, v62, vcc_lo
	v_and_b32_e32 v75, 3, v75
	v_and_b32_e32 v64, 0x80000000, v64
	v_lshl_add_u32 v62, v62, 23, 0x37800000
	v_cndmask_b32_e32 v65, v65, v75, vcc_lo
	v_lshlrev_b32_e32 v65, 21, v65
	v_or3_b32 v65, v64, v62, v65
.LBB2_3512:                             ;   in Loop: Header=BB2_3360 Depth=3
	s_or_b32 exec_lo, exec_lo, s22
	v_mul_f32_e32 v64, v80, v65
	v_and_b32_e32 v65, 0x7f800000, v64
	v_cmp_ne_u32_e32 vcc_lo, 0x7f800000, v65
	v_mov_b32_e32 v65, 0x80
	s_and_saveexec_b32 s22, vcc_lo
	s_cbranch_execz .LBB2_3359
; %bb.3513:                             ;   in Loop: Header=BB2_3360 Depth=3
	v_mov_b32_e32 v65, 0
	s_mov_b32 s23, exec_lo
	v_cmpx_ne_u32_e32 0, v64
	s_cbranch_execz .LBB2_3358
; %bb.3514:                             ;   in Loop: Header=BB2_3360 Depth=3
	v_bfe_u32 v65, v64, 23, 8
	v_and_b32_e32 v80, 0x7fffff, v64
	v_sub_nc_u32_e32 v62, 0x70, v65
	v_cmp_gt_u32_e32 vcc_lo, 0x71, v65
	v_or_b32_e32 v73, 0x800000, v80
	v_cndmask_b32_e32 v62, 0, v62, vcc_lo
	v_cmp_eq_u32_e32 vcc_lo, 0, v65
	v_add_nc_u32_e32 v65, 0xffffff91, v65
	v_cndmask_b32_e64 v62, v62, 0x6f, vcc_lo
	v_cndmask_b32_e32 v80, v73, v80, vcc_lo
	v_cndmask_b32_e64 v65, v65, 0xffffff92, vcc_lo
	v_lshl_add_u32 v73, 0x200000, v62, -1
	v_lshrrev_b32_e32 v75, v62, v80
	v_lshlrev_b32_e64 v77, v62, 0x100000
	v_add_nc_u32_e32 v62, v62, v65
	v_and_b32_e32 v80, v73, v80
	v_bfe_u32 v76, v75, 21, 1
	v_cmp_eq_u32_e64 s16, v80, v77
	v_add_nc_u32_e32 v73, -1, v76
	v_cndmask_b32_e64 v80, 0, v73, s16
	v_lshrrev_b32_e32 v73, 23, v75
	s_mov_b32 s16, exec_lo
	v_add_nc_u32_e32 v80, v80, v75
	v_xor_b32_e32 v73, 1, v73
	v_and_b32_e32 v65, 0x1fffff, v80
	v_add_nc_u32_e32 v80, v65, v75
                                        ; implicit-def: $vgpr65
	v_cmpx_ne_u32_e64 v62, v73
	s_xor_b32 s16, exec_lo, s16
; %bb.3515:                             ;   in Loop: Header=BB2_3360 Depth=3
	v_cmp_lt_u32_e32 vcc_lo, 0xffffff, v80
	v_sub_nc_u32_e32 v65, v62, v73
	v_cndmask_b32_e64 v62, 0, 1, vcc_lo
	v_add_co_ci_u32_e64 v65, null, 0, v65, vcc_lo
	v_lshrrev_b32_e32 v80, v62, v80
; %bb.3516:                             ;   in Loop: Header=BB2_3360 Depth=3
	s_andn2_saveexec_b32 s16, s16
	s_cbranch_execz .LBB2_3357
; %bb.3517:                             ;   in Loop: Header=BB2_3360 Depth=3
	v_bfe_u32 v65, v80, 23, 1
	s_branch .LBB2_3357
.LBB2_3518:                             ;   in Loop: Header=BB2_3360 Depth=3
	s_or_saveexec_b32 s22, s22
	v_mov_b32_e32 v78, 0x7f800001
	s_xor_b32 exec_lo, exec_lo, s22
	s_cbranch_execz .LBB2_3364
.LBB2_3519:                             ;   in Loop: Header=BB2_3360 Depth=3
	v_cmp_ne_u16_e32 vcc_lo, 0, v79
	v_mov_b32_e32 v78, 0
	s_andn2_b32 s16, s16, exec_lo
	s_and_b32 s23, vcc_lo, exec_lo
	s_or_b32 s16, s16, s23
	s_or_b32 exec_lo, exec_lo, s22
	s_and_saveexec_b32 s22, s16
	s_cbranch_execnz .LBB2_3365
	s_branch .LBB2_3366
.LBB2_3520:                             ;   in Loop: Header=BB2_3360 Depth=3
	s_or_saveexec_b32 s22, s22
	v_mov_b32_e32 v79, 0x7f800001
	s_xor_b32 exec_lo, exec_lo, s22
	s_cbranch_execz .LBB2_3370
.LBB2_3521:                             ;   in Loop: Header=BB2_3360 Depth=3
	v_cmp_ne_u16_sdwa s23, v66, v2 src0_sel:BYTE_0 src1_sel:DWORD
	v_mov_b32_e32 v79, 0
	s_andn2_b32 s16, s16, exec_lo
	s_and_b32 s23, s23, exec_lo
	s_or_b32 s16, s16, s23
	s_or_b32 exec_lo, exec_lo, s22
	s_and_saveexec_b32 s22, s16
	s_cbranch_execnz .LBB2_3371
	s_branch .LBB2_3372
.LBB2_3522:                             ;   in Loop: Header=BB2_3360 Depth=3
	s_or_saveexec_b32 s22, s22
	v_mov_b32_e32 v78, 0x7f800001
	s_xor_b32 exec_lo, exec_lo, s22
	s_cbranch_execz .LBB2_3384
.LBB2_3523:                             ;   in Loop: Header=BB2_3360 Depth=3
	v_cmp_ne_u16_sdwa s23, v77, v2 src0_sel:BYTE_0 src1_sel:DWORD
	v_mov_b32_e32 v78, 0
	s_andn2_b32 s16, s16, exec_lo
	s_and_b32 s23, s23, exec_lo
	s_or_b32 s16, s16, s23
	s_or_b32 exec_lo, exec_lo, s22
	s_and_saveexec_b32 s22, s16
	s_cbranch_execnz .LBB2_3385
	s_branch .LBB2_3386
.LBB2_3524:                             ;   in Loop: Header=BB2_3360 Depth=3
	s_or_saveexec_b32 s22, s22
	v_mov_b32_e32 v77, 0x7f800001
	s_xor_b32 exec_lo, exec_lo, s22
	s_cbranch_execz .LBB2_3390
.LBB2_3525:                             ;   in Loop: Header=BB2_3360 Depth=3
	v_cmp_ne_u16_sdwa s23, v81, v2 src0_sel:BYTE_0 src1_sel:DWORD
	v_mov_b32_e32 v77, 0
	s_andn2_b32 s16, s16, exec_lo
	s_and_b32 s23, s23, exec_lo
	s_or_b32 s16, s16, s23
	s_or_b32 exec_lo, exec_lo, s22
	s_and_saveexec_b32 s22, s16
	s_cbranch_execnz .LBB2_3391
	s_branch .LBB2_3392
.LBB2_3526:                             ;   in Loop: Header=BB2_3360 Depth=3
	s_or_saveexec_b32 s22, s22
	v_mov_b32_e32 v77, 0x7f800001
	s_xor_b32 exec_lo, exec_lo, s22
	s_cbranch_execz .LBB2_3404
.LBB2_3527:                             ;   in Loop: Header=BB2_3360 Depth=3
	v_cmp_ne_u16_sdwa s23, v76, v2 src0_sel:BYTE_0 src1_sel:DWORD
	v_mov_b32_e32 v77, 0
	s_andn2_b32 s16, s16, exec_lo
	s_and_b32 s23, s23, exec_lo
	s_or_b32 s16, s16, s23
	s_or_b32 exec_lo, exec_lo, s22
	s_and_saveexec_b32 s22, s16
	s_cbranch_execnz .LBB2_3405
	s_branch .LBB2_3406
.LBB2_3528:                             ;   in Loop: Header=BB2_3360 Depth=3
	s_or_saveexec_b32 s22, s22
	v_mov_b32_e32 v76, 0x7f800001
	s_xor_b32 exec_lo, exec_lo, s22
	s_cbranch_execz .LBB2_3410
.LBB2_3529:                             ;   in Loop: Header=BB2_3360 Depth=3
	v_cmp_ne_u16_sdwa s23, v63, v2 src0_sel:BYTE_0 src1_sel:DWORD
	v_mov_b32_e32 v76, 0
	s_andn2_b32 s16, s16, exec_lo
	s_and_b32 s23, s23, exec_lo
	s_or_b32 s16, s16, s23
	s_or_b32 exec_lo, exec_lo, s22
	s_and_saveexec_b32 s22, s16
	s_cbranch_execnz .LBB2_3411
	s_branch .LBB2_3412
.LBB2_3530:                             ;   in Loop: Header=BB2_3360 Depth=3
	s_or_saveexec_b32 s22, s22
	v_mov_b32_e32 v76, 0x7f800001
	s_xor_b32 exec_lo, exec_lo, s22
	s_cbranch_execz .LBB2_3424
.LBB2_3531:                             ;   in Loop: Header=BB2_3360 Depth=3
	v_cmp_ne_u16_sdwa s23, v75, v2 src0_sel:BYTE_0 src1_sel:DWORD
	v_mov_b32_e32 v76, 0
	s_andn2_b32 s16, s16, exec_lo
	s_and_b32 s23, s23, exec_lo
	s_or_b32 s16, s16, s23
	s_or_b32 exec_lo, exec_lo, s22
	s_and_saveexec_b32 s22, s16
	s_cbranch_execnz .LBB2_3425
	s_branch .LBB2_3426
.LBB2_3532:                             ;   in Loop: Header=BB2_3360 Depth=3
	s_or_saveexec_b32 s22, s22
	v_mov_b32_e32 v75, 0x7f800001
	s_xor_b32 exec_lo, exec_lo, s22
	s_cbranch_execz .LBB2_3430
.LBB2_3533:                             ;   in Loop: Header=BB2_3360 Depth=3
	v_cmp_ne_u16_sdwa s23, v74, v2 src0_sel:BYTE_0 src1_sel:DWORD
	v_mov_b32_e32 v75, 0
	s_andn2_b32 s16, s16, exec_lo
	s_and_b32 s23, s23, exec_lo
	s_or_b32 s16, s16, s23
	s_or_b32 exec_lo, exec_lo, s22
	s_and_saveexec_b32 s22, s16
	s_cbranch_execnz .LBB2_3431
	s_branch .LBB2_3432
.LBB2_3534:                             ;   in Loop: Header=BB2_3360 Depth=3
	s_or_saveexec_b32 s22, s22
	v_mov_b32_e32 v75, 0x7f800001
	s_xor_b32 exec_lo, exec_lo, s22
	s_cbranch_execz .LBB2_3444
.LBB2_3535:                             ;   in Loop: Header=BB2_3360 Depth=3
	v_cmp_ne_u16_sdwa s23, v73, v2 src0_sel:BYTE_0 src1_sel:DWORD
	v_mov_b32_e32 v75, 0
	s_andn2_b32 s16, s16, exec_lo
	s_and_b32 s23, s23, exec_lo
	s_or_b32 s16, s16, s23
	s_or_b32 exec_lo, exec_lo, s22
	s_and_saveexec_b32 s22, s16
	s_cbranch_execnz .LBB2_3445
	s_branch .LBB2_3446
.LBB2_3536:                             ;   in Loop: Header=BB2_3360 Depth=3
	s_or_saveexec_b32 s22, s22
	v_mov_b32_e32 v73, 0x7f800001
	s_xor_b32 exec_lo, exec_lo, s22
	s_cbranch_execz .LBB2_3450
.LBB2_3537:                             ;   in Loop: Header=BB2_3360 Depth=3
	v_cmp_ne_u16_sdwa s23, v72, v2 src0_sel:BYTE_0 src1_sel:DWORD
	v_mov_b32_e32 v73, 0
	s_andn2_b32 s16, s16, exec_lo
	s_and_b32 s23, s23, exec_lo
	s_or_b32 s16, s16, s23
	s_or_b32 exec_lo, exec_lo, s22
	s_and_saveexec_b32 s22, s16
	s_cbranch_execnz .LBB2_3451
	s_branch .LBB2_3452
.LBB2_3538:                             ;   in Loop: Header=BB2_3360 Depth=3
	s_or_saveexec_b32 s22, s22
	v_mov_b32_e32 v73, 0x7f800001
	s_xor_b32 exec_lo, exec_lo, s22
	s_cbranch_execz .LBB2_3464
.LBB2_3539:                             ;   in Loop: Header=BB2_3360 Depth=3
	v_cmp_ne_u16_sdwa s23, v62, v2 src0_sel:BYTE_0 src1_sel:DWORD
	v_mov_b32_e32 v73, 0
	s_andn2_b32 s16, s16, exec_lo
	s_and_b32 s23, s23, exec_lo
	s_or_b32 s16, s16, s23
	s_or_b32 exec_lo, exec_lo, s22
	s_and_saveexec_b32 s22, s16
	s_cbranch_execnz .LBB2_3465
	s_branch .LBB2_3466
.LBB2_3540:                             ;   in Loop: Header=BB2_3360 Depth=3
	s_or_saveexec_b32 s22, s22
	v_mov_b32_e32 v62, 0x7f800001
	s_xor_b32 exec_lo, exec_lo, s22
	s_cbranch_execz .LBB2_3470
.LBB2_3541:                             ;   in Loop: Header=BB2_3360 Depth=3
	v_cmp_ne_u16_sdwa s23, v61, v2 src0_sel:BYTE_0 src1_sel:DWORD
	v_mov_b32_e32 v62, 0
	s_andn2_b32 s16, s16, exec_lo
	s_and_b32 s23, s23, exec_lo
	s_or_b32 s16, s16, s23
	s_or_b32 exec_lo, exec_lo, s22
	s_and_saveexec_b32 s22, s16
	s_cbranch_execnz .LBB2_3471
	s_branch .LBB2_3472
.LBB2_3542:                             ;   in Loop: Header=BB2_3360 Depth=3
	s_or_saveexec_b32 s22, s22
	v_mov_b32_e32 v62, 0x7f800001
	s_xor_b32 exec_lo, exec_lo, s22
	s_cbranch_execz .LBB2_3484
.LBB2_3543:                             ;   in Loop: Header=BB2_3360 Depth=3
	v_cmp_ne_u16_sdwa s23, v80, v2 src0_sel:BYTE_0 src1_sel:DWORD
	v_mov_b32_e32 v62, 0
	s_andn2_b32 s16, s16, exec_lo
	s_and_b32 s23, s23, exec_lo
	s_or_b32 s16, s16, s23
	s_or_b32 exec_lo, exec_lo, s22
	s_and_saveexec_b32 s22, s16
	s_cbranch_execnz .LBB2_3485
	s_branch .LBB2_3486
.LBB2_3544:                             ;   in Loop: Header=BB2_3360 Depth=3
	s_or_saveexec_b32 s22, s22
	v_mov_b32_e32 v80, 0x7f800001
	s_xor_b32 exec_lo, exec_lo, s22
	s_cbranch_execz .LBB2_3490
.LBB2_3545:                             ;   in Loop: Header=BB2_3360 Depth=3
	v_cmp_ne_u16_sdwa s23, v67, v2 src0_sel:BYTE_0 src1_sel:DWORD
	v_mov_b32_e32 v80, 0
	s_andn2_b32 s16, s16, exec_lo
	s_and_b32 s23, s23, exec_lo
	s_or_b32 s16, s16, s23
	s_or_b32 exec_lo, exec_lo, s22
	s_and_saveexec_b32 s22, s16
	s_cbranch_execnz .LBB2_3491
	s_branch .LBB2_3492
.LBB2_3546:                             ;   in Loop: Header=BB2_3360 Depth=3
	s_or_saveexec_b32 s22, s22
	v_mov_b32_e32 v80, 0x7f800001
	s_xor_b32 exec_lo, exec_lo, s22
	s_cbranch_execz .LBB2_3504
.LBB2_3547:                             ;   in Loop: Header=BB2_3360 Depth=3
	v_cmp_ne_u16_sdwa s23, v65, v2 src0_sel:BYTE_0 src1_sel:DWORD
	v_mov_b32_e32 v80, 0
	s_andn2_b32 s16, s16, exec_lo
	s_and_b32 s23, s23, exec_lo
	s_or_b32 s16, s16, s23
	s_or_b32 exec_lo, exec_lo, s22
	s_and_saveexec_b32 s22, s16
	s_cbranch_execnz .LBB2_3505
	s_branch .LBB2_3506
.LBB2_3548:                             ;   in Loop: Header=BB2_3360 Depth=3
	s_or_saveexec_b32 s22, s22
	v_mov_b32_e32 v65, 0x7f800001
	s_xor_b32 exec_lo, exec_lo, s22
	s_cbranch_execz .LBB2_3510
.LBB2_3549:                             ;   in Loop: Header=BB2_3360 Depth=3
	v_cmp_ne_u16_sdwa s23, v64, v2 src0_sel:BYTE_0 src1_sel:DWORD
	v_mov_b32_e32 v65, 0
	s_andn2_b32 s16, s16, exec_lo
	s_and_b32 s23, s23, exec_lo
	s_or_b32 s16, s16, s23
	s_or_b32 exec_lo, exec_lo, s22
	s_and_saveexec_b32 s22, s16
	s_cbranch_execnz .LBB2_3511
	s_branch .LBB2_3512
.LBB2_3550:                             ;   in Loop: Header=BB2_1479 Depth=2
	s_or_b32 exec_lo, exec_lo, s19
.LBB2_3551:                             ;   in Loop: Header=BB2_1479 Depth=2
	s_or_b32 exec_lo, exec_lo, s18
	v_lshlrev_b32_e32 v8, 8, v71
	v_cmp_ne_u32_e32 vcc_lo, v15, v8
	s_and_b32 exec_lo, exec_lo, vcc_lo
	s_cbranch_execz .LBB2_3579
; %bb.3552:                             ;   in Loop: Header=BB2_1479 Depth=2
	v_add_nc_u32_e32 v9, v68, v70
	v_lshlrev_b32_e32 v10, 5, v69
	v_and_b32_e32 v9, 0xffffffe0, v9
	v_sub_nc_u32_e32 v9, v68, v9
	v_sub_nc_u32_e32 v9, v9, v10
	v_add_nc_u32_e32 v8, v8, v9
	v_sub_nc_u32_e32 v15, v15, v8
	v_cmp_lt_i32_e32 vcc_lo, 0, v15
	s_and_b32 exec_lo, exec_lo, vcc_lo
	s_cbranch_execz .LBB2_3579
; %bb.3553:                             ;   in Loop: Header=BB2_1479 Depth=2
	s_trap 2
	ds_read_b128 v[9:12], v0
	ds_read_b64 v[64:65], v0
	v_add_nc_u32_e32 v13, v8, v14
	s_mov_b32 s18, 0
	v_ashrrev_i32_e32 v14, 31, v13
	s_waitcnt lgkmcnt(1)
	v_add_co_u32 v8, vcc_lo, v9, v13
	v_add_co_ci_u32_e64 v9, null, v10, v14, vcc_lo
	v_add_co_u32 v10, vcc_lo, v11, v13
	v_add_co_ci_u32_e64 v11, null, v12, v14, vcc_lo
	s_waitcnt lgkmcnt(0)
	v_add_co_u32 v12, vcc_lo, v64, v13
	v_add_co_ci_u32_e64 v13, null, v65, v14, vcc_lo
	s_branch .LBB2_3557
.LBB2_3554:                             ;   in Loop: Header=BB2_3557 Depth=3
	s_or_b32 exec_lo, exec_lo, s16
	v_lshrrev_b32_e32 v65, 21, v65
	v_cmp_gt_i32_e32 vcc_lo, 32, v64
	v_min_i32_e32 v66, 31, v64
	v_and_b32_sdwa v14, v14, v101 dst_sel:DWORD dst_unused:UNUSED_PAD src0_sel:BYTE_3 src1_sel:DWORD
	v_cndmask_b32_e32 v65, 3, v65, vcc_lo
	v_lshlrev_b32_e32 v66, 2, v66
	v_and_b32_e32 v67, 3, v65
	v_or_b32_e32 v64, v64, v65
	v_or3_b32 v14, v66, v14, v67
	v_cmp_ne_u32_e32 vcc_lo, 0, v64
	v_cndmask_b32_e32 v64, 0, v14, vcc_lo
.LBB2_3555:                             ;   in Loop: Header=BB2_3557 Depth=3
	s_or_b32 exec_lo, exec_lo, s22
.LBB2_3556:                             ;   in Loop: Header=BB2_3557 Depth=3
	s_or_b32 exec_lo, exec_lo, s19
	v_sub_nc_u32_e32 v15, v15, v96
	v_add_co_u32 v8, vcc_lo, v8, v96
	v_add_co_ci_u32_e64 v9, null, 0, v9, vcc_lo
	v_add_co_u32 v10, vcc_lo, v10, v96
	flat_store_byte v[12:13], v64 glc slc
	v_add_co_ci_u32_e64 v11, null, 0, v11, vcc_lo
	v_cmp_gt_i32_e32 vcc_lo, 1, v15
	v_add_co_u32 v12, s16, v12, v96
	v_add_co_ci_u32_e64 v13, null, 0, v13, s16
	s_or_b32 s18, vcc_lo, s18
	s_andn2_b32 exec_lo, exec_lo, s18
	s_cbranch_execz .LBB2_3579
.LBB2_3557:                             ;   Parent Loop BB2_47 Depth=1
                                        ;     Parent Loop BB2_1479 Depth=2
                                        ; =>    This Inner Loop Header: Depth=3
	flat_load_ubyte v65, v[8:9] slc
	flat_load_ubyte v14, v[10:11] slc
	s_mov_b32 s16, 0
	s_mov_b32 s19, exec_lo
	s_waitcnt vmcnt(1) lgkmcnt(1)
	v_cmpx_lt_i16_e32 0x7f, v65
	s_xor_b32 s19, exec_lo, s19
	s_cbranch_execz .LBB2_3575
; %bb.3558:                             ;   in Loop: Header=BB2_3557 Depth=3
	s_mov_b32 s16, -1
	s_mov_b32 s22, exec_lo
	v_cmpx_eq_u16_e32 0x80, v65
; %bb.3559:                             ;   in Loop: Header=BB2_3557 Depth=3
	s_xor_b32 s16, exec_lo, -1
; %bb.3560:                             ;   in Loop: Header=BB2_3557 Depth=3
	s_or_b32 exec_lo, exec_lo, s22
	s_and_b32 s16, s16, exec_lo
	s_or_saveexec_b32 s19, s19
	v_mov_b32_e32 v64, 0x7f800001
	s_xor_b32 exec_lo, exec_lo, s19
	s_cbranch_execnz .LBB2_3576
.LBB2_3561:                             ;   in Loop: Header=BB2_3557 Depth=3
	s_or_b32 exec_lo, exec_lo, s19
	s_and_saveexec_b32 s19, s16
	s_cbranch_execz .LBB2_3563
.LBB2_3562:                             ;   in Loop: Header=BB2_3557 Depth=3
	v_and_b32_e32 v64, 0xffff, v65
	v_lshlrev_b32_e32 v65, 24, v65
	v_and_b32_e32 v66, 3, v64
	v_bfe_u32 v69, v64, 2, 5
	v_and_b32_e32 v65, 0x80000000, v65
	v_ffbh_u32_e32 v67, v66
	v_cmp_eq_u32_e32 vcc_lo, 0, v69
	v_min_u32_e32 v67, 32, v67
	v_subrev_nc_u32_e32 v68, 29, v67
	v_sub_nc_u32_e32 v67, 30, v67
	v_lshlrev_b32_e32 v64, v68, v64
	v_cndmask_b32_e32 v67, v69, v67, vcc_lo
	v_and_b32_e32 v64, 3, v64
	v_cndmask_b32_e32 v64, v66, v64, vcc_lo
	v_lshl_add_u32 v66, v67, 23, 0x37800000
	v_lshlrev_b32_e32 v64, 21, v64
	v_or3_b32 v64, v65, v66, v64
.LBB2_3563:                             ;   in Loop: Header=BB2_3557 Depth=3
	s_or_b32 exec_lo, exec_lo, s19
	s_waitcnt vmcnt(0) lgkmcnt(0)
	v_cmp_gt_i16_sdwa s19, v14, v100 src0_sel:BYTE_0 src1_sel:DWORD
	s_mov_b32 s16, 0
	s_and_saveexec_b32 s22, s19
	s_xor_b32 s19, exec_lo, s22
	s_cbranch_execz .LBB2_3577
; %bb.3564:                             ;   in Loop: Header=BB2_3557 Depth=3
	v_cmp_eq_u16_sdwa s23, v14, v101 src0_sel:BYTE_0 src1_sel:DWORD
	s_mov_b32 s16, -1
	s_and_saveexec_b32 s22, s23
; %bb.3565:                             ;   in Loop: Header=BB2_3557 Depth=3
	s_xor_b32 s16, exec_lo, -1
; %bb.3566:                             ;   in Loop: Header=BB2_3557 Depth=3
	s_or_b32 exec_lo, exec_lo, s22
	s_and_b32 s16, s16, exec_lo
	s_or_saveexec_b32 s19, s19
	v_mov_b32_e32 v65, 0x7f800001
	s_xor_b32 exec_lo, exec_lo, s19
	s_cbranch_execnz .LBB2_3578
.LBB2_3567:                             ;   in Loop: Header=BB2_3557 Depth=3
	s_or_b32 exec_lo, exec_lo, s19
	s_and_saveexec_b32 s19, s16
	s_cbranch_execz .LBB2_3569
.LBB2_3568:                             ;   in Loop: Header=BB2_3557 Depth=3
	v_and_b32_e32 v65, 3, v14
	v_lshrrev_b16 v67, 2, v14
	v_ffbh_u32_e32 v66, v65
	v_and_b32_e32 v67, 31, v67
	v_min_u32_e32 v66, 32, v66
	v_cmp_eq_u32_e32 vcc_lo, 0, v67
	v_subrev_nc_u32_e32 v68, 29, v66
	v_sub_nc_u32_e32 v66, 30, v66
	v_lshlrev_b32_e32 v68, v68, v14
	v_lshlrev_b32_e32 v14, 24, v14
	v_cndmask_b32_e32 v66, v67, v66, vcc_lo
	v_and_b32_e32 v68, 3, v68
	v_and_b32_e32 v14, 0x80000000, v14
	v_lshl_add_u32 v66, v66, 23, 0x37800000
	v_cndmask_b32_e32 v65, v65, v68, vcc_lo
	v_lshlrev_b32_e32 v65, 21, v65
	v_or3_b32 v65, v14, v66, v65
.LBB2_3569:                             ;   in Loop: Header=BB2_3557 Depth=3
	s_or_b32 exec_lo, exec_lo, s19
	v_mul_f32_e32 v14, v64, v65
	v_and_b32_e32 v64, 0x7f800000, v14
	v_cmp_ne_u32_e32 vcc_lo, 0x7f800000, v64
	v_mov_b32_e32 v64, 0x80
	s_and_saveexec_b32 s19, vcc_lo
	s_cbranch_execz .LBB2_3556
; %bb.3570:                             ;   in Loop: Header=BB2_3557 Depth=3
	v_mov_b32_e32 v64, 0
	s_mov_b32 s22, exec_lo
	v_cmpx_ne_u32_e32 0, v14
	s_cbranch_execz .LBB2_3555
; %bb.3571:                             ;   in Loop: Header=BB2_3557 Depth=3
	v_bfe_u32 v64, v14, 23, 8
	v_and_b32_e32 v65, 0x7fffff, v14
	v_sub_nc_u32_e32 v66, 0x70, v64
	v_cmp_gt_u32_e32 vcc_lo, 0x71, v64
	v_or_b32_e32 v67, 0x800000, v65
	v_cndmask_b32_e32 v66, 0, v66, vcc_lo
	v_cmp_eq_u32_e32 vcc_lo, 0, v64
	v_add_nc_u32_e32 v64, 0xffffff91, v64
	v_cndmask_b32_e64 v66, v66, 0x6f, vcc_lo
	v_cndmask_b32_e32 v65, v67, v65, vcc_lo
	v_cndmask_b32_e64 v64, v64, 0xffffff92, vcc_lo
	v_lshl_add_u32 v67, 0x200000, v66, -1
	v_lshrrev_b32_e32 v68, v66, v65
	v_lshlrev_b32_e64 v70, v66, 0x100000
	v_add_nc_u32_e32 v66, v66, v64
	v_and_b32_e32 v65, v67, v65
	v_bfe_u32 v69, v68, 21, 1
	v_cmp_eq_u32_e64 s16, v65, v70
	v_add_nc_u32_e32 v67, -1, v69
	v_cndmask_b32_e64 v65, 0, v67, s16
	v_lshrrev_b32_e32 v67, 23, v68
	s_mov_b32 s16, exec_lo
	v_add_nc_u32_e32 v65, v65, v68
	v_xor_b32_e32 v67, 1, v67
	v_and_b32_e32 v64, 0x1fffff, v65
	v_add_nc_u32_e32 v65, v64, v68
                                        ; implicit-def: $vgpr64
	v_cmpx_ne_u32_e64 v66, v67
	s_xor_b32 s16, exec_lo, s16
; %bb.3572:                             ;   in Loop: Header=BB2_3557 Depth=3
	v_cmp_lt_u32_e32 vcc_lo, 0xffffff, v65
	v_sub_nc_u32_e32 v64, v66, v67
	v_cndmask_b32_e64 v66, 0, 1, vcc_lo
	v_add_co_ci_u32_e64 v64, null, 0, v64, vcc_lo
	v_lshrrev_b32_e32 v65, v66, v65
; %bb.3573:                             ;   in Loop: Header=BB2_3557 Depth=3
	s_andn2_saveexec_b32 s16, s16
	s_cbranch_execz .LBB2_3554
; %bb.3574:                             ;   in Loop: Header=BB2_3557 Depth=3
	v_bfe_u32 v64, v65, 23, 1
	s_branch .LBB2_3554
.LBB2_3575:                             ;   in Loop: Header=BB2_3557 Depth=3
	s_or_saveexec_b32 s19, s19
	v_mov_b32_e32 v64, 0x7f800001
	s_xor_b32 exec_lo, exec_lo, s19
	s_cbranch_execz .LBB2_3561
.LBB2_3576:                             ;   in Loop: Header=BB2_3557 Depth=3
	v_cmp_ne_u16_e32 vcc_lo, 0, v65
	v_mov_b32_e32 v64, 0
	s_andn2_b32 s16, s16, exec_lo
	s_and_b32 s22, vcc_lo, exec_lo
	s_or_b32 s16, s16, s22
	s_or_b32 exec_lo, exec_lo, s19
	s_and_saveexec_b32 s19, s16
	s_cbranch_execnz .LBB2_3562
	s_branch .LBB2_3563
.LBB2_3577:                             ;   in Loop: Header=BB2_3557 Depth=3
	s_or_saveexec_b32 s19, s19
	v_mov_b32_e32 v65, 0x7f800001
	s_xor_b32 exec_lo, exec_lo, s19
	s_cbranch_execz .LBB2_3567
.LBB2_3578:                             ;   in Loop: Header=BB2_3557 Depth=3
	v_cmp_ne_u16_sdwa s22, v14, v2 src0_sel:BYTE_0 src1_sel:DWORD
	v_mov_b32_e32 v65, 0
	s_andn2_b32 s16, s16, exec_lo
	s_and_b32 s22, s22, exec_lo
	s_or_b32 s16, s16, s22
	s_or_b32 exec_lo, exec_lo, s19
	s_and_saveexec_b32 s19, s16
	s_cbranch_execnz .LBB2_3568
	s_branch .LBB2_3569
.LBB2_3579:                             ;   in Loop: Header=BB2_1479 Depth=2
	s_or_b32 exec_lo, exec_lo, s17
.LBB2_3580:                             ;   in Loop: Header=BB2_1479 Depth=2
	v_cmp_lt_i32_e64 s16, 0, v55
	s_and_saveexec_b32 s17, s6
	s_cbranch_execz .LBB2_3599
.LBB2_3581:                             ;   in Loop: Header=BB2_1479 Depth=2
	s_and_saveexec_b32 s18, s29
	s_xor_b32 s18, exec_lo, s18
	s_cbranch_execz .LBB2_3596
; %bb.3582:                             ;   in Loop: Header=BB2_1479 Depth=2
	s_and_saveexec_b32 s19, s11
	s_cbranch_execz .LBB2_3595
; %bb.3583:                             ;   in Loop: Header=BB2_1479 Depth=2
	s_mov_b32 s23, exec_lo
	s_mov_b32 s22, exec_lo
	v_mbcnt_lo_u32_b32 v8, s23, 0
	s_waitcnt vmcnt(0) lgkmcnt(0)
	s_waitcnt_vscnt null, 0x0
	buffer_gl1_inv
	buffer_gl0_inv
	v_cmpx_eq_u32_e32 0, v8
	s_cbranch_execz .LBB2_3585
; %bb.3584:                             ;   in Loop: Header=BB2_1479 Depth=2
	s_bcnt1_i32_b32 s23, s23
	v_mov_b32_e32 v9, v2
	v_mov_b32_e32 v8, s23
	ds_add_u64 v0, v[8:9]
	s_trap 2
.LBB2_3585:                             ;   in Loop: Header=BB2_1479 Depth=2
	s_or_b32 exec_lo, exec_lo, s22
	s_trap 2
	ds_read_b64 v[8:9], v0
	s_waitcnt lgkmcnt(0)
	buffer_gl0_inv
	v_add_co_u32 v28, vcc_lo, v28, v87
	v_add_co_ci_u32_e64 v29, null, 0, v29, vcc_lo
	s_mov_b32 s22, exec_lo
	v_cmpx_lt_u64_e64 v[8:9], v[28:29]
	s_cbranch_execz .LBB2_3594
; %bb.3586:                             ;   in Loop: Header=BB2_1479 Depth=2
	s_mov_b32 s23, 0
	s_mov_b32 s74, 0
                                        ; implicit-def: $sgpr72
                                        ; implicit-def: $sgpr73
	s_inst_prefetch 0x1
	s_branch .LBB2_3588
	.p2align	6
.LBB2_3587:                             ;   in Loop: Header=BB2_3588 Depth=3
	s_or_b32 exec_lo, exec_lo, s76
	s_and_b32 s75, exec_lo, s77
	s_or_b32 s23, s75, s23
	s_andn2_b32 s72, s72, exec_lo
	s_and_b32 s75, s73, exec_lo
	s_or_b32 s72, s72, s75
	s_andn2_b32 exec_lo, exec_lo, s23
	s_cbranch_execz .LBB2_3592
.LBB2_3588:                             ;   Parent Loop BB2_47 Depth=1
                                        ;     Parent Loop BB2_1479 Depth=2
                                        ; =>    This Inner Loop Header: Depth=3
	s_add_i32 s74, s74, 1
	s_cmpk_lg_i32 s74, 0x2710
	s_cselect_b32 s75, -1, 0
	s_and_b32 vcc_lo, exec_lo, s75
	s_cbranch_vccz .LBB2_3590
; %bb.3589:                             ;   in Loop: Header=BB2_3588 Depth=3
	s_mov_b32 s77, -1
	s_or_b32 s73, s73, exec_lo
	s_and_saveexec_b32 s76, s75
	s_cbranch_execz .LBB2_3587
	s_branch .LBB2_3591
	.p2align	6
.LBB2_3590:                             ;   in Loop: Header=BB2_3588 Depth=3
	s_trap 2
	ds_read_b64 v[8:9], v0
	s_andn2_b32 s75, s75, exec_lo
	s_mov_b32 s74, 0
	s_waitcnt lgkmcnt(0)
	flat_load_dword v8, v[8:9] glc dlc
	s_waitcnt vmcnt(0) lgkmcnt(0)
	buffer_gl1_inv
	buffer_gl0_inv
	v_cmp_eq_u32_e32 vcc_lo, 0, v8
	s_and_b32 s76, vcc_lo, exec_lo
	s_or_b32 s75, s75, s76
	s_mov_b32 s77, -1
	s_or_b32 s73, s73, exec_lo
	s_and_saveexec_b32 s76, s75
	s_cbranch_execz .LBB2_3587
.LBB2_3591:                             ;   in Loop: Header=BB2_3588 Depth=3
	s_sleep 1
	s_trap 2
	ds_read_b64 v[8:9], v0
	s_waitcnt lgkmcnt(0)
	buffer_gl0_inv
	s_andn2_b32 s73, s73, exec_lo
	v_cmp_ge_u64_e32 vcc_lo, v[8:9], v[28:29]
	s_orn2_b32 s77, vcc_lo, exec_lo
	s_branch .LBB2_3587
.LBB2_3592:                             ;   in Loop: Header=BB2_1479 Depth=2
	s_inst_prefetch 0x2
	s_or_b32 exec_lo, exec_lo, s23
	s_and_saveexec_b32 s23, s72
	s_xor_b32 s23, exec_lo, s23
	s_cbranch_execz .LBB2_3594
; %bb.3593:                             ;   in Loop: Header=BB2_1479 Depth=2
	ds_write_b32 v0, v98
	s_trap 2
.LBB2_3594:                             ;   in Loop: Header=BB2_1479 Depth=2
	s_or_b32 exec_lo, exec_lo, s22
	;;#ASMSTART
	s_wakeup
	;;#ASMEND
.LBB2_3595:                             ;   in Loop: Header=BB2_1479 Depth=2
	s_or_b32 exec_lo, exec_lo, s19
.LBB2_3596:                             ;   in Loop: Header=BB2_1479 Depth=2
	s_andn2_saveexec_b32 s18, s18
	s_cbranch_execz .LBB2_3598
; %bb.3597:                             ;   in Loop: Header=BB2_1479 Depth=2
	s_waitcnt vmcnt(0) lgkmcnt(0)
	s_waitcnt_vscnt null, 0x0
	buffer_gl1_inv
	buffer_gl0_inv
	s_barrier
.LBB2_3598:                             ;   in Loop: Header=BB2_1479 Depth=2
	s_or_b32 exec_lo, exec_lo, s18
.LBB2_3599:                             ;   in Loop: Header=BB2_1479 Depth=2
	s_or_b32 exec_lo, exec_lo, s17
	v_and_b32_e32 v8, 16, v84
	s_and_saveexec_b32 s17, s12
	s_xor_b32 s17, exec_lo, s17
	s_cbranch_execz .LBB2_3603
; %bb.3600:                             ;   in Loop: Header=BB2_1479 Depth=2
	v_and_b32_e32 v8, 16, v84
	v_cmp_ne_u32_e32 vcc_lo, 0, v8
	v_and_b32_e32 v8, 16, v84
	s_and_b32 s18, vcc_lo, s16
	s_and_saveexec_b32 s16, s18
	s_cbranch_execz .LBB2_3602
; %bb.3601:                             ;   in Loop: Header=BB2_1479 Depth=2
	v_mov_b32_e32 v8, 1
	s_waitcnt vmcnt(0) lgkmcnt(0)
	s_waitcnt_vscnt null, 0x0
	buffer_gl1_inv
	buffer_gl0_inv
.LBB2_3602:                             ;   in Loop: Header=BB2_1479 Depth=2
	s_or_b32 exec_lo, exec_lo, s16
.LBB2_3603:                             ;   in Loop: Header=BB2_1479 Depth=2
	s_andn2_saveexec_b32 s16, s17
	s_cbranch_execz .LBB2_3622
; %bb.3604:                             ;   in Loop: Header=BB2_1479 Depth=2
	s_and_saveexec_b32 s17, s29
	s_xor_b32 s17, exec_lo, s17
	s_cbranch_execz .LBB2_3619
; %bb.3605:                             ;   in Loop: Header=BB2_1479 Depth=2
	s_and_saveexec_b32 s18, s11
	s_cbranch_execz .LBB2_3618
; %bb.3606:                             ;   in Loop: Header=BB2_1479 Depth=2
	s_mov_b32 s22, exec_lo
	s_mov_b32 s19, exec_lo
	v_mbcnt_lo_u32_b32 v9, s22, 0
	;;#ASMSTART
	s_waitcnt lgkmcnt(0) vmcnt(0)
	;;#ASMEND
	v_cmpx_eq_u32_e32 0, v9
	s_cbranch_execz .LBB2_3608
; %bb.3607:                             ;   in Loop: Header=BB2_1479 Depth=2
	s_bcnt1_i32_b32 s22, s22
	v_mov_b32_e32 v10, v2
	v_mov_b32_e32 v9, s22
	s_waitcnt vmcnt(0) lgkmcnt(0)
	s_waitcnt_vscnt null, 0x0
	ds_add_u64 v0, v[9:10]
	s_trap 2
.LBB2_3608:                             ;   in Loop: Header=BB2_1479 Depth=2
	s_or_b32 exec_lo, exec_lo, s19
	s_trap 2
	ds_read_b64 v[9:10], v0
	s_waitcnt vmcnt(0) lgkmcnt(0)
	buffer_gl0_inv
	v_add_co_u32 v28, vcc_lo, v28, v87
	v_add_co_ci_u32_e64 v29, null, 0, v29, vcc_lo
	s_mov_b32 s19, exec_lo
	v_cmpx_lt_u64_e64 v[9:10], v[28:29]
	s_cbranch_execz .LBB2_3617
; %bb.3609:                             ;   in Loop: Header=BB2_1479 Depth=2
	s_mov_b32 s22, 0
	s_mov_b32 s73, 0
                                        ; implicit-def: $sgpr23
                                        ; implicit-def: $sgpr72
	s_inst_prefetch 0x1
	s_branch .LBB2_3611
	.p2align	6
.LBB2_3610:                             ;   in Loop: Header=BB2_3611 Depth=3
	s_or_b32 exec_lo, exec_lo, s75
	s_and_b32 s74, exec_lo, s76
	s_or_b32 s22, s74, s22
	s_andn2_b32 s23, s23, exec_lo
	s_and_b32 s74, s72, exec_lo
	s_or_b32 s23, s23, s74
	s_andn2_b32 exec_lo, exec_lo, s22
	s_cbranch_execz .LBB2_3615
.LBB2_3611:                             ;   Parent Loop BB2_47 Depth=1
                                        ;     Parent Loop BB2_1479 Depth=2
                                        ; =>    This Inner Loop Header: Depth=3
	s_add_i32 s73, s73, 1
	s_cmpk_lg_i32 s73, 0x2710
	s_cselect_b32 s74, -1, 0
	s_and_b32 vcc_lo, exec_lo, s74
	s_cbranch_vccz .LBB2_3613
; %bb.3612:                             ;   in Loop: Header=BB2_3611 Depth=3
	s_mov_b32 s76, -1
	s_or_b32 s72, s72, exec_lo
	s_and_saveexec_b32 s75, s74
	s_cbranch_execz .LBB2_3610
	s_branch .LBB2_3614
	.p2align	6
.LBB2_3613:                             ;   in Loop: Header=BB2_3611 Depth=3
	s_trap 2
	ds_read_b64 v[9:10], v0
	s_andn2_b32 s74, s74, exec_lo
	s_mov_b32 s73, 0
	s_waitcnt lgkmcnt(0)
	s_waitcnt_vscnt null, 0x0
	flat_load_dword v9, v[9:10] glc dlc
	s_waitcnt vmcnt(0) lgkmcnt(0)
	buffer_gl1_inv
	buffer_gl0_inv
	v_cmp_eq_u32_e32 vcc_lo, 0, v9
	s_and_b32 s75, vcc_lo, exec_lo
	s_or_b32 s74, s74, s75
	s_mov_b32 s76, -1
	s_or_b32 s72, s72, exec_lo
	s_and_saveexec_b32 s75, s74
	s_cbranch_execz .LBB2_3610
.LBB2_3614:                             ;   in Loop: Header=BB2_3611 Depth=3
	s_sleep 1
	s_trap 2
	ds_read_b64 v[9:10], v0
	s_waitcnt lgkmcnt(0)
	buffer_gl0_inv
	s_andn2_b32 s72, s72, exec_lo
	v_cmp_ge_u64_e32 vcc_lo, v[9:10], v[28:29]
	s_orn2_b32 s76, vcc_lo, exec_lo
	s_branch .LBB2_3610
.LBB2_3615:                             ;   in Loop: Header=BB2_1479 Depth=2
	s_inst_prefetch 0x2
	s_or_b32 exec_lo, exec_lo, s22
	s_and_saveexec_b32 s22, s23
	s_xor_b32 s22, exec_lo, s22
	s_cbranch_execz .LBB2_3617
; %bb.3616:                             ;   in Loop: Header=BB2_1479 Depth=2
	ds_write_b32 v0, v98
	s_trap 2
.LBB2_3617:                             ;   in Loop: Header=BB2_1479 Depth=2
	s_or_b32 exec_lo, exec_lo, s19
	;;#ASMSTART
	s_wakeup
	;;#ASMEND
.LBB2_3618:                             ;   in Loop: Header=BB2_1479 Depth=2
	s_or_b32 exec_lo, exec_lo, s18
.LBB2_3619:                             ;   in Loop: Header=BB2_1479 Depth=2
	s_andn2_saveexec_b32 s17, s17
	s_cbranch_execz .LBB2_3621
; %bb.3620:                             ;   in Loop: Header=BB2_1479 Depth=2
	;;#ASMSTART
	s_waitcnt lgkmcnt(0) vmcnt(0)
	;;#ASMEND
	s_barrier
.LBB2_3621:                             ;   in Loop: Header=BB2_1479 Depth=2
	s_or_b32 exec_lo, exec_lo, s17
.LBB2_3622:                             ;   in Loop: Header=BB2_1479 Depth=2
	s_or_b32 exec_lo, exec_lo, s16
	v_cmp_ne_u32_e32 vcc_lo, 0, v8
	s_xor_b32 s16, s7, -1
	s_and_b32 s17, vcc_lo, s16
	s_and_saveexec_b32 s16, s17
	s_cbranch_execz .LBB2_3624
; %bb.3623:                             ;   in Loop: Header=BB2_1479 Depth=2
	s_waitcnt vmcnt(0) lgkmcnt(0)
	s_waitcnt_vscnt null, 0x0
	flat_store_dword v[26:27], v98
.LBB2_3624:                             ;   in Loop: Header=BB2_1479 Depth=2
	s_or_b32 exec_lo, exec_lo, s16
	v_and_b32_e32 v8, 48, v84
	s_mov_b32 s16, exec_lo
	v_cmpx_ne_u32_e32 0, v8
	s_cbranch_execz .LBB2_1478
; %bb.3625:                             ;   in Loop: Header=BB2_1479 Depth=2
	v_add_co_u32 v50, vcc_lo, v50, 2
	v_add_co_ci_u32_e64 v51, null, 0, v51, vcc_lo
	s_waitcnt vmcnt(0) lgkmcnt(0)
	s_waitcnt_vscnt null, 0x0
	flat_store_dwordx2 v[22:23], v[50:51]
	s_branch .LBB2_1478
.LBB2_3626:                             ;   in Loop: Header=BB2_47 Depth=1
	s_or_b32 exec_lo, exec_lo, s61
.LBB2_3627:                             ;   in Loop: Header=BB2_47 Depth=1
	s_or_b32 exec_lo, exec_lo, s21
	s_mov_b32 s17, exec_lo
	v_cmpx_gt_i32_e32 2, v10
	s_cbranch_execz .LBB2_3703
; %bb.3628:                             ;   in Loop: Header=BB2_47 Depth=1
	v_cmp_eq_u32_e64 s19, 0, v10
	s_mov_b32 s18, 0
	s_branch .LBB2_3630
.LBB2_3629:                             ;   in Loop: Header=BB2_3630 Depth=2
	s_or_b32 exec_lo, exec_lo, s16
	v_add_nc_u32_e32 v82, v54, v82
	s_mov_b32 s19, 0
	s_andn2_b32 exec_lo, exec_lo, s18
	s_cbranch_execz .LBB2_3702
.LBB2_3630:                             ;   Parent Loop BB2_47 Depth=1
                                        ; =>  This Loop Header: Depth=2
                                        ;       Child Loop BB2_3636 Depth 3
                                        ;       Child Loop BB2_3664 Depth 3
                                        ;       Child Loop BB2_3687 Depth 3
	v_sub_nc_u32_e32 v8, v3, v82
	v_and_b32_e32 v9, 12, v84
	s_mov_b32 s21, exec_lo
	v_min_i32_e32 v54, v54, v8
	v_cmpx_ne_u32_e32 0, v9
	s_cbranch_execz .LBB2_3656
; %bb.3631:                             ;   in Loop: Header=BB2_3630 Depth=2
	v_and_b32_e32 v64, 8, v84
	s_mov_b32 s22, exec_lo
	s_waitcnt vmcnt(0) lgkmcnt(1)
	v_add_co_u32 v10, vcc_lo, v32, v64
	v_add_co_ci_u32_e64 v11, null, 0, v33, vcc_lo
	v_add_co_u32 v8, vcc_lo, v50, 2
	v_add_co_ci_u32_e64 v9, null, 0, v51, vcc_lo
	v_cmpx_lt_u64_e64 v[10:11], v[8:9]
	s_cbranch_execz .LBB2_3643
; %bb.3632:                             ;   in Loop: Header=BB2_3630 Depth=2
	v_and_b32_e32 v10, 64, v84
	s_mov_b32 s23, 0
	s_mov_b32 s72, 0
                                        ; implicit-def: $sgpr61
                                        ; implicit-def: $sgpr62
                                        ; implicit-def: $sgpr63
	v_cmp_eq_u32_e32 vcc_lo, 0, v10
	s_branch .LBB2_3636
.LBB2_3633:                             ;   in Loop: Header=BB2_3636 Depth=3
	s_waitcnt vmcnt(0) lgkmcnt(0)
	v_add_co_u32 v11, s16, v32, v64
	v_add_co_ci_u32_e64 v12, null, 0, v33, s16
	s_or_b32 s75, s75, exec_lo
	v_cmp_ge_u64_e64 s16, v[11:12], v[8:9]
	s_orn2_b32 s74, s16, exec_lo
.LBB2_3634:                             ;   in Loop: Header=BB2_3636 Depth=3
	s_or_b32 exec_lo, exec_lo, s77
	s_andn2_b32 s16, s63, exec_lo
	s_and_b32 s63, s75, exec_lo
	s_andn2_b32 s62, s62, exec_lo
	s_and_b32 s74, s74, exec_lo
	s_or_b32 s63, s16, s63
	s_or_b32 s62, s62, s74
.LBB2_3635:                             ;   in Loop: Header=BB2_3636 Depth=3
	s_or_b32 exec_lo, exec_lo, s73
	s_and_b32 s16, exec_lo, s62
	s_or_b32 s23, s16, s23
	s_andn2_b32 s16, s61, exec_lo
	s_and_b32 s61, s63, exec_lo
	s_or_b32 s61, s16, s61
	s_andn2_b32 exec_lo, exec_lo, s23
	s_cbranch_execz .LBB2_3640
.LBB2_3636:                             ;   Parent Loop BB2_47 Depth=1
                                        ;     Parent Loop BB2_3630 Depth=2
                                        ; =>    This Inner Loop Header: Depth=3
	s_sleep 1
	s_waitcnt vmcnt(0) lgkmcnt(0)
	flat_load_dwordx2 v[32:33], v[22:23] glc dlc
	s_or_b32 s63, s63, exec_lo
	s_or_b32 s62, s62, exec_lo
                                        ; implicit-def: $vgpr10
	s_and_saveexec_b32 s73, vcc_lo
	s_cbranch_execz .LBB2_3635
; %bb.3637:                             ;   in Loop: Header=BB2_3636 Depth=3
	s_cmpk_lt_i32 s72, 0x270f
	s_mov_b32 s74, -1
	s_cselect_b32 s76, -1, 0
	s_cmpk_gt_i32 s72, 0x270e
	s_cbranch_scc0 .LBB2_3639
; %bb.3638:                             ;   in Loop: Header=BB2_3636 Depth=3
	s_trap 2
	ds_read_b64 v[10:11], v0
	s_andn2_b32 s72, s76, exec_lo
	s_mov_b32 s75, 0
	s_waitcnt vmcnt(0) lgkmcnt(0)
	s_waitcnt_vscnt null, 0x0
	flat_load_dword v10, v[10:11] glc dlc
	s_waitcnt vmcnt(0) lgkmcnt(0)
	buffer_gl1_inv
	buffer_gl0_inv
	v_cmp_eq_u32_e64 s16, 0, v10
	s_and_b32 s16, s16, exec_lo
	s_or_b32 s76, s72, s16
	s_mov_b32 s72, 0
	s_and_saveexec_b32 s77, s76
	s_cbranch_execz .LBB2_3634
	s_branch .LBB2_3633
.LBB2_3639:                             ;   in Loop: Header=BB2_3636 Depth=3
	s_add_i32 s72, s72, 1
	s_mov_b32 s75, -1
                                        ; implicit-def: $vgpr10
	s_and_saveexec_b32 s77, s76
	s_cbranch_execz .LBB2_3634
	s_branch .LBB2_3633
.LBB2_3640:                             ;   in Loop: Header=BB2_3630 Depth=2
	s_or_b32 exec_lo, exec_lo, s23
	s_xor_b32 s16, s61, -1
	s_and_saveexec_b32 s23, s16
	s_xor_b32 s16, exec_lo, s23
	s_cbranch_execz .LBB2_3642
; %bb.3641:                             ;   in Loop: Header=BB2_3630 Depth=2
	v_or_b32_e32 v84, 64, v84
	s_waitcnt vmcnt(0) lgkmcnt(0)
	s_waitcnt_vscnt null, 0x0
	ds_write_b32 v0, v10
	s_trap 2
.LBB2_3642:                             ;   in Loop: Header=BB2_3630 Depth=2
	s_or_b32 exec_lo, exec_lo, s16
.LBB2_3643:                             ;   in Loop: Header=BB2_3630 Depth=2
	s_or_b32 exec_lo, exec_lo, s22
	v_and_b32_e32 v10, 0x108, v84
	;;#ASMSTART
	s_wakeup
	;;#ASMEND
	v_cmp_ne_u32_e32 vcc_lo, 0x108, v10
                                        ; implicit-def: $vgpr10_vgpr11
	s_and_saveexec_b32 s16, vcc_lo
	s_xor_b32 s16, exec_lo, s16
; %bb.3644:                             ;   in Loop: Header=BB2_3630 Depth=2
	v_and_b32_e32 v10, 7, v50
	v_mov_b32_e32 v11, v2
                                        ; implicit-def: $vgpr50_vgpr51
; %bb.3645:                             ;   in Loop: Header=BB2_3630 Depth=2
	s_andn2_saveexec_b32 s16, s16
	s_cbranch_execz .LBB2_3647
; %bb.3646:                             ;   in Loop: Header=BB2_3630 Depth=2
	v_and_b32_e32 v10, 7, v50
	v_ashrrev_i32_e32 v55, 31, v54
	v_mov_b32_e32 v11, v2
	v_mad_u64_u32 v[12:13], null, v10, 24, v[6:7]
	flat_store_dwordx2 v[12:13], v[54:55] offset:8
.LBB2_3647:                             ;   in Loop: Header=BB2_3630 Depth=2
	s_or_b32 exec_lo, exec_lo, s16
	v_and_b32_e32 v12, 0x100, v84
	s_mov_b32 s16, -1
	v_cmp_ne_u32_e32 vcc_lo, 0, v12
                                        ; implicit-def: $vgpr12_vgpr13
	s_and_saveexec_b32 s22, vcc_lo
	s_cbranch_execz .LBB2_3651
; %bb.3648:                             ;   in Loop: Header=BB2_3630 Depth=2
	v_mad_u64_u32 v[14:15], null, v10, 24, v[6:7]
	v_mov_b32_e32 v12, v15
	v_mad_u64_u32 v[12:13], null, v11, 24, v[12:13]
	v_mov_b32_e32 v15, v12
	flat_load_dword v12, v[14:15]
	s_waitcnt vmcnt(0) lgkmcnt(0)
	v_cmp_eq_u32_e64 s16, 1, v12
	v_cmp_ne_u32_e32 vcc_lo, 1, v12
                                        ; implicit-def: $vgpr12_vgpr13
	s_and_saveexec_b32 s23, s16
	s_cbranch_execz .LBB2_3650
; %bb.3649:                             ;   in Loop: Header=BB2_3630 Depth=2
	flat_load_dword v12, v[14:15] offset:4 glc dlc
	s_waitcnt vmcnt(0) lgkmcnt(0)
	v_ashrrev_i32_e32 v13, 31, v12
.LBB2_3650:                             ;   in Loop: Header=BB2_3630 Depth=2
	s_or_b32 exec_lo, exec_lo, s23
	s_orn2_b32 s16, vcc_lo, exec_lo
.LBB2_3651:                             ;   in Loop: Header=BB2_3630 Depth=2
	s_or_b32 exec_lo, exec_lo, s22
	s_and_saveexec_b32 s22, s16
; %bb.3652:                             ;   in Loop: Header=BB2_3630 Depth=2
	v_mul_lo_u32 v11, v11, v85
	v_mul_lo_u32 v14, v10, v86
	v_mad_u64_u32 v[12:13], null, v10, v85, 0
	v_add3_u32 v13, v13, v14, v11
; %bb.3653:                             ;   in Loop: Header=BB2_3630 Depth=2
	s_or_b32 exec_lo, exec_lo, s22
	v_cmp_eq_u32_e32 vcc_lo, 0, v64
	v_and_b32_e32 v15, 0x2000, v84
	s_mov_b32 s16, exec_lo
	v_cndmask_b32_e32 v14, 0xd0, v99, vcc_lo
	v_add_co_u32 v10, vcc_lo, v24, v12
	v_add_co_ci_u32_e64 v11, null, v25, v13, vcc_lo
	v_add_nc_u32_e32 v12, v0, v14
	ds_write_b64 v12, v[10:11] offset:584
	v_cmpx_ne_u32_e32 0, v15
	s_cbranch_execz .LBB2_3655
; %bb.3654:                             ;   in Loop: Header=BB2_3630 Depth=2
	ds_read_b64 v[10:11], v0 offset:872
	s_waitcnt lgkmcnt(0)
	v_add_co_u32 v10, vcc_lo, v10, 1
	v_add_co_ci_u32_e64 v11, null, 0, v11, vcc_lo
	ds_write_b64 v0, v[10:11] offset:872
.LBB2_3655:                             ;   in Loop: Header=BB2_3630 Depth=2
	s_or_b32 exec_lo, exec_lo, s16
	v_mov_b32_e32 v51, v9
	v_mov_b32_e32 v50, v8
.LBB2_3656:                             ;   in Loop: Header=BB2_3630 Depth=2
	s_or_b32 exec_lo, exec_lo, s21
	s_xor_b32 s16, s19, -1
	s_and_b32 s16, exec_lo, s16
	s_or_b32 s18, s16, s18
	s_and_saveexec_b32 s16, s6
	s_cbranch_execz .LBB2_3675
; %bb.3657:                             ;   in Loop: Header=BB2_3630 Depth=2
	s_and_saveexec_b32 s19, s29
	s_xor_b32 s19, exec_lo, s19
	s_cbranch_execz .LBB2_3672
; %bb.3658:                             ;   in Loop: Header=BB2_3630 Depth=2
	s_and_saveexec_b32 s21, s11
	s_cbranch_execz .LBB2_3671
; %bb.3659:                             ;   in Loop: Header=BB2_3630 Depth=2
	s_mov_b32 s23, exec_lo
	s_mov_b32 s22, exec_lo
	v_mbcnt_lo_u32_b32 v8, s23, 0
	s_waitcnt vmcnt(0) lgkmcnt(0)
	s_waitcnt_vscnt null, 0x0
	buffer_gl1_inv
	buffer_gl0_inv
	v_cmpx_eq_u32_e32 0, v8
	s_cbranch_execz .LBB2_3661
; %bb.3660:                             ;   in Loop: Header=BB2_3630 Depth=2
	s_bcnt1_i32_b32 s23, s23
	v_mov_b32_e32 v9, v2
	v_mov_b32_e32 v8, s23
	ds_add_u64 v0, v[8:9]
	s_trap 2
.LBB2_3661:                             ;   in Loop: Header=BB2_3630 Depth=2
	s_or_b32 exec_lo, exec_lo, s22
	s_trap 2
	ds_read_b64 v[8:9], v0
	s_waitcnt lgkmcnt(0)
	buffer_gl0_inv
	v_add_co_u32 v28, vcc_lo, v28, v87
	v_add_co_ci_u32_e64 v29, null, 0, v29, vcc_lo
	s_mov_b32 s22, exec_lo
	v_cmpx_lt_u64_e64 v[8:9], v[28:29]
	s_cbranch_execz .LBB2_3670
; %bb.3662:                             ;   in Loop: Header=BB2_3630 Depth=2
	s_mov_b32 s23, 0
	s_mov_b32 s63, 0
                                        ; implicit-def: $sgpr61
                                        ; implicit-def: $sgpr62
	s_inst_prefetch 0x1
	s_branch .LBB2_3664
	.p2align	6
.LBB2_3663:                             ;   in Loop: Header=BB2_3664 Depth=3
	s_or_b32 exec_lo, exec_lo, s73
	s_and_b32 s72, exec_lo, s74
	s_or_b32 s23, s72, s23
	s_andn2_b32 s61, s61, exec_lo
	s_and_b32 s72, s62, exec_lo
	s_or_b32 s61, s61, s72
	s_andn2_b32 exec_lo, exec_lo, s23
	s_cbranch_execz .LBB2_3668
.LBB2_3664:                             ;   Parent Loop BB2_47 Depth=1
                                        ;     Parent Loop BB2_3630 Depth=2
                                        ; =>    This Inner Loop Header: Depth=3
	s_add_i32 s63, s63, 1
	s_cmpk_lg_i32 s63, 0x2710
	s_cselect_b32 s72, -1, 0
	s_and_b32 vcc_lo, exec_lo, s72
	s_cbranch_vccz .LBB2_3666
; %bb.3665:                             ;   in Loop: Header=BB2_3664 Depth=3
	s_mov_b32 s74, -1
	s_or_b32 s62, s62, exec_lo
	s_and_saveexec_b32 s73, s72
	s_cbranch_execz .LBB2_3663
	s_branch .LBB2_3667
	.p2align	6
.LBB2_3666:                             ;   in Loop: Header=BB2_3664 Depth=3
	s_trap 2
	ds_read_b64 v[8:9], v0
	s_andn2_b32 s72, s72, exec_lo
	s_mov_b32 s63, 0
	s_waitcnt lgkmcnt(0)
	flat_load_dword v8, v[8:9] glc dlc
	s_waitcnt vmcnt(0) lgkmcnt(0)
	buffer_gl1_inv
	buffer_gl0_inv
	v_cmp_eq_u32_e32 vcc_lo, 0, v8
	s_and_b32 s73, vcc_lo, exec_lo
	s_or_b32 s72, s72, s73
	s_mov_b32 s74, -1
	s_or_b32 s62, s62, exec_lo
	s_and_saveexec_b32 s73, s72
	s_cbranch_execz .LBB2_3663
.LBB2_3667:                             ;   in Loop: Header=BB2_3664 Depth=3
	s_sleep 1
	s_trap 2
	ds_read_b64 v[8:9], v0
	s_waitcnt lgkmcnt(0)
	buffer_gl0_inv
	s_andn2_b32 s62, s62, exec_lo
	v_cmp_ge_u64_e32 vcc_lo, v[8:9], v[28:29]
	s_orn2_b32 s74, vcc_lo, exec_lo
	s_branch .LBB2_3663
.LBB2_3668:                             ;   in Loop: Header=BB2_3630 Depth=2
	s_inst_prefetch 0x2
	s_or_b32 exec_lo, exec_lo, s23
	s_and_saveexec_b32 s23, s61
	s_xor_b32 s23, exec_lo, s23
	s_cbranch_execz .LBB2_3670
; %bb.3669:                             ;   in Loop: Header=BB2_3630 Depth=2
	ds_write_b32 v0, v98
	s_trap 2
.LBB2_3670:                             ;   in Loop: Header=BB2_3630 Depth=2
	s_or_b32 exec_lo, exec_lo, s22
	;;#ASMSTART
	s_wakeup
	;;#ASMEND
.LBB2_3671:                             ;   in Loop: Header=BB2_3630 Depth=2
	s_or_b32 exec_lo, exec_lo, s21
.LBB2_3672:                             ;   in Loop: Header=BB2_3630 Depth=2
	s_andn2_saveexec_b32 s19, s19
	s_cbranch_execz .LBB2_3674
; %bb.3673:                             ;   in Loop: Header=BB2_3630 Depth=2
	s_waitcnt vmcnt(0) lgkmcnt(0)
	s_waitcnt_vscnt null, 0x0
	buffer_gl1_inv
	buffer_gl0_inv
	s_barrier
.LBB2_3674:                             ;   in Loop: Header=BB2_3630 Depth=2
	s_or_b32 exec_lo, exec_lo, s19
.LBB2_3675:                             ;   in Loop: Header=BB2_3630 Depth=2
	s_or_b32 exec_lo, exec_lo, s16
	v_and_b32_e32 v8, 16, v84
	s_and_saveexec_b32 s16, s12
	s_xor_b32 s19, exec_lo, s16
	s_cbranch_execz .LBB2_3679
; %bb.3676:                             ;   in Loop: Header=BB2_3630 Depth=2
	s_trap 2
	ds_read_b32 v8, v0
	v_cmp_lt_i32_e32 vcc_lo, 0, v54
	s_waitcnt lgkmcnt(0)
	v_readfirstlane_b32 s16, v8
	v_and_b32_e32 v8, 16, v84
	s_cmp_eq_u32 s16, 0
	v_cmp_ne_u32_e64 s16, 0, v8
	s_cselect_b32 s21, -1, 0
	v_and_b32_e32 v8, 16, v84
	s_and_b32 s21, vcc_lo, s21
	s_and_b32 s21, s16, s21
	s_and_saveexec_b32 s16, s21
	s_cbranch_execz .LBB2_3678
; %bb.3677:                             ;   in Loop: Header=BB2_3630 Depth=2
	v_mov_b32_e32 v8, 1
	s_waitcnt vmcnt(0)
	s_waitcnt_vscnt null, 0x0
	buffer_gl1_inv
	buffer_gl0_inv
.LBB2_3678:                             ;   in Loop: Header=BB2_3630 Depth=2
	s_or_b32 exec_lo, exec_lo, s16
.LBB2_3679:                             ;   in Loop: Header=BB2_3630 Depth=2
	s_andn2_saveexec_b32 s16, s19
	s_cbranch_execz .LBB2_3698
; %bb.3680:                             ;   in Loop: Header=BB2_3630 Depth=2
	s_and_saveexec_b32 s19, s29
	s_xor_b32 s19, exec_lo, s19
	s_cbranch_execz .LBB2_3695
; %bb.3681:                             ;   in Loop: Header=BB2_3630 Depth=2
	s_and_saveexec_b32 s21, s11
	s_cbranch_execz .LBB2_3694
; %bb.3682:                             ;   in Loop: Header=BB2_3630 Depth=2
	s_mov_b32 s23, exec_lo
	s_mov_b32 s22, exec_lo
	v_mbcnt_lo_u32_b32 v9, s23, 0
	;;#ASMSTART
	s_waitcnt lgkmcnt(0) vmcnt(0)
	;;#ASMEND
	v_cmpx_eq_u32_e32 0, v9
	s_cbranch_execz .LBB2_3684
; %bb.3683:                             ;   in Loop: Header=BB2_3630 Depth=2
	s_bcnt1_i32_b32 s23, s23
	v_mov_b32_e32 v10, v2
	v_mov_b32_e32 v9, s23
	s_waitcnt vmcnt(0) lgkmcnt(0)
	s_waitcnt_vscnt null, 0x0
	ds_add_u64 v0, v[9:10]
	s_trap 2
.LBB2_3684:                             ;   in Loop: Header=BB2_3630 Depth=2
	s_or_b32 exec_lo, exec_lo, s22
	s_trap 2
	ds_read_b64 v[9:10], v0
	s_waitcnt vmcnt(0) lgkmcnt(0)
	buffer_gl0_inv
	v_add_co_u32 v28, vcc_lo, v28, v87
	v_add_co_ci_u32_e64 v29, null, 0, v29, vcc_lo
	s_mov_b32 s22, exec_lo
	v_cmpx_lt_u64_e64 v[9:10], v[28:29]
	s_cbranch_execz .LBB2_3693
; %bb.3685:                             ;   in Loop: Header=BB2_3630 Depth=2
	s_mov_b32 s23, 0
	s_mov_b32 s63, 0
                                        ; implicit-def: $sgpr61
                                        ; implicit-def: $sgpr62
	s_inst_prefetch 0x1
	s_branch .LBB2_3687
	.p2align	6
.LBB2_3686:                             ;   in Loop: Header=BB2_3687 Depth=3
	s_or_b32 exec_lo, exec_lo, s73
	s_and_b32 s72, exec_lo, s74
	s_or_b32 s23, s72, s23
	s_andn2_b32 s61, s61, exec_lo
	s_and_b32 s72, s62, exec_lo
	s_or_b32 s61, s61, s72
	s_andn2_b32 exec_lo, exec_lo, s23
	s_cbranch_execz .LBB2_3691
.LBB2_3687:                             ;   Parent Loop BB2_47 Depth=1
                                        ;     Parent Loop BB2_3630 Depth=2
                                        ; =>    This Inner Loop Header: Depth=3
	s_add_i32 s63, s63, 1
	s_cmpk_lg_i32 s63, 0x2710
	s_cselect_b32 s72, -1, 0
	s_and_b32 vcc_lo, exec_lo, s72
	s_cbranch_vccz .LBB2_3689
; %bb.3688:                             ;   in Loop: Header=BB2_3687 Depth=3
	s_mov_b32 s74, -1
	s_or_b32 s62, s62, exec_lo
	s_and_saveexec_b32 s73, s72
	s_cbranch_execz .LBB2_3686
	s_branch .LBB2_3690
	.p2align	6
.LBB2_3689:                             ;   in Loop: Header=BB2_3687 Depth=3
	s_trap 2
	ds_read_b64 v[9:10], v0
	s_andn2_b32 s72, s72, exec_lo
	s_mov_b32 s63, 0
	s_waitcnt lgkmcnt(0)
	s_waitcnt_vscnt null, 0x0
	flat_load_dword v9, v[9:10] glc dlc
	s_waitcnt vmcnt(0) lgkmcnt(0)
	buffer_gl1_inv
	buffer_gl0_inv
	v_cmp_eq_u32_e32 vcc_lo, 0, v9
	s_and_b32 s73, vcc_lo, exec_lo
	s_or_b32 s72, s72, s73
	s_mov_b32 s74, -1
	s_or_b32 s62, s62, exec_lo
	s_and_saveexec_b32 s73, s72
	s_cbranch_execz .LBB2_3686
.LBB2_3690:                             ;   in Loop: Header=BB2_3687 Depth=3
	s_sleep 1
	s_trap 2
	ds_read_b64 v[9:10], v0
	s_waitcnt lgkmcnt(0)
	buffer_gl0_inv
	s_andn2_b32 s62, s62, exec_lo
	v_cmp_ge_u64_e32 vcc_lo, v[9:10], v[28:29]
	s_orn2_b32 s74, vcc_lo, exec_lo
	s_branch .LBB2_3686
.LBB2_3691:                             ;   in Loop: Header=BB2_3630 Depth=2
	s_inst_prefetch 0x2
	s_or_b32 exec_lo, exec_lo, s23
	s_and_saveexec_b32 s23, s61
	s_xor_b32 s23, exec_lo, s23
	s_cbranch_execz .LBB2_3693
; %bb.3692:                             ;   in Loop: Header=BB2_3630 Depth=2
	ds_write_b32 v0, v98
	s_trap 2
.LBB2_3693:                             ;   in Loop: Header=BB2_3630 Depth=2
	s_or_b32 exec_lo, exec_lo, s22
	;;#ASMSTART
	s_wakeup
	;;#ASMEND
.LBB2_3694:                             ;   in Loop: Header=BB2_3630 Depth=2
	s_or_b32 exec_lo, exec_lo, s21
.LBB2_3695:                             ;   in Loop: Header=BB2_3630 Depth=2
	s_andn2_saveexec_b32 s19, s19
	s_cbranch_execz .LBB2_3697
; %bb.3696:                             ;   in Loop: Header=BB2_3630 Depth=2
	;;#ASMSTART
	s_waitcnt lgkmcnt(0) vmcnt(0)
	;;#ASMEND
	s_barrier
.LBB2_3697:                             ;   in Loop: Header=BB2_3630 Depth=2
	s_or_b32 exec_lo, exec_lo, s19
.LBB2_3698:                             ;   in Loop: Header=BB2_3630 Depth=2
	s_or_b32 exec_lo, exec_lo, s16
	v_cmp_ne_u32_e32 vcc_lo, 0, v8
	s_xor_b32 s16, s7, -1
	s_and_b32 s19, vcc_lo, s16
	s_and_saveexec_b32 s16, s19
	s_cbranch_execz .LBB2_3700
; %bb.3699:                             ;   in Loop: Header=BB2_3630 Depth=2
	s_waitcnt vmcnt(0) lgkmcnt(0)
	s_waitcnt_vscnt null, 0x0
	flat_store_dword v[26:27], v98
.LBB2_3700:                             ;   in Loop: Header=BB2_3630 Depth=2
	s_or_b32 exec_lo, exec_lo, s16
	v_and_b32_e32 v8, 48, v84
	s_mov_b32 s16, exec_lo
	v_cmpx_ne_u32_e32 0, v8
	s_cbranch_execz .LBB2_3629
; %bb.3701:                             ;   in Loop: Header=BB2_3630 Depth=2
	v_add_co_u32 v50, vcc_lo, v50, 2
	v_add_co_ci_u32_e64 v51, null, 0, v51, vcc_lo
	s_waitcnt vmcnt(0) lgkmcnt(0)
	s_waitcnt_vscnt null, 0x0
	flat_store_dwordx2 v[22:23], v[50:51]
	s_branch .LBB2_3629
.LBB2_3702:                             ;   in Loop: Header=BB2_47 Depth=1
	s_or_b32 exec_lo, exec_lo, s18
.LBB2_3703:                             ;   in Loop: Header=BB2_47 Depth=1
	s_or_b32 exec_lo, exec_lo, s17
	s_andn2_b32 vcc_lo, exec_lo, s46
	s_cbranch_vccnz .LBB2_3966
; %bb.3704:                             ;   in Loop: Header=BB2_47 Depth=1
	s_mov_b32 s21, 1
.LBB2_3705:                             ;   Parent Loop BB2_47 Depth=1
                                        ; =>  This Loop Header: Depth=2
                                        ;       Child Loop BB2_3708 Depth 3
                                        ;         Child Loop BB2_3716 Depth 4
                                        ;         Child Loop BB2_3744 Depth 4
	;; [unrolled: 1-line block ×4, first 2 shown]
                                        ;           Child Loop BB2_3787 Depth 5
                                        ;         Child Loop BB2_3793 Depth 4
                                        ;           Child Loop BB2_3794 Depth 5
                                        ;         Child Loop BB2_3803 Depth 4
                                        ;         Child Loop BB2_3808 Depth 4
                                        ;           Child Loop BB2_3809 Depth 5
                                        ;         Child Loop BB2_3821 Depth 4
                                        ;         Child Loop BB2_3826 Depth 4
	;; [unrolled: 1-line block ×6, first 2 shown]
                                        ;       Child Loop BB2_3891 Depth 3
                                        ;         Child Loop BB2_3897 Depth 4
                                        ;         Child Loop BB2_3925 Depth 4
	;; [unrolled: 1-line block ×3, first 2 shown]
	s_sub_i32 s16, s42, s21
	v_mov_b32_e32 v15, 0
	s_cmp_ge_i32 s16, s25
	s_mov_b32 s62, 0
	s_cselect_b32 s17, s25, 0
	s_sub_i32 s16, s16, s17
	s_ashr_i32 s17, s16, 31
	v_mul_lo_u32 v3, v49, s16
	v_mad_u64_u32 v[8:9], null, v48, s16, 0
	v_mul_lo_u32 v10, v48, s17
	v_add3_u32 v9, v9, v10, v3
	v_sub_co_u32 v10, vcc_lo, v52, v8
	v_sub_co_ci_u32_e64 v11, null, v53, v9, vcc_lo
	v_cmp_lt_i64_e32 vcc_lo, v[48:49], v[10:11]
	v_cndmask_b32_e32 v11, v10, v48, vcc_lo
	v_max_i32_e32 v3, 0, v11
	v_cmp_lt_i32_e32 vcc_lo, 0, v11
	v_add_nc_u32_e32 v10, 31, v3
	s_and_b32 s16, s57, vcc_lo
	v_lshrrev_b32_e32 v10, 1, v10
	v_and_b32_e32 v12, 0x3ffffff0, v10
	v_mov_b32_e32 v10, 0
	v_max_i32_e32 v12, s45, v12
	s_and_saveexec_b32 s61, s16
	s_cbranch_execz .LBB2_3888
; %bb.3706:                             ;   in Loop: Header=BB2_3705 Depth=2
	v_add_co_u32 v68, vcc_lo, v8, v58
	v_add_co_ci_u32_e64 v69, null, v9, v59, vcc_lo
	v_mov_b32_e32 v15, 0
	s_mov_b32 s72, 1
	s_mov_b32 s63, -1
	s_branch .LBB2_3708
.LBB2_3707:                             ;   in Loop: Header=BB2_3708 Depth=3
	s_or_b32 exec_lo, exec_lo, s16
	v_add_nc_u32_e32 v15, v12, v15
	s_xor_b32 s16, s63, -1
	v_mov_b32_e32 v10, s72
	s_mov_b32 s63, 0
	s_mov_b32 s72, 2
	v_cmp_ge_i32_e32 vcc_lo, v15, v3
	s_or_b32 s16, s16, vcc_lo
	s_and_b32 s16, exec_lo, s16
	s_or_b32 s62, s16, s62
	s_andn2_b32 exec_lo, exec_lo, s62
	s_cbranch_execz .LBB2_3887
.LBB2_3708:                             ;   Parent Loop BB2_47 Depth=1
                                        ;     Parent Loop BB2_3705 Depth=2
                                        ; =>    This Loop Header: Depth=3
                                        ;         Child Loop BB2_3716 Depth 4
                                        ;         Child Loop BB2_3744 Depth 4
	;; [unrolled: 1-line block ×4, first 2 shown]
                                        ;           Child Loop BB2_3787 Depth 5
                                        ;         Child Loop BB2_3793 Depth 4
                                        ;           Child Loop BB2_3794 Depth 5
                                        ;         Child Loop BB2_3803 Depth 4
                                        ;         Child Loop BB2_3808 Depth 4
                                        ;           Child Loop BB2_3809 Depth 5
                                        ;         Child Loop BB2_3821 Depth 4
                                        ;         Child Loop BB2_3826 Depth 4
	;; [unrolled: 1-line block ×6, first 2 shown]
	s_and_saveexec_b32 s17, s4
	s_cbranch_execz .LBB2_3710
; %bb.3709:                             ;   in Loop: Header=BB2_3708 Depth=3
	s_trap 2
	ds_read_b128 v[8:11], v0
	v_ashrrev_i32_e32 v13, 31, v15
	s_waitcnt lgkmcnt(0)
	v_add_co_u32 v14, vcc_lo, v10, v68
	v_add_co_ci_u32_e64 v54, null, v11, v69, vcc_lo
	v_add_co_u32 v8, vcc_lo, v8, v68
	v_add_co_ci_u32_e64 v9, null, v9, v69, vcc_lo
	;; [unrolled: 2-line block ×3, first 2 shown]
	v_cmp_ne_u64_e32 vcc_lo, 0, v[10:11]
	v_add_co_u32 v8, s16, v8, v15
	v_add_co_ci_u32_e64 v9, null, v9, v13, s16
	v_cndmask_b32_e32 v11, 0, v54, vcc_lo
	v_cndmask_b32_e32 v10, 0, v14, vcc_lo
	ds_write_b64 v0, v[8:9]
	ds_write_b64 v0, v[10:11]
.LBB2_3710:                             ;   in Loop: Header=BB2_3708 Depth=3
	s_or_b32 exec_lo, exec_lo, s17
	v_sub_nc_u32_e32 v8, v3, v15
	v_and_b32_e32 v9, 12, v84
	s_mov_b32 s17, exec_lo
	v_min_i32_e32 v12, v12, v8
	v_cmpx_ne_u32_e32 0, v9
	s_cbranch_execz .LBB2_3736
; %bb.3711:                             ;   in Loop: Header=BB2_3708 Depth=3
	v_and_b32_e32 v54, 8, v84
	s_mov_b32 s18, exec_lo
	s_waitcnt vmcnt(0) lgkmcnt(1)
	v_add_co_u32 v10, vcc_lo, v32, v54
	v_add_co_ci_u32_e64 v11, null, 0, v33, vcc_lo
	v_add_co_u32 v8, vcc_lo, v50, 2
	v_add_co_ci_u32_e64 v9, null, 0, v51, vcc_lo
	v_cmpx_lt_u64_e64 v[10:11], v[8:9]
	s_cbranch_execz .LBB2_3723
; %bb.3712:                             ;   in Loop: Header=BB2_3708 Depth=3
	v_and_b32_e32 v10, 64, v84
	s_mov_b32 s19, 0
	s_mov_b32 s74, 0
                                        ; implicit-def: $sgpr22
                                        ; implicit-def: $sgpr23
                                        ; implicit-def: $sgpr73
	v_cmp_eq_u32_e32 vcc_lo, 0, v10
	s_branch .LBB2_3716
.LBB2_3713:                             ;   in Loop: Header=BB2_3716 Depth=4
	s_waitcnt vmcnt(0) lgkmcnt(0)
	v_add_co_u32 v13, s16, v32, v54
	v_add_co_ci_u32_e64 v14, null, 0, v33, s16
	s_or_b32 s77, s77, exec_lo
	v_cmp_ge_u64_e64 s16, v[13:14], v[8:9]
	s_orn2_b32 s76, s16, exec_lo
.LBB2_3714:                             ;   in Loop: Header=BB2_3716 Depth=4
	s_or_b32 exec_lo, exec_lo, s79
	s_andn2_b32 s16, s73, exec_lo
	s_and_b32 s73, s77, exec_lo
	s_andn2_b32 s23, s23, exec_lo
	s_and_b32 s76, s76, exec_lo
	s_or_b32 s73, s16, s73
	s_or_b32 s23, s23, s76
.LBB2_3715:                             ;   in Loop: Header=BB2_3716 Depth=4
	s_or_b32 exec_lo, exec_lo, s75
	s_and_b32 s16, exec_lo, s23
	s_or_b32 s19, s16, s19
	s_andn2_b32 s16, s22, exec_lo
	s_and_b32 s22, s73, exec_lo
	s_or_b32 s22, s16, s22
	s_andn2_b32 exec_lo, exec_lo, s19
	s_cbranch_execz .LBB2_3720
.LBB2_3716:                             ;   Parent Loop BB2_47 Depth=1
                                        ;     Parent Loop BB2_3705 Depth=2
                                        ;       Parent Loop BB2_3708 Depth=3
                                        ; =>      This Inner Loop Header: Depth=4
	s_sleep 1
	s_waitcnt vmcnt(0) lgkmcnt(0)
	flat_load_dwordx2 v[32:33], v[22:23] glc dlc
	s_or_b32 s73, s73, exec_lo
	s_or_b32 s23, s23, exec_lo
                                        ; implicit-def: $vgpr10
	s_and_saveexec_b32 s75, vcc_lo
	s_cbranch_execz .LBB2_3715
; %bb.3717:                             ;   in Loop: Header=BB2_3716 Depth=4
	s_cmpk_lt_i32 s74, 0x270f
	s_mov_b32 s76, -1
	s_cselect_b32 s78, -1, 0
	s_cmpk_gt_i32 s74, 0x270e
	s_cbranch_scc0 .LBB2_3719
; %bb.3718:                             ;   in Loop: Header=BB2_3716 Depth=4
	s_trap 2
	ds_read_b64 v[10:11], v0
	s_andn2_b32 s74, s78, exec_lo
	s_mov_b32 s77, 0
	s_waitcnt vmcnt(0) lgkmcnt(0)
	s_waitcnt_vscnt null, 0x0
	flat_load_dword v10, v[10:11] glc dlc
	s_waitcnt vmcnt(0) lgkmcnt(0)
	buffer_gl1_inv
	buffer_gl0_inv
	v_cmp_eq_u32_e64 s16, 0, v10
	s_and_b32 s16, s16, exec_lo
	s_or_b32 s78, s74, s16
	s_mov_b32 s74, 0
	s_and_saveexec_b32 s79, s78
	s_cbranch_execz .LBB2_3714
	s_branch .LBB2_3713
.LBB2_3719:                             ;   in Loop: Header=BB2_3716 Depth=4
	s_add_i32 s74, s74, 1
	s_mov_b32 s77, -1
                                        ; implicit-def: $vgpr10
	s_and_saveexec_b32 s79, s78
	s_cbranch_execz .LBB2_3714
	s_branch .LBB2_3713
.LBB2_3720:                             ;   in Loop: Header=BB2_3708 Depth=3
	s_or_b32 exec_lo, exec_lo, s19
	s_xor_b32 s16, s22, -1
	s_and_saveexec_b32 s19, s16
	s_xor_b32 s16, exec_lo, s19
	s_cbranch_execz .LBB2_3722
; %bb.3721:                             ;   in Loop: Header=BB2_3708 Depth=3
	v_or_b32_e32 v84, 64, v84
	s_waitcnt vmcnt(0) lgkmcnt(0)
	s_waitcnt_vscnt null, 0x0
	ds_write_b32 v0, v10
	s_trap 2
.LBB2_3722:                             ;   in Loop: Header=BB2_3708 Depth=3
	s_or_b32 exec_lo, exec_lo, s16
.LBB2_3723:                             ;   in Loop: Header=BB2_3708 Depth=3
	s_or_b32 exec_lo, exec_lo, s18
	v_and_b32_e32 v10, 0x108, v84
	;;#ASMSTART
	s_wakeup
	;;#ASMEND
	v_cmp_ne_u32_e32 vcc_lo, 0x108, v10
                                        ; implicit-def: $vgpr10_vgpr11
	s_and_saveexec_b32 s16, vcc_lo
	s_xor_b32 s16, exec_lo, s16
; %bb.3724:                             ;   in Loop: Header=BB2_3708 Depth=3
	v_and_b32_e32 v10, 7, v50
	v_mov_b32_e32 v11, v2
                                        ; implicit-def: $vgpr50_vgpr51
; %bb.3725:                             ;   in Loop: Header=BB2_3708 Depth=3
	s_andn2_saveexec_b32 s16, s16
	s_cbranch_execz .LBB2_3727
; %bb.3726:                             ;   in Loop: Header=BB2_3708 Depth=3
	v_and_b32_e32 v10, 7, v50
	v_ashrrev_i32_e32 v13, 31, v12
	v_mov_b32_e32 v11, v2
	v_mad_u64_u32 v[50:51], null, v10, 24, v[6:7]
	flat_store_dwordx2 v[50:51], v[12:13] offset:8
.LBB2_3727:                             ;   in Loop: Header=BB2_3708 Depth=3
	s_or_b32 exec_lo, exec_lo, s16
	v_and_b32_e32 v13, 0x100, v84
	s_mov_b32 s16, -1
	v_cmp_ne_u32_e32 vcc_lo, 0, v13
                                        ; implicit-def: $vgpr13_vgpr14
	s_and_saveexec_b32 s18, vcc_lo
	s_cbranch_execz .LBB2_3731
; %bb.3728:                             ;   in Loop: Header=BB2_3708 Depth=3
	v_mad_u64_u32 v[50:51], null, v10, 24, v[6:7]
	v_mov_b32_e32 v13, v51
	v_mad_u64_u32 v[13:14], null, v11, 24, v[13:14]
	v_mov_b32_e32 v51, v13
	flat_load_dword v13, v[50:51]
	s_waitcnt vmcnt(0) lgkmcnt(0)
	v_cmp_eq_u32_e64 s16, 1, v13
	v_cmp_ne_u32_e32 vcc_lo, 1, v13
                                        ; implicit-def: $vgpr13_vgpr14
	s_and_saveexec_b32 s19, s16
	s_cbranch_execz .LBB2_3730
; %bb.3729:                             ;   in Loop: Header=BB2_3708 Depth=3
	flat_load_dword v13, v[50:51] offset:4 glc dlc
	s_waitcnt vmcnt(0) lgkmcnt(0)
	v_ashrrev_i32_e32 v14, 31, v13
.LBB2_3730:                             ;   in Loop: Header=BB2_3708 Depth=3
	s_or_b32 exec_lo, exec_lo, s19
	s_orn2_b32 s16, vcc_lo, exec_lo
.LBB2_3731:                             ;   in Loop: Header=BB2_3708 Depth=3
	s_or_b32 exec_lo, exec_lo, s18
	s_and_saveexec_b32 s18, s16
; %bb.3732:                             ;   in Loop: Header=BB2_3708 Depth=3
	v_mul_lo_u32 v11, v11, v85
	v_mul_lo_u32 v50, v10, v86
	v_mad_u64_u32 v[13:14], null, v10, v85, 0
	v_add3_u32 v14, v14, v50, v11
; %bb.3733:                             ;   in Loop: Header=BB2_3708 Depth=3
	s_or_b32 exec_lo, exec_lo, s18
	v_cmp_eq_u32_e32 vcc_lo, 0, v54
	v_and_b32_e32 v51, 0x2000, v84
	s_mov_b32 s16, exec_lo
	v_cndmask_b32_e32 v50, 0xd0, v114, vcc_lo
	v_add_co_u32 v10, vcc_lo, v24, v13
	v_add_co_ci_u32_e64 v11, null, v25, v14, vcc_lo
	v_add_nc_u32_e32 v13, v0, v50
	ds_write_b64 v13, v[10:11] offset:584
	v_cmpx_ne_u32_e32 0, v51
	s_cbranch_execz .LBB2_3735
; %bb.3734:                             ;   in Loop: Header=BB2_3708 Depth=3
	ds_read_b64 v[10:11], v0 offset:872
	s_waitcnt lgkmcnt(0)
	v_add_co_u32 v10, vcc_lo, v10, 1
	v_add_co_ci_u32_e64 v11, null, 0, v11, vcc_lo
	ds_write_b64 v0, v[10:11] offset:872
.LBB2_3735:                             ;   in Loop: Header=BB2_3708 Depth=3
	s_or_b32 exec_lo, exec_lo, s16
	v_mov_b32_e32 v51, v9
	v_mov_b32_e32 v50, v8
.LBB2_3736:                             ;   in Loop: Header=BB2_3708 Depth=3
	s_or_b32 exec_lo, exec_lo, s17
	s_and_saveexec_b32 s16, s6
	s_cbranch_execz .LBB2_3755
; %bb.3737:                             ;   in Loop: Header=BB2_3708 Depth=3
	s_and_saveexec_b32 s17, s29
	s_xor_b32 s17, exec_lo, s17
	s_cbranch_execz .LBB2_3752
; %bb.3738:                             ;   in Loop: Header=BB2_3708 Depth=3
	s_and_saveexec_b32 s18, s11
	s_cbranch_execz .LBB2_3751
; %bb.3739:                             ;   in Loop: Header=BB2_3708 Depth=3
	s_mov_b32 s22, exec_lo
	s_mov_b32 s19, exec_lo
	v_mbcnt_lo_u32_b32 v8, s22, 0
	s_waitcnt vmcnt(0) lgkmcnt(0)
	s_waitcnt_vscnt null, 0x0
	buffer_gl1_inv
	buffer_gl0_inv
	v_cmpx_eq_u32_e32 0, v8
	s_cbranch_execz .LBB2_3741
; %bb.3740:                             ;   in Loop: Header=BB2_3708 Depth=3
	s_bcnt1_i32_b32 s22, s22
	v_mov_b32_e32 v9, v2
	v_mov_b32_e32 v8, s22
	ds_add_u64 v0, v[8:9]
	s_trap 2
.LBB2_3741:                             ;   in Loop: Header=BB2_3708 Depth=3
	s_or_b32 exec_lo, exec_lo, s19
	s_trap 2
	ds_read_b64 v[8:9], v0
	s_waitcnt lgkmcnt(0)
	buffer_gl0_inv
	v_add_co_u32 v28, vcc_lo, v28, v87
	v_add_co_ci_u32_e64 v29, null, 0, v29, vcc_lo
	s_mov_b32 s19, exec_lo
	v_cmpx_lt_u64_e64 v[8:9], v[28:29]
	s_cbranch_execz .LBB2_3750
; %bb.3742:                             ;   in Loop: Header=BB2_3708 Depth=3
	s_mov_b32 s22, 0
	s_mov_b32 s74, 0
                                        ; implicit-def: $sgpr23
                                        ; implicit-def: $sgpr73
	s_inst_prefetch 0x1
	s_branch .LBB2_3744
	.p2align	6
.LBB2_3743:                             ;   in Loop: Header=BB2_3744 Depth=4
	s_or_b32 exec_lo, exec_lo, s76
	s_and_b32 s75, exec_lo, s77
	s_or_b32 s22, s75, s22
	s_andn2_b32 s23, s23, exec_lo
	s_and_b32 s75, s73, exec_lo
	s_or_b32 s23, s23, s75
	s_andn2_b32 exec_lo, exec_lo, s22
	s_cbranch_execz .LBB2_3748
.LBB2_3744:                             ;   Parent Loop BB2_47 Depth=1
                                        ;     Parent Loop BB2_3705 Depth=2
                                        ;       Parent Loop BB2_3708 Depth=3
                                        ; =>      This Inner Loop Header: Depth=4
	s_add_i32 s74, s74, 1
	s_cmpk_lg_i32 s74, 0x2710
	s_cselect_b32 s75, -1, 0
	s_and_b32 vcc_lo, exec_lo, s75
	s_cbranch_vccz .LBB2_3746
; %bb.3745:                             ;   in Loop: Header=BB2_3744 Depth=4
	s_mov_b32 s77, -1
	s_or_b32 s73, s73, exec_lo
	s_and_saveexec_b32 s76, s75
	s_cbranch_execz .LBB2_3743
	s_branch .LBB2_3747
	.p2align	6
.LBB2_3746:                             ;   in Loop: Header=BB2_3744 Depth=4
	s_trap 2
	ds_read_b64 v[8:9], v0
	s_andn2_b32 s75, s75, exec_lo
	s_mov_b32 s74, 0
	s_waitcnt lgkmcnt(0)
	flat_load_dword v8, v[8:9] glc dlc
	s_waitcnt vmcnt(0) lgkmcnt(0)
	buffer_gl1_inv
	buffer_gl0_inv
	v_cmp_eq_u32_e32 vcc_lo, 0, v8
	s_and_b32 s76, vcc_lo, exec_lo
	s_or_b32 s75, s75, s76
	s_mov_b32 s77, -1
	s_or_b32 s73, s73, exec_lo
	s_and_saveexec_b32 s76, s75
	s_cbranch_execz .LBB2_3743
.LBB2_3747:                             ;   in Loop: Header=BB2_3744 Depth=4
	s_sleep 1
	s_trap 2
	ds_read_b64 v[8:9], v0
	s_waitcnt lgkmcnt(0)
	buffer_gl0_inv
	s_andn2_b32 s73, s73, exec_lo
	v_cmp_ge_u64_e32 vcc_lo, v[8:9], v[28:29]
	s_orn2_b32 s77, vcc_lo, exec_lo
	s_branch .LBB2_3743
.LBB2_3748:                             ;   in Loop: Header=BB2_3708 Depth=3
	s_inst_prefetch 0x2
	s_or_b32 exec_lo, exec_lo, s22
	s_and_saveexec_b32 s22, s23
	s_xor_b32 s22, exec_lo, s22
	s_cbranch_execz .LBB2_3750
; %bb.3749:                             ;   in Loop: Header=BB2_3708 Depth=3
	ds_write_b32 v0, v98
	s_trap 2
.LBB2_3750:                             ;   in Loop: Header=BB2_3708 Depth=3
	s_or_b32 exec_lo, exec_lo, s19
	;;#ASMSTART
	s_wakeup
	;;#ASMEND
.LBB2_3751:                             ;   in Loop: Header=BB2_3708 Depth=3
	s_or_b32 exec_lo, exec_lo, s18
.LBB2_3752:                             ;   in Loop: Header=BB2_3708 Depth=3
	s_andn2_saveexec_b32 s17, s17
	s_cbranch_execz .LBB2_3754
; %bb.3753:                             ;   in Loop: Header=BB2_3708 Depth=3
	s_waitcnt vmcnt(0) lgkmcnt(0)
	s_waitcnt_vscnt null, 0x0
	buffer_gl1_inv
	buffer_gl0_inv
	s_barrier
.LBB2_3754:                             ;   in Loop: Header=BB2_3708 Depth=3
	s_or_b32 exec_lo, exec_lo, s17
.LBB2_3755:                             ;   in Loop: Header=BB2_3708 Depth=3
	s_or_b32 exec_lo, exec_lo, s16
	s_trap 2
	ds_read_b32 v8, v0
	v_and_b32_e32 v9, 0x4000, v84
	s_xor_b32 s16, s5, -1
	v_cmp_ne_u32_e32 vcc_lo, 0, v9
	s_and_b32 s17, s16, vcc_lo
	s_and_saveexec_b32 s16, s17
	s_cbranch_execz .LBB2_3774
; %bb.3756:                             ;   in Loop: Header=BB2_3708 Depth=3
	s_and_saveexec_b32 s17, s29
	s_xor_b32 s17, exec_lo, s17
	s_cbranch_execz .LBB2_3771
; %bb.3757:                             ;   in Loop: Header=BB2_3708 Depth=3
	s_and_saveexec_b32 s18, s11
	s_cbranch_execz .LBB2_3770
; %bb.3758:                             ;   in Loop: Header=BB2_3708 Depth=3
	s_mov_b32 s22, exec_lo
	s_mov_b32 s19, exec_lo
	v_mbcnt_lo_u32_b32 v9, s22, 0
	s_waitcnt vmcnt(0) lgkmcnt(0)
	s_waitcnt_vscnt null, 0x0
	buffer_gl1_inv
	buffer_gl0_inv
	v_cmpx_eq_u32_e32 0, v9
	s_cbranch_execz .LBB2_3760
; %bb.3759:                             ;   in Loop: Header=BB2_3708 Depth=3
	s_bcnt1_i32_b32 s22, s22
	v_mov_b32_e32 v10, v2
	v_mov_b32_e32 v9, s22
	ds_add_u64 v0, v[9:10]
	s_trap 2
.LBB2_3760:                             ;   in Loop: Header=BB2_3708 Depth=3
	s_or_b32 exec_lo, exec_lo, s19
	s_trap 2
	ds_read_b64 v[9:10], v0
	s_waitcnt lgkmcnt(0)
	buffer_gl0_inv
	v_add_co_u32 v28, vcc_lo, v28, v87
	v_add_co_ci_u32_e64 v29, null, 0, v29, vcc_lo
	s_mov_b32 s19, exec_lo
	v_cmpx_lt_u64_e64 v[9:10], v[28:29]
	s_cbranch_execz .LBB2_3769
; %bb.3761:                             ;   in Loop: Header=BB2_3708 Depth=3
	s_mov_b32 s22, 0
	s_mov_b32 s74, 0
                                        ; implicit-def: $sgpr23
                                        ; implicit-def: $sgpr73
	s_inst_prefetch 0x1
	s_branch .LBB2_3763
	.p2align	6
.LBB2_3762:                             ;   in Loop: Header=BB2_3763 Depth=4
	s_or_b32 exec_lo, exec_lo, s76
	s_and_b32 s75, exec_lo, s77
	s_or_b32 s22, s75, s22
	s_andn2_b32 s23, s23, exec_lo
	s_and_b32 s75, s73, exec_lo
	s_or_b32 s23, s23, s75
	s_andn2_b32 exec_lo, exec_lo, s22
	s_cbranch_execz .LBB2_3767
.LBB2_3763:                             ;   Parent Loop BB2_47 Depth=1
                                        ;     Parent Loop BB2_3705 Depth=2
                                        ;       Parent Loop BB2_3708 Depth=3
                                        ; =>      This Inner Loop Header: Depth=4
	s_add_i32 s74, s74, 1
	s_cmpk_lg_i32 s74, 0x2710
	s_cselect_b32 s75, -1, 0
	s_and_b32 vcc_lo, exec_lo, s75
	s_cbranch_vccz .LBB2_3765
; %bb.3764:                             ;   in Loop: Header=BB2_3763 Depth=4
	s_mov_b32 s77, -1
	s_or_b32 s73, s73, exec_lo
	s_and_saveexec_b32 s76, s75
	s_cbranch_execz .LBB2_3762
	s_branch .LBB2_3766
	.p2align	6
.LBB2_3765:                             ;   in Loop: Header=BB2_3763 Depth=4
	s_trap 2
	ds_read_b64 v[9:10], v0
	s_andn2_b32 s75, s75, exec_lo
	s_mov_b32 s74, 0
	s_waitcnt lgkmcnt(0)
	flat_load_dword v9, v[9:10] glc dlc
	s_waitcnt vmcnt(0) lgkmcnt(0)
	buffer_gl1_inv
	buffer_gl0_inv
	v_cmp_eq_u32_e32 vcc_lo, 0, v9
	s_and_b32 s76, vcc_lo, exec_lo
	s_or_b32 s75, s75, s76
	s_mov_b32 s77, -1
	s_or_b32 s73, s73, exec_lo
	s_and_saveexec_b32 s76, s75
	s_cbranch_execz .LBB2_3762
.LBB2_3766:                             ;   in Loop: Header=BB2_3763 Depth=4
	s_sleep 1
	s_trap 2
	ds_read_b64 v[9:10], v0
	s_waitcnt lgkmcnt(0)
	buffer_gl0_inv
	s_andn2_b32 s73, s73, exec_lo
	v_cmp_ge_u64_e32 vcc_lo, v[9:10], v[28:29]
	s_orn2_b32 s77, vcc_lo, exec_lo
	s_branch .LBB2_3762
.LBB2_3767:                             ;   in Loop: Header=BB2_3708 Depth=3
	s_inst_prefetch 0x2
	s_or_b32 exec_lo, exec_lo, s22
	s_and_saveexec_b32 s22, s23
	s_xor_b32 s22, exec_lo, s22
	s_cbranch_execz .LBB2_3769
; %bb.3768:                             ;   in Loop: Header=BB2_3708 Depth=3
	ds_write_b32 v0, v98
	s_trap 2
.LBB2_3769:                             ;   in Loop: Header=BB2_3708 Depth=3
	s_or_b32 exec_lo, exec_lo, s19
	;;#ASMSTART
	s_wakeup
	;;#ASMEND
.LBB2_3770:                             ;   in Loop: Header=BB2_3708 Depth=3
	s_or_b32 exec_lo, exec_lo, s18
.LBB2_3771:                             ;   in Loop: Header=BB2_3708 Depth=3
	s_andn2_saveexec_b32 s17, s17
	s_cbranch_execz .LBB2_3773
; %bb.3772:                             ;   in Loop: Header=BB2_3708 Depth=3
	s_waitcnt vmcnt(0) lgkmcnt(0)
	s_waitcnt_vscnt null, 0x0
	buffer_gl1_inv
	buffer_gl0_inv
	s_barrier
.LBB2_3773:                             ;   in Loop: Header=BB2_3708 Depth=3
	s_or_b32 exec_lo, exec_lo, s17
.LBB2_3774:                             ;   in Loop: Header=BB2_3708 Depth=3
	s_or_b32 exec_lo, exec_lo, s16
	s_trap 2
	ds_read_b64 v[13:14], v0
	s_waitcnt lgkmcnt(0)
	v_cmp_eq_u64_e32 vcc_lo, 0, v[13:14]
	s_cbranch_vccnz .LBB2_3783
; %bb.3775:                             ;   in Loop: Header=BB2_3708 Depth=3
	s_trap 2
	ds_read_b64 v[54:55], v0
	s_waitcnt lgkmcnt(0)
	v_cmp_eq_u64_e32 vcc_lo, 0, v[54:55]
	s_cbranch_vccnz .LBB2_3783
; %bb.3776:                             ;   in Loop: Header=BB2_3708 Depth=3
	s_trap 2
	ds_read_b64 v[64:65], v0
	v_cmp_eq_u32_e64 s16, 0, v8
	v_cndmask_b32_e64 v70, 0, v12, s16
	s_mov_b32 s16, -1
	s_waitcnt lgkmcnt(0)
	v_cmp_ne_u64_e32 vcc_lo, 0, v[64:65]
	s_cbranch_vccz .LBB2_3812
; %bb.3777:                             ;   in Loop: Header=BB2_3708 Depth=3
	s_and_saveexec_b32 s17, s14
	s_cbranch_execz .LBB2_3779
; %bb.3778:                             ;   in Loop: Header=BB2_3708 Depth=3
	ds_read_b32 v8, v0 offset:720
	s_waitcnt lgkmcnt(0)
	v_and_b32_e32 v8, 15, v8
	v_cmp_eq_u32_e32 vcc_lo, 0, v8
	s_orn2_b32 s16, vcc_lo, exec_lo
.LBB2_3779:                             ;   in Loop: Header=BB2_3708 Depth=3
	s_or_b32 exec_lo, exec_lo, s17
	s_and_saveexec_b32 s17, s15
	s_cbranch_execz .LBB2_3781
; %bb.3780:                             ;   in Loop: Header=BB2_3708 Depth=3
	ds_read_b32 v8, v0 offset:784
	s_waitcnt lgkmcnt(0)
	v_and_b32_e32 v8, 15, v8
	v_cmp_eq_u32_e32 vcc_lo, 0, v8
	s_and_b32 s18, s16, vcc_lo
	s_andn2_b32 s16, s16, exec_lo
	s_and_b32 s18, s18, exec_lo
	s_or_b32 s16, s16, s18
.LBB2_3781:                             ;   in Loop: Header=BB2_3708 Depth=3
	s_or_b32 exec_lo, exec_lo, s17
	s_xor_b32 s16, s16, -1
	v_mov_b32_e32 v66, 0
	v_cndmask_b32_e64 v8, 0, 1, s16
	v_mov_b32_e32 v67, v70
	v_mov_b32_e32 v71, v0
	s_mov_b32 s17, -1
	v_cmp_ne_u32_e32 vcc_lo, 0, v8
	v_mov_b32_e32 v8, v42
	s_cbranch_vccz .LBB2_3784
; %bb.3782:                             ;   in Loop: Header=BB2_3708 Depth=3
	s_and_saveexec_b32 s22, s17
	s_cbranch_execnz .LBB2_3801
	s_branch .LBB2_3811
.LBB2_3783:                             ;   in Loop: Header=BB2_3708 Depth=3
	s_mov_b32 s16, 0
	s_and_saveexec_b32 s17, s6
	s_cbranch_execnz .LBB2_3842
	s_branch .LBB2_3860
.LBB2_3784:                             ;   in Loop: Header=BB2_3708 Depth=3
	v_ashrrev_i32_e32 v8, 31, v70
	v_sub_nc_u32_e32 v71, v70, v97
	s_mov_b32 s19, exec_lo
	v_lshrrev_b32_e32 v8, 23, v8
	v_add_nc_u32_e32 v8, v70, v8
	v_and_b32_e32 v80, 0xfffffe00, v8
	v_ashrrev_i32_e32 v8, 9, v8
	v_sub_nc_u32_e32 v82, v70, v80
	v_cmp_lt_i32_e64 s16, 15, v82
	v_add_co_ci_u32_e64 v83, null, v8, v47, s16
	v_cmpx_lt_i32_e32 15, v71
	s_cbranch_execz .LBB2_3790
; %bb.3785:                             ;   in Loop: Header=BB2_3708 Depth=3
	v_add_co_u32 v66, vcc_lo, v13, v97
	v_add_co_ci_u32_e64 v67, null, v14, v118, vcc_lo
	v_add_co_u32 v81, vcc_lo, v54, v97
	v_add_co_ci_u32_e64 v60, null, v55, v118, vcc_lo
	;; [unrolled: 2-line block ×3, first 2 shown]
	s_mov_b32 s73, 0
	s_inst_prefetch 0x1
	.p2align	6
.LBB2_3786:                             ;   Parent Loop BB2_47 Depth=1
                                        ;     Parent Loop BB2_3705 Depth=2
                                        ;       Parent Loop BB2_3708 Depth=3
                                        ; =>      This Loop Header: Depth=4
                                        ;           Child Loop BB2_3787 Depth 5
	global_load_dwordx4 v[8:11], v[66:67], off slc
	s_mov_b64 s[22:23], 0
	s_mov_b32 s74, -1
	.p2align	6
.LBB2_3787:                             ;   Parent Loop BB2_47 Depth=1
                                        ;     Parent Loop BB2_3705 Depth=2
                                        ;       Parent Loop BB2_3708 Depth=3
                                        ;         Parent Loop BB2_3786 Depth=4
                                        ; =>        This Inner Loop Header: Depth=5
	s_cmp_eq_u32 s22, 1
	s_cselect_b32 vcc_lo, -1, 0
	s_cmp_eq_u32 s22, 0
	v_cndmask_b32_e32 v72, v81, v61, vcc_lo
	v_cndmask_b32_e32 v73, v60, v62, vcc_lo
	s_mov_b64 s[22:23], 1
	v_add_co_u32 v63, s17, 0x200, v72
	v_add_co_ci_u32_e64 v74, null, 0, v73, s17
	s_cselect_b32 s17, -1, 0
	v_cndmask_b32_e32 v61, v61, v63, vcc_lo
	v_cndmask_b32_e64 v81, v81, v63, s17
	v_cndmask_b32_e32 v62, v62, v74, vcc_lo
	v_cndmask_b32_e64 v60, v60, v74, s17
	s_and_b32 s18, exec_lo, s74
	s_mov_b32 s74, 0
	s_mov_b32 vcc_lo, s18
	s_waitcnt vmcnt(0)
	global_store_dwordx4 v[72:73], v[8:11], off glc slc
	s_cbranch_vccnz .LBB2_3787
; %bb.3788:                             ;   in Loop: Header=BB2_3786 Depth=4
	v_sub_nc_u32_e32 v71, v71, v116
	v_add_co_u32 v81, vcc_lo, v81, v40
	v_add_co_ci_u32_e64 v60, null, v60, v43, vcc_lo
	v_add_co_u32 v61, vcc_lo, v61, v40
	v_add_co_ci_u32_e64 v62, null, v62, v43, vcc_lo
	v_cmp_gt_i32_e32 vcc_lo, 16, v71
	v_add_co_u32 v66, s17, v56, v66
	v_add_co_ci_u32_e64 v67, null, v57, v67, s17
	v_sub_nc_u32_e32 v83, v83, v87
	s_or_b32 s73, vcc_lo, s73
	s_andn2_b32 exec_lo, exec_lo, s73
	s_cbranch_execnz .LBB2_3786
; %bb.3789:                             ;   in Loop: Header=BB2_3708 Depth=3
	s_inst_prefetch 0x2
	s_or_b32 exec_lo, exec_lo, s73
.LBB2_3790:                             ;   in Loop: Header=BB2_3708 Depth=3
	s_or_b32 exec_lo, exec_lo, s19
	v_and_b32_e32 v9, 15, v70
	v_mov_b32_e32 v66, 0
	s_mov_b32 s17, 0
	s_mov_b32 s19, exec_lo
                                        ; implicit-def: $vgpr67
                                        ; implicit-def: $vgpr71
                                        ; implicit-def: $vgpr8
	v_cndmask_b32_e64 v81, v82, v9, s16
	v_cmpx_ne_u32_e32 0, v81
	s_cbranch_execz .LBB2_3800
; %bb.3791:                             ;   in Loop: Header=BB2_3708 Depth=3
	v_cmp_lt_i32_e32 vcc_lo, 0, v83
	v_ashrrev_i32_e32 v11, 31, v81
	v_sub_nc_u32_e32 v9, v82, v9
	s_mov_b32 s73, exec_lo
	v_cndmask_b32_e32 v8, 0, v87, vcc_lo
	v_lshrrev_b32_e32 v11, 23, v11
	v_cndmask_b32_e64 v9, 0, v9, s16
	v_sub_nc_u32_e32 v8, v8, v83
	v_add_nc_u32_e32 v11, v81, v11
	v_add_nc_u32_e32 v80, v9, v80
	v_lshl_add_u32 v8, v8, 5, v46
	v_and_b32_e32 v83, 0xfffffe00, v11
	v_ashrrev_i32_e32 v11, 9, v11
	v_ashrrev_i32_e32 v10, 31, v8
	v_sub_nc_u32_e32 v82, v81, v83
	v_lshrrev_b32_e32 v10, 27, v10
	v_cmp_lt_i32_e64 s16, 15, v82
	v_add_nc_u32_e32 v10, v8, v10
	v_add_co_ci_u32_e64 v11, null, 0, v11, s16
	v_and_b32_e32 v66, 0xffffffe0, v10
	v_ashrrev_i32_e32 v10, 5, v10
	v_sub_nc_u32_e32 v60, v8, v66
	v_sub_nc_u32_e32 v61, v11, v10
	v_lshlrev_b32_e32 v8, 4, v60
	v_lshl_add_u32 v8, v10, 9, v8
	v_sub_nc_u32_e32 v71, v81, v8
	v_cmpx_lt_i32_e32 15, v71
	s_cbranch_execz .LBB2_3797
; %bb.3792:                             ;   in Loop: Header=BB2_3708 Depth=3
	v_add_nc_u32_e32 v8, v8, v80
	s_mov_b32 s74, 0
	v_ashrrev_i32_e32 v9, 31, v8
	v_add_co_u32 v66, vcc_lo, v8, v13
	v_add_co_ci_u32_e64 v67, null, v9, v14, vcc_lo
	v_add_co_u32 v62, vcc_lo, v8, v54
	v_add_co_ci_u32_e64 v63, null, v9, v55, vcc_lo
	;; [unrolled: 2-line block ×3, first 2 shown]
	s_inst_prefetch 0x1
	.p2align	6
.LBB2_3793:                             ;   Parent Loop BB2_47 Depth=1
                                        ;     Parent Loop BB2_3705 Depth=2
                                        ;       Parent Loop BB2_3708 Depth=3
                                        ; =>      This Loop Header: Depth=4
                                        ;           Child Loop BB2_3794 Depth 5
	global_load_dwordx4 v[8:11], v[66:67], off slc
	s_mov_b64 s[22:23], 0
	s_mov_b32 s75, -1
	.p2align	6
.LBB2_3794:                             ;   Parent Loop BB2_47 Depth=1
                                        ;     Parent Loop BB2_3705 Depth=2
                                        ;       Parent Loop BB2_3708 Depth=3
                                        ;         Parent Loop BB2_3793 Depth=4
                                        ; =>        This Inner Loop Header: Depth=5
	s_cmp_eq_u32 s22, 1
	s_cselect_b32 vcc_lo, -1, 0
	s_cmp_eq_u32 s22, 0
	v_cndmask_b32_e32 v74, v62, v72, vcc_lo
	v_cndmask_b32_e32 v75, v63, v73, vcc_lo
	s_mov_b64 s[22:23], 1
	v_add_co_u32 v76, s17, 0x200, v74
	v_add_co_ci_u32_e64 v77, null, 0, v75, s17
	s_cselect_b32 s17, -1, 0
	v_cndmask_b32_e32 v72, v72, v76, vcc_lo
	v_cndmask_b32_e64 v62, v62, v76, s17
	v_cndmask_b32_e32 v73, v73, v77, vcc_lo
	v_cndmask_b32_e64 v63, v63, v77, s17
	s_and_b32 s18, exec_lo, s75
	s_mov_b32 s75, 0
	s_mov_b32 vcc_lo, s18
	s_waitcnt vmcnt(0)
	global_store_dwordx4 v[74:75], v[8:11], off glc slc
	s_cbranch_vccnz .LBB2_3794
; %bb.3795:                             ;   in Loop: Header=BB2_3793 Depth=4
	v_sub_nc_u32_e32 v71, v71, v116
	v_add_co_u32 v62, vcc_lo, v62, v40
	v_add_co_ci_u32_e64 v63, null, v63, v43, vcc_lo
	v_add_co_u32 v72, vcc_lo, v72, v40
	v_add_co_ci_u32_e64 v73, null, v73, v43, vcc_lo
	v_cmp_gt_i32_e32 vcc_lo, 16, v71
	v_add_co_u32 v66, s17, v56, v66
	v_add_co_ci_u32_e64 v67, null, v57, v67, s17
	v_sub_nc_u32_e32 v61, v61, v87
	s_or_b32 s74, vcc_lo, s74
	s_andn2_b32 exec_lo, exec_lo, s74
	s_cbranch_execnz .LBB2_3793
; %bb.3796:                             ;   in Loop: Header=BB2_3708 Depth=3
	s_inst_prefetch 0x2
	s_or_b32 exec_lo, exec_lo, s74
.LBB2_3797:                             ;   in Loop: Header=BB2_3708 Depth=3
	s_or_b32 exec_lo, exec_lo, s73
	v_and_b32_e32 v9, 15, v81
	v_mov_b32_e32 v66, 0
	s_mov_b32 s17, 0
	s_mov_b32 s18, exec_lo
                                        ; implicit-def: $vgpr71
                                        ; implicit-def: $vgpr8
	v_cndmask_b32_e64 v67, v82, v9, s16
	v_cmpx_ne_u32_e32 0, v67
	s_cbranch_execz .LBB2_3799
; %bb.3798:                             ;   in Loop: Header=BB2_3708 Depth=3
	v_cmp_lt_i32_e32 vcc_lo, 0, v61
	v_sub_nc_u32_e32 v9, v82, v9
	s_mov_b32 s17, exec_lo
	v_cndmask_b32_e32 v8, 0, v87, vcc_lo
	v_cndmask_b32_e64 v9, 0, v9, s16
	v_sub_nc_u32_e32 v8, v8, v61
	v_add3_u32 v66, v83, v80, v9
	v_lshl_add_u32 v71, v8, 5, v60
	v_ashrrev_i32_e32 v8, 31, v71
	v_lshrrev_b32_e32 v8, 27, v8
	v_add_nc_u32_e32 v8, v71, v8
	v_ashrrev_i32_e32 v8, 5, v8
.LBB2_3799:                             ;   in Loop: Header=BB2_3708 Depth=3
	s_or_b32 exec_lo, exec_lo, s18
	s_and_b32 s17, s17, exec_lo
.LBB2_3800:                             ;   in Loop: Header=BB2_3708 Depth=3
	s_or_b32 exec_lo, exec_lo, s19
	s_and_saveexec_b32 s22, s17
	s_cbranch_execz .LBB2_3811
.LBB2_3801:                             ;   in Loop: Header=BB2_3708 Depth=3
	v_ashrrev_i32_e32 v9, 31, v67
	s_mov_b32 s17, exec_lo
	v_add_nc_u32_sdwa v9, v67, v9 dst_sel:DWORD dst_unused:UNUSED_PAD src0_sel:DWORD src1_sel:BYTE_3
	v_ashrrev_i32_e32 v82, 8, v9
	v_ashrrev_i32_e32 v9, 31, v71
	v_sub_nc_u32_e32 v80, v82, v8
	v_lshrrev_b32_e32 v81, 27, v9
	v_cmpx_lt_i32_e32 0, v80
	s_cbranch_execz .LBB2_3805
; %bb.3802:                             ;   in Loop: Header=BB2_3708 Depth=3
	v_add_nc_u32_e32 v9, v71, v81
	v_lshlrev_b32_e32 v8, 8, v8
	v_add_co_u32 v61, vcc_lo, 0xe0, v13
	v_add_co_ci_u32_e64 v62, null, 0, v14, vcc_lo
	v_and_b32_e32 v9, 0xffffffe0, v9
	s_mov_b32 s18, 0
	v_sub_nc_u32_e32 v9, v71, v9
	v_add3_u32 v83, v66, v9, v8
	v_ashrrev_i32_e32 v60, 31, v83
	v_add_co_u32 v8, vcc_lo, v83, v54
	v_add_co_ci_u32_e64 v9, null, v60, v55, vcc_lo
	v_add_co_u32 v10, vcc_lo, v83, v64
	v_add_co_ci_u32_e64 v11, null, v60, v65, vcc_lo
	;; [unrolled: 2-line block ×3, first 2 shown]
.LBB2_3803:                             ;   Parent Loop BB2_47 Depth=1
                                        ;     Parent Loop BB2_3705 Depth=2
                                        ;       Parent Loop BB2_3708 Depth=3
                                        ; =>      This Inner Loop Header: Depth=4
	v_add_co_u32 v60, vcc_lo, 0xffffff20, v64
	v_add_co_ci_u32_e64 v61, null, -1, v65, vcc_lo
	v_add_co_u32 v62, vcc_lo, 0xffffff40, v64
	v_add_co_ci_u32_e64 v63, null, -1, v65, vcc_lo
	;; [unrolled: 2-line block ×7, first 2 shown]
	flat_load_ubyte v83, v[64:65] slc
	flat_load_ubyte v60, v[60:61] slc
	;; [unrolled: 1-line block ×8, first 2 shown]
	v_sub_nc_u32_e32 v80, v80, v87
	v_add_co_u32 v64, vcc_lo, v64, v117
	v_add_co_ci_u32_e64 v65, null, 0, v65, vcc_lo
	v_cmp_gt_i32_e32 vcc_lo, 1, v80
	s_waitcnt vmcnt(7) lgkmcnt(7)
	flat_store_byte v[8:9], v83 offset:224 glc slc
	s_waitcnt vmcnt(6) lgkmcnt(7)
	flat_store_byte v[8:9], v60 glc slc
	s_waitcnt vmcnt(5) lgkmcnt(7)
	flat_store_byte v[8:9], v61 offset:32 glc slc
	s_waitcnt vmcnt(4) lgkmcnt(7)
	flat_store_byte v[8:9], v62 offset:64 glc slc
	;; [unrolled: 2-line block ×6, first 2 shown]
	flat_store_byte v[10:11], v60 glc slc
	flat_store_byte v[10:11], v61 offset:32 glc slc
	flat_store_byte v[10:11], v62 offset:64 glc slc
	;; [unrolled: 1-line block ×7, first 2 shown]
	v_add_co_u32 v8, s16, v8, v117
	v_add_co_ci_u32_e64 v9, null, 0, v9, s16
	v_add_co_u32 v10, s16, v10, v117
	v_add_co_ci_u32_e64 v11, null, 0, v11, s16
	s_or_b32 s18, vcc_lo, s18
	s_andn2_b32 exec_lo, exec_lo, s18
	s_cbranch_execnz .LBB2_3803
; %bb.3804:                             ;   in Loop: Header=BB2_3708 Depth=3
	s_or_b32 exec_lo, exec_lo, s18
.LBB2_3805:                             ;   in Loop: Header=BB2_3708 Depth=3
	s_or_b32 exec_lo, exec_lo, s17
	v_lshlrev_b32_e32 v8, 8, v82
	v_cmp_ne_u32_e32 vcc_lo, v67, v8
	s_and_b32 exec_lo, exec_lo, vcc_lo
	s_cbranch_execz .LBB2_3811
; %bb.3806:                             ;   in Loop: Header=BB2_3708 Depth=3
	v_add_nc_u32_e32 v9, v71, v81
	v_lshlrev_b32_e32 v10, 5, v80
	v_and_b32_e32 v9, 0xffffffe0, v9
	v_sub_nc_u32_e32 v9, v71, v9
	v_sub_nc_u32_e32 v9, v9, v10
	v_add_nc_u32_e32 v8, v8, v9
	v_sub_nc_u32_e32 v10, v67, v8
	v_cmp_lt_i32_e32 vcc_lo, 0, v10
	s_and_b32 exec_lo, exec_lo, vcc_lo
	s_cbranch_execz .LBB2_3811
; %bb.3807:                             ;   in Loop: Header=BB2_3708 Depth=3
	s_trap 2
	ds_read_b64 v[64:65], v0
	ds_read_b128 v[80:83], v0
	v_add_nc_u32_e32 v66, v8, v66
	s_mov_b32 s23, 0
	v_ashrrev_i32_e32 v67, 31, v66
	s_waitcnt lgkmcnt(1)
	v_add_co_u32 v8, vcc_lo, v64, v66
	v_add_co_ci_u32_e64 v9, null, v65, v67, vcc_lo
	s_waitcnt lgkmcnt(0)
	v_add_co_u32 v11, vcc_lo, v80, v66
	v_add_co_ci_u32_e64 v64, null, v81, v67, vcc_lo
	v_add_co_u32 v65, vcc_lo, v82, v66
	v_add_co_ci_u32_e64 v66, null, v83, v67, vcc_lo
	s_inst_prefetch 0x1
	.p2align	6
.LBB2_3808:                             ;   Parent Loop BB2_47 Depth=1
                                        ;     Parent Loop BB2_3705 Depth=2
                                        ;       Parent Loop BB2_3708 Depth=3
                                        ; =>      This Loop Header: Depth=4
                                        ;           Child Loop BB2_3809 Depth 5
	flat_load_ubyte v67, v[8:9] slc
	s_mov_b64 s[18:19], 0
	s_mov_b32 s73, -1
	.p2align	6
.LBB2_3809:                             ;   Parent Loop BB2_47 Depth=1
                                        ;     Parent Loop BB2_3705 Depth=2
                                        ;       Parent Loop BB2_3708 Depth=3
                                        ;         Parent Loop BB2_3808 Depth=4
                                        ; =>        This Inner Loop Header: Depth=5
	s_cmp_eq_u32 s18, 1
	s_cselect_b32 vcc_lo, -1, 0
	s_cmp_eq_u32 s18, 0
	v_cndmask_b32_e32 v80, v11, v65, vcc_lo
	v_cndmask_b32_e32 v81, v64, v66, vcc_lo
	s_mov_b64 s[18:19], 1
	v_add_co_u32 v71, s16, v80, 32
	v_add_co_ci_u32_e64 v82, null, 0, v81, s16
	s_cselect_b32 s16, -1, 0
	v_cndmask_b32_e32 v65, v65, v71, vcc_lo
	v_cndmask_b32_e64 v11, v11, v71, s16
	v_cndmask_b32_e32 v66, v66, v82, vcc_lo
	v_cndmask_b32_e64 v64, v64, v82, s16
	s_and_b32 s17, exec_lo, s73
	s_mov_b32 s73, 0
	s_mov_b32 vcc_lo, s17
	s_waitcnt vmcnt(0) lgkmcnt(0)
	flat_store_byte v[80:81], v67 glc slc
	s_cbranch_vccnz .LBB2_3809
; %bb.3810:                             ;   in Loop: Header=BB2_3808 Depth=4
	v_sub_nc_u32_e32 v10, v10, v96
	v_add_co_u32 v11, vcc_lo, v11, v119
	v_add_co_ci_u32_e64 v64, null, v64, v41, vcc_lo
	v_add_co_u32 v65, vcc_lo, v65, v119
	v_add_co_ci_u32_e64 v66, null, v66, v41, vcc_lo
	v_cmp_gt_i32_e32 vcc_lo, 1, v10
	v_add_co_u32 v8, s16, v44, v8
	v_add_co_ci_u32_e64 v9, null, v45, v9, s16
	s_or_b32 s23, vcc_lo, s23
	s_andn2_b32 exec_lo, exec_lo, s23
	s_cbranch_execnz .LBB2_3808
.LBB2_3811:                             ;   in Loop: Header=BB2_3708 Depth=3
	s_inst_prefetch 0x2
	s_or_b32 exec_lo, exec_lo, s22
	s_mov_b32 s16, 0
.LBB2_3812:                             ;   in Loop: Header=BB2_3708 Depth=3
	s_and_b32 vcc_lo, exec_lo, s16
	s_cbranch_vccz .LBB2_3841
; %bb.3813:                             ;   in Loop: Header=BB2_3708 Depth=3
	s_mov_b32 s16, -1
	s_and_saveexec_b32 s17, s14
	s_cbranch_execz .LBB2_3815
; %bb.3814:                             ;   in Loop: Header=BB2_3708 Depth=3
	ds_read_b32 v8, v0 offset:720
	s_waitcnt lgkmcnt(0)
	v_and_b32_e32 v8, 15, v8
	v_cmp_eq_u32_e32 vcc_lo, 0, v8
	s_orn2_b32 s16, vcc_lo, exec_lo
.LBB2_3815:                             ;   in Loop: Header=BB2_3708 Depth=3
	s_or_b32 exec_lo, exec_lo, s17
	s_and_saveexec_b32 s17, s13
	s_cbranch_execz .LBB2_3817
; %bb.3816:                             ;   in Loop: Header=BB2_3708 Depth=3
	ds_read_b32 v8, v0 offset:784
	s_waitcnt lgkmcnt(0)
	v_and_b32_e32 v8, 15, v8
	v_cmp_eq_u32_e32 vcc_lo, 0, v8
	s_and_b32 s18, s16, vcc_lo
	s_andn2_b32 s16, s16, exec_lo
	s_and_b32 s18, s18, exec_lo
	s_or_b32 s16, s16, s18
.LBB2_3817:                             ;   in Loop: Header=BB2_3708 Depth=3
	s_or_b32 exec_lo, exec_lo, s17
	s_xor_b32 s16, s16, -1
	v_mov_b32_e32 v10, 0
	v_cndmask_b32_e64 v8, 0, 1, s16
	v_mov_b32_e32 v9, v0
	v_mov_b32_e32 v71, v42
	s_mov_b32 s16, -1
	v_cmp_ne_u32_e32 vcc_lo, 0, v8
	v_mov_b32_e32 v8, v70
	s_cbranch_vccz .LBB2_3819
; %bb.3818:                             ;   in Loop: Header=BB2_3708 Depth=3
	s_and_saveexec_b32 s17, s16
	s_cbranch_execnz .LBB2_3832
	s_branch .LBB2_3840
.LBB2_3819:                             ;   in Loop: Header=BB2_3708 Depth=3
	v_ashrrev_i32_e32 v8, 31, v70
	s_mov_b32 s17, exec_lo
	v_lshrrev_b32_e32 v8, 22, v8
	v_add_nc_u32_e32 v8, v70, v8
	v_ashrrev_i32_e32 v10, 10, v8
	v_sub_nc_u32_e32 v64, v10, v42
	v_cmpx_lt_i32_e32 0, v64
	s_cbranch_execz .LBB2_3823
; %bb.3820:                             ;   in Loop: Header=BB2_3708 Depth=3
	v_mov_b32_e32 v8, v38
	v_mov_b32_e32 v9, v39
	s_mov_b32 s18, 0
	.p2align	6
.LBB2_3821:                             ;   Parent Loop BB2_47 Depth=1
                                        ;     Parent Loop BB2_3705 Depth=2
                                        ;       Parent Loop BB2_3708 Depth=3
                                        ; =>      This Inner Loop Header: Depth=4
	v_add_co_u32 v65, vcc_lo, v13, v8
	v_add_co_ci_u32_e64 v66, null, v14, v9, vcc_lo
	v_sub_nc_u32_e32 v64, v64, v87
	s_clause 0x1
	global_load_dwordx4 v[80:83], v[65:66], off slc
	global_load_dwordx4 v[60:63], v[65:66], off offset:512 slc
	v_add_co_u32 v65, vcc_lo, v54, v8
	v_add_co_ci_u32_e64 v66, null, v55, v9, vcc_lo
	v_cmp_gt_i32_e32 vcc_lo, 1, v64
	v_add_co_u32 v8, s16, v8, v115
	v_add_co_ci_u32_e64 v9, null, 0, v9, s16
	s_or_b32 s18, vcc_lo, s18
	s_waitcnt vmcnt(1)
	global_store_dwordx4 v[65:66], v[80:83], off glc slc
	s_waitcnt vmcnt(0)
	global_store_dwordx4 v[65:66], v[60:63], off offset:512 glc slc
	s_andn2_b32 exec_lo, exec_lo, s18
	s_cbranch_execnz .LBB2_3821
; %bb.3822:                             ;   in Loop: Header=BB2_3708 Depth=3
	s_or_b32 exec_lo, exec_lo, s18
.LBB2_3823:                             ;   in Loop: Header=BB2_3708 Depth=3
	s_or_b32 exec_lo, exec_lo, s17
	v_lshlrev_b32_e32 v11, 10, v10
	v_mov_b32_e32 v10, 0
	s_mov_b32 s16, 0
	s_mov_b32 s18, exec_lo
                                        ; implicit-def: $vgpr8
                                        ; implicit-def: $vgpr9
                                        ; implicit-def: $vgpr71
	v_cmpx_ne_u32_e64 v70, v11
	s_cbranch_execz .LBB2_3831
; %bb.3824:                             ;   in Loop: Header=BB2_3708 Depth=3
	v_lshlrev_b32_e32 v8, 5, v64
	v_sub_nc_u32_e32 v10, v70, v11
	s_mov_b32 s19, exec_lo
	v_sub_nc_u32_e32 v8, v46, v8
	v_ashrrev_i32_e32 v64, 31, v10
	v_ashrrev_i32_e32 v9, 31, v8
	v_lshrrev_b32_e32 v64, 23, v64
	v_lshrrev_b32_e32 v9, 27, v9
	v_add_nc_u32_e32 v67, v10, v64
	v_add_nc_u32_e32 v9, v8, v9
	v_and_b32_e32 v64, 0xfffffe00, v67
	v_ashrrev_i32_e32 v67, 9, v67
	v_and_b32_e32 v65, 0xffffffe0, v9
	v_sub_nc_u32_e32 v66, v10, v64
	v_ashrrev_i32_e32 v71, 5, v9
	v_sub_nc_u32_e32 v65, v8, v65
	v_cmp_lt_i32_e32 vcc_lo, 15, v66
	v_lshlrev_b32_e32 v8, 4, v65
	v_add_co_ci_u32_e64 v67, null, 0, v67, vcc_lo
	v_lshl_add_u32 v9, v71, 9, v8
	v_sub_nc_u32_e32 v67, v67, v71
	v_sub_nc_u32_e32 v8, v10, v9
	v_cmpx_lt_i32_e32 15, v8
	s_cbranch_execz .LBB2_3828
; %bb.3825:                             ;   in Loop: Header=BB2_3708 Depth=3
	v_add_nc_u32_e32 v9, v9, v11
	s_mov_b32 s22, 0
	v_ashrrev_i32_e32 v10, 31, v9
	.p2align	6
.LBB2_3826:                             ;   Parent Loop BB2_47 Depth=1
                                        ;     Parent Loop BB2_3705 Depth=2
                                        ;       Parent Loop BB2_3708 Depth=3
                                        ; =>      This Inner Loop Header: Depth=4
	v_add_co_u32 v80, s16, v13, v9
	v_add_co_ci_u32_e64 v81, null, v14, v10, s16
	v_sub_nc_u32_e32 v8, v8, v116
	v_add_co_u32 v60, s16, v54, v9
	global_load_dwordx4 v[80:83], v[80:81], off slc
	v_add_co_ci_u32_e64 v61, null, v55, v10, s16
	v_cmp_gt_i32_e64 s16, 16, v8
	v_add_co_u32 v9, s17, v9, v116
	v_sub_nc_u32_e32 v67, v67, v87
	v_add_co_ci_u32_e64 v10, null, 0, v10, s17
	s_or_b32 s22, s16, s22
	s_waitcnt vmcnt(0)
	global_store_dwordx4 v[60:61], v[80:83], off glc slc
	s_andn2_b32 exec_lo, exec_lo, s22
	s_cbranch_execnz .LBB2_3826
; %bb.3827:                             ;   in Loop: Header=BB2_3708 Depth=3
	s_or_b32 exec_lo, exec_lo, s22
.LBB2_3828:                             ;   in Loop: Header=BB2_3708 Depth=3
	s_or_b32 exec_lo, exec_lo, s19
	v_and_b32_e32 v80, 15, v70
	v_mov_b32_e32 v10, 0
	s_mov_b32 s17, 0
	s_mov_b32 s19, exec_lo
                                        ; implicit-def: $vgpr9
                                        ; implicit-def: $vgpr71
	v_cndmask_b32_e32 v8, v66, v80, vcc_lo
	v_cmpx_ne_u32_e32 0, v8
	s_cbranch_execz .LBB2_3830
; %bb.3829:                             ;   in Loop: Header=BB2_3708 Depth=3
	v_cmp_lt_i32_e64 s16, 0, v67
	s_mov_b32 s17, exec_lo
	v_cndmask_b32_e64 v9, 0, v87, s16
	v_sub_nc_u32_e32 v9, v9, v67
	v_lshl_add_u32 v9, v9, 5, v65
	v_sub_nc_u32_e32 v65, v66, v80
	v_ashrrev_i32_e32 v10, 31, v9
	v_cndmask_b32_e32 v65, 0, v65, vcc_lo
	v_lshrrev_b32_e32 v10, 27, v10
	v_add_nc_u32_e32 v66, v9, v10
	v_add3_u32 v10, v64, v11, v65
	v_ashrrev_i32_e32 v71, 5, v66
.LBB2_3830:                             ;   in Loop: Header=BB2_3708 Depth=3
	s_or_b32 exec_lo, exec_lo, s19
	s_and_b32 s16, s17, exec_lo
.LBB2_3831:                             ;   in Loop: Header=BB2_3708 Depth=3
	s_or_b32 exec_lo, exec_lo, s18
	s_and_saveexec_b32 s17, s16
	s_cbranch_execz .LBB2_3840
.LBB2_3832:                             ;   in Loop: Header=BB2_3708 Depth=3
	v_ashrrev_i32_e32 v11, 31, v8
	v_ashrrev_i32_e32 v64, 31, v9
	s_mov_b32 s16, exec_lo
	v_add_nc_u32_sdwa v11, v8, v11 dst_sel:DWORD dst_unused:UNUSED_PAD src0_sel:DWORD src1_sel:BYTE_3
	v_lshrrev_b32_e32 v64, 27, v64
	v_ashrrev_i32_e32 v65, 8, v11
	v_sub_nc_u32_e32 v11, v65, v71
	v_cmpx_lt_i32_e32 0, v11
	s_cbranch_execz .LBB2_3836
; %bb.3833:                             ;   in Loop: Header=BB2_3708 Depth=3
	v_add_nc_u32_e32 v66, v9, v64
	v_lshlrev_b32_e32 v67, 8, v71
	s_mov_b32 s18, 0
	v_and_b32_e32 v66, 0xffffffe0, v66
	v_sub_nc_u32_e32 v66, v9, v66
	v_add3_u32 v66, v10, v66, v67
	v_ashrrev_i32_e32 v67, 31, v66
.LBB2_3834:                             ;   Parent Loop BB2_47 Depth=1
                                        ;     Parent Loop BB2_3705 Depth=2
                                        ;       Parent Loop BB2_3708 Depth=3
                                        ; =>      This Inner Loop Header: Depth=4
	v_add_co_u32 v80, vcc_lo, v66, v13
	v_add_co_ci_u32_e64 v81, null, v67, v14, vcc_lo
	v_sub_nc_u32_e32 v11, v11, v87
	s_clause 0x7
	flat_load_ubyte v71, v[80:81] slc
	flat_load_ubyte v82, v[80:81] offset:32 slc
	flat_load_ubyte v83, v[80:81] offset:64 slc
	;; [unrolled: 1-line block ×7, first 2 shown]
	v_add_co_u32 v80, vcc_lo, v66, v54
	v_add_co_ci_u32_e64 v81, null, v67, v55, vcc_lo
	v_add_co_u32 v13, vcc_lo, v13, v117
	v_add_co_ci_u32_e64 v14, null, 0, v14, vcc_lo
	;; [unrolled: 2-line block ×3, first 2 shown]
	v_cmp_gt_i32_e32 vcc_lo, 1, v11
	s_waitcnt vmcnt(7) lgkmcnt(7)
	flat_store_byte v[80:81], v71 glc slc
	s_waitcnt vmcnt(6) lgkmcnt(7)
	flat_store_byte v[80:81], v82 offset:32 glc slc
	s_waitcnt vmcnt(5) lgkmcnt(7)
	flat_store_byte v[80:81], v83 offset:64 glc slc
	;; [unrolled: 2-line block ×7, first 2 shown]
	s_or_b32 s18, vcc_lo, s18
	s_andn2_b32 exec_lo, exec_lo, s18
	s_cbranch_execnz .LBB2_3834
; %bb.3835:                             ;   in Loop: Header=BB2_3708 Depth=3
	s_or_b32 exec_lo, exec_lo, s18
.LBB2_3836:                             ;   in Loop: Header=BB2_3708 Depth=3
	s_or_b32 exec_lo, exec_lo, s16
	v_lshlrev_b32_e32 v13, 8, v65
	v_cmp_ne_u32_e32 vcc_lo, v8, v13
	s_and_b32 exec_lo, exec_lo, vcc_lo
	s_cbranch_execz .LBB2_3840
; %bb.3837:                             ;   in Loop: Header=BB2_3708 Depth=3
	v_add_nc_u32_e32 v14, v9, v64
	v_lshlrev_b32_e32 v11, 5, v11
	v_and_b32_e32 v14, 0xffffffe0, v14
	v_sub_nc_u32_e32 v9, v9, v14
	v_sub_nc_u32_e32 v9, v9, v11
	v_add_nc_u32_e32 v13, v13, v9
	v_sub_nc_u32_e32 v11, v8, v13
	v_cmp_lt_i32_e32 vcc_lo, 0, v11
	s_and_b32 exec_lo, exec_lo, vcc_lo
	s_cbranch_execz .LBB2_3840
; %bb.3838:                             ;   in Loop: Header=BB2_3708 Depth=3
	s_trap 2
	ds_read_b64 v[8:9], v0
	v_add_nc_u32_e32 v10, v13, v10
	s_mov_b32 s18, 0
	v_ashrrev_i32_e32 v13, 31, v10
	.p2align	6
.LBB2_3839:                             ;   Parent Loop BB2_47 Depth=1
                                        ;     Parent Loop BB2_3705 Depth=2
                                        ;       Parent Loop BB2_3708 Depth=3
                                        ; =>      This Inner Loop Header: Depth=4
	s_waitcnt lgkmcnt(0)
	v_add_co_u32 v54, vcc_lo, v8, v10
	v_add_co_ci_u32_e64 v55, null, v9, v13, vcc_lo
	v_sub_nc_u32_e32 v11, v11, v96
	v_add_co_u32 v10, s16, v10, v96
	flat_load_ubyte v14, v[54:55] slc
	v_add_co_ci_u32_e64 v13, null, 0, v13, s16
	v_cmp_gt_i32_e32 vcc_lo, 1, v11
	s_or_b32 s18, vcc_lo, s18
	s_waitcnt vmcnt(0) lgkmcnt(0)
	flat_store_byte v[54:55], v14 glc slc
	s_andn2_b32 exec_lo, exec_lo, s18
	s_cbranch_execnz .LBB2_3839
.LBB2_3840:                             ;   in Loop: Header=BB2_3708 Depth=3
	s_or_b32 exec_lo, exec_lo, s17
.LBB2_3841:                             ;   in Loop: Header=BB2_3708 Depth=3
	v_cmp_lt_i32_e64 s16, 0, v70
	s_and_saveexec_b32 s17, s6
	s_cbranch_execz .LBB2_3860
.LBB2_3842:                             ;   in Loop: Header=BB2_3708 Depth=3
	s_and_saveexec_b32 s18, s29
	s_xor_b32 s18, exec_lo, s18
	s_cbranch_execz .LBB2_3857
; %bb.3843:                             ;   in Loop: Header=BB2_3708 Depth=3
	s_and_saveexec_b32 s19, s11
	s_cbranch_execz .LBB2_3856
; %bb.3844:                             ;   in Loop: Header=BB2_3708 Depth=3
	s_mov_b32 s23, exec_lo
	s_mov_b32 s22, exec_lo
	v_mbcnt_lo_u32_b32 v8, s23, 0
	s_waitcnt vmcnt(0) lgkmcnt(0)
	s_waitcnt_vscnt null, 0x0
	buffer_gl1_inv
	buffer_gl0_inv
	v_cmpx_eq_u32_e32 0, v8
	s_cbranch_execz .LBB2_3846
; %bb.3845:                             ;   in Loop: Header=BB2_3708 Depth=3
	s_bcnt1_i32_b32 s23, s23
	v_mov_b32_e32 v9, v2
	v_mov_b32_e32 v8, s23
	ds_add_u64 v0, v[8:9]
	s_trap 2
.LBB2_3846:                             ;   in Loop: Header=BB2_3708 Depth=3
	s_or_b32 exec_lo, exec_lo, s22
	s_trap 2
	ds_read_b64 v[8:9], v0
	s_waitcnt lgkmcnt(0)
	buffer_gl0_inv
	v_add_co_u32 v28, vcc_lo, v28, v87
	v_add_co_ci_u32_e64 v29, null, 0, v29, vcc_lo
	s_mov_b32 s22, exec_lo
	v_cmpx_lt_u64_e64 v[8:9], v[28:29]
	s_cbranch_execz .LBB2_3855
; %bb.3847:                             ;   in Loop: Header=BB2_3708 Depth=3
	s_mov_b32 s23, 0
	s_mov_b32 s75, 0
                                        ; implicit-def: $sgpr73
                                        ; implicit-def: $sgpr74
	s_inst_prefetch 0x1
	s_branch .LBB2_3849
	.p2align	6
.LBB2_3848:                             ;   in Loop: Header=BB2_3849 Depth=4
	s_or_b32 exec_lo, exec_lo, s77
	s_and_b32 s76, exec_lo, s78
	s_or_b32 s23, s76, s23
	s_andn2_b32 s73, s73, exec_lo
	s_and_b32 s76, s74, exec_lo
	s_or_b32 s73, s73, s76
	s_andn2_b32 exec_lo, exec_lo, s23
	s_cbranch_execz .LBB2_3853
.LBB2_3849:                             ;   Parent Loop BB2_47 Depth=1
                                        ;     Parent Loop BB2_3705 Depth=2
                                        ;       Parent Loop BB2_3708 Depth=3
                                        ; =>      This Inner Loop Header: Depth=4
	s_add_i32 s75, s75, 1
	s_cmpk_lg_i32 s75, 0x2710
	s_cselect_b32 s76, -1, 0
	s_and_b32 vcc_lo, exec_lo, s76
	s_cbranch_vccz .LBB2_3851
; %bb.3850:                             ;   in Loop: Header=BB2_3849 Depth=4
	s_mov_b32 s78, -1
	s_or_b32 s74, s74, exec_lo
	s_and_saveexec_b32 s77, s76
	s_cbranch_execz .LBB2_3848
	s_branch .LBB2_3852
	.p2align	6
.LBB2_3851:                             ;   in Loop: Header=BB2_3849 Depth=4
	s_trap 2
	ds_read_b64 v[8:9], v0
	s_andn2_b32 s76, s76, exec_lo
	s_mov_b32 s75, 0
	s_waitcnt lgkmcnt(0)
	flat_load_dword v8, v[8:9] glc dlc
	s_waitcnt vmcnt(0) lgkmcnt(0)
	buffer_gl1_inv
	buffer_gl0_inv
	v_cmp_eq_u32_e32 vcc_lo, 0, v8
	s_and_b32 s77, vcc_lo, exec_lo
	s_or_b32 s76, s76, s77
	s_mov_b32 s78, -1
	s_or_b32 s74, s74, exec_lo
	s_and_saveexec_b32 s77, s76
	s_cbranch_execz .LBB2_3848
.LBB2_3852:                             ;   in Loop: Header=BB2_3849 Depth=4
	s_sleep 1
	s_trap 2
	ds_read_b64 v[8:9], v0
	s_waitcnt lgkmcnt(0)
	buffer_gl0_inv
	s_andn2_b32 s74, s74, exec_lo
	v_cmp_ge_u64_e32 vcc_lo, v[8:9], v[28:29]
	s_orn2_b32 s78, vcc_lo, exec_lo
	s_branch .LBB2_3848
.LBB2_3853:                             ;   in Loop: Header=BB2_3708 Depth=3
	s_inst_prefetch 0x2
	s_or_b32 exec_lo, exec_lo, s23
	s_and_saveexec_b32 s23, s73
	s_xor_b32 s23, exec_lo, s23
	s_cbranch_execz .LBB2_3855
; %bb.3854:                             ;   in Loop: Header=BB2_3708 Depth=3
	ds_write_b32 v0, v98
	s_trap 2
.LBB2_3855:                             ;   in Loop: Header=BB2_3708 Depth=3
	s_or_b32 exec_lo, exec_lo, s22
	;;#ASMSTART
	s_wakeup
	;;#ASMEND
.LBB2_3856:                             ;   in Loop: Header=BB2_3708 Depth=3
	s_or_b32 exec_lo, exec_lo, s19
.LBB2_3857:                             ;   in Loop: Header=BB2_3708 Depth=3
	s_andn2_saveexec_b32 s18, s18
	s_cbranch_execz .LBB2_3859
; %bb.3858:                             ;   in Loop: Header=BB2_3708 Depth=3
	s_waitcnt vmcnt(0) lgkmcnt(0)
	s_waitcnt_vscnt null, 0x0
	buffer_gl1_inv
	buffer_gl0_inv
	s_barrier
.LBB2_3859:                             ;   in Loop: Header=BB2_3708 Depth=3
	s_or_b32 exec_lo, exec_lo, s18
.LBB2_3860:                             ;   in Loop: Header=BB2_3708 Depth=3
	s_or_b32 exec_lo, exec_lo, s17
	v_and_b32_e32 v8, 16, v84
	s_and_saveexec_b32 s17, s12
	s_xor_b32 s17, exec_lo, s17
	s_cbranch_execz .LBB2_3864
; %bb.3861:                             ;   in Loop: Header=BB2_3708 Depth=3
	v_and_b32_e32 v8, 16, v84
	v_cmp_ne_u32_e32 vcc_lo, 0, v8
	v_and_b32_e32 v8, 16, v84
	s_and_b32 s18, vcc_lo, s16
	s_and_saveexec_b32 s16, s18
	s_cbranch_execz .LBB2_3863
; %bb.3862:                             ;   in Loop: Header=BB2_3708 Depth=3
	v_mov_b32_e32 v8, 1
	s_waitcnt vmcnt(0) lgkmcnt(0)
	s_waitcnt_vscnt null, 0x0
	buffer_gl1_inv
	buffer_gl0_inv
.LBB2_3863:                             ;   in Loop: Header=BB2_3708 Depth=3
	s_or_b32 exec_lo, exec_lo, s16
.LBB2_3864:                             ;   in Loop: Header=BB2_3708 Depth=3
	s_andn2_saveexec_b32 s16, s17
	s_cbranch_execz .LBB2_3883
; %bb.3865:                             ;   in Loop: Header=BB2_3708 Depth=3
	s_and_saveexec_b32 s17, s29
	s_xor_b32 s17, exec_lo, s17
	s_cbranch_execz .LBB2_3880
; %bb.3866:                             ;   in Loop: Header=BB2_3708 Depth=3
	s_and_saveexec_b32 s18, s11
	s_cbranch_execz .LBB2_3879
; %bb.3867:                             ;   in Loop: Header=BB2_3708 Depth=3
	s_mov_b32 s22, exec_lo
	s_mov_b32 s19, exec_lo
	v_mbcnt_lo_u32_b32 v9, s22, 0
	;;#ASMSTART
	s_waitcnt lgkmcnt(0) vmcnt(0)
	;;#ASMEND
	v_cmpx_eq_u32_e32 0, v9
	s_cbranch_execz .LBB2_3869
; %bb.3868:                             ;   in Loop: Header=BB2_3708 Depth=3
	s_bcnt1_i32_b32 s22, s22
	v_mov_b32_e32 v10, v2
	v_mov_b32_e32 v9, s22
	s_waitcnt vmcnt(0) lgkmcnt(0)
	s_waitcnt_vscnt null, 0x0
	ds_add_u64 v0, v[9:10]
	s_trap 2
.LBB2_3869:                             ;   in Loop: Header=BB2_3708 Depth=3
	s_or_b32 exec_lo, exec_lo, s19
	s_trap 2
	ds_read_b64 v[9:10], v0
	s_waitcnt vmcnt(0) lgkmcnt(0)
	buffer_gl0_inv
	v_add_co_u32 v28, vcc_lo, v28, v87
	v_add_co_ci_u32_e64 v29, null, 0, v29, vcc_lo
	s_mov_b32 s19, exec_lo
	v_cmpx_lt_u64_e64 v[9:10], v[28:29]
	s_cbranch_execz .LBB2_3878
; %bb.3870:                             ;   in Loop: Header=BB2_3708 Depth=3
	s_mov_b32 s22, 0
	s_mov_b32 s74, 0
                                        ; implicit-def: $sgpr23
                                        ; implicit-def: $sgpr73
	s_inst_prefetch 0x1
	s_branch .LBB2_3872
	.p2align	6
.LBB2_3871:                             ;   in Loop: Header=BB2_3872 Depth=4
	s_or_b32 exec_lo, exec_lo, s76
	s_and_b32 s75, exec_lo, s77
	s_or_b32 s22, s75, s22
	s_andn2_b32 s23, s23, exec_lo
	s_and_b32 s75, s73, exec_lo
	s_or_b32 s23, s23, s75
	s_andn2_b32 exec_lo, exec_lo, s22
	s_cbranch_execz .LBB2_3876
.LBB2_3872:                             ;   Parent Loop BB2_47 Depth=1
                                        ;     Parent Loop BB2_3705 Depth=2
                                        ;       Parent Loop BB2_3708 Depth=3
                                        ; =>      This Inner Loop Header: Depth=4
	s_add_i32 s74, s74, 1
	s_cmpk_lg_i32 s74, 0x2710
	s_cselect_b32 s75, -1, 0
	s_and_b32 vcc_lo, exec_lo, s75
	s_cbranch_vccz .LBB2_3874
; %bb.3873:                             ;   in Loop: Header=BB2_3872 Depth=4
	s_mov_b32 s77, -1
	s_or_b32 s73, s73, exec_lo
	s_and_saveexec_b32 s76, s75
	s_cbranch_execz .LBB2_3871
	s_branch .LBB2_3875
	.p2align	6
.LBB2_3874:                             ;   in Loop: Header=BB2_3872 Depth=4
	s_trap 2
	ds_read_b64 v[9:10], v0
	s_andn2_b32 s75, s75, exec_lo
	s_mov_b32 s74, 0
	s_waitcnt lgkmcnt(0)
	s_waitcnt_vscnt null, 0x0
	flat_load_dword v9, v[9:10] glc dlc
	s_waitcnt vmcnt(0) lgkmcnt(0)
	buffer_gl1_inv
	buffer_gl0_inv
	v_cmp_eq_u32_e32 vcc_lo, 0, v9
	s_and_b32 s76, vcc_lo, exec_lo
	s_or_b32 s75, s75, s76
	s_mov_b32 s77, -1
	s_or_b32 s73, s73, exec_lo
	s_and_saveexec_b32 s76, s75
	s_cbranch_execz .LBB2_3871
.LBB2_3875:                             ;   in Loop: Header=BB2_3872 Depth=4
	s_sleep 1
	s_trap 2
	ds_read_b64 v[9:10], v0
	s_waitcnt lgkmcnt(0)
	buffer_gl0_inv
	s_andn2_b32 s73, s73, exec_lo
	v_cmp_ge_u64_e32 vcc_lo, v[9:10], v[28:29]
	s_orn2_b32 s77, vcc_lo, exec_lo
	s_branch .LBB2_3871
.LBB2_3876:                             ;   in Loop: Header=BB2_3708 Depth=3
	s_inst_prefetch 0x2
	s_or_b32 exec_lo, exec_lo, s22
	s_and_saveexec_b32 s22, s23
	s_xor_b32 s22, exec_lo, s22
	s_cbranch_execz .LBB2_3878
; %bb.3877:                             ;   in Loop: Header=BB2_3708 Depth=3
	ds_write_b32 v0, v98
	s_trap 2
.LBB2_3878:                             ;   in Loop: Header=BB2_3708 Depth=3
	s_or_b32 exec_lo, exec_lo, s19
	;;#ASMSTART
	s_wakeup
	;;#ASMEND
.LBB2_3879:                             ;   in Loop: Header=BB2_3708 Depth=3
	s_or_b32 exec_lo, exec_lo, s18
.LBB2_3880:                             ;   in Loop: Header=BB2_3708 Depth=3
	s_andn2_saveexec_b32 s17, s17
	s_cbranch_execz .LBB2_3882
; %bb.3881:                             ;   in Loop: Header=BB2_3708 Depth=3
	;;#ASMSTART
	s_waitcnt lgkmcnt(0) vmcnt(0)
	;;#ASMEND
	s_barrier
.LBB2_3882:                             ;   in Loop: Header=BB2_3708 Depth=3
	s_or_b32 exec_lo, exec_lo, s17
.LBB2_3883:                             ;   in Loop: Header=BB2_3708 Depth=3
	s_or_b32 exec_lo, exec_lo, s16
	v_cmp_ne_u32_e32 vcc_lo, 0, v8
	s_xor_b32 s16, s7, -1
	s_and_b32 s17, vcc_lo, s16
	s_and_saveexec_b32 s16, s17
	s_cbranch_execz .LBB2_3885
; %bb.3884:                             ;   in Loop: Header=BB2_3708 Depth=3
	s_waitcnt vmcnt(0) lgkmcnt(0)
	s_waitcnt_vscnt null, 0x0
	flat_store_dword v[26:27], v98
.LBB2_3885:                             ;   in Loop: Header=BB2_3708 Depth=3
	s_or_b32 exec_lo, exec_lo, s16
	v_and_b32_e32 v8, 48, v84
	s_mov_b32 s16, exec_lo
	v_cmpx_ne_u32_e32 0, v8
	s_cbranch_execz .LBB2_3707
; %bb.3886:                             ;   in Loop: Header=BB2_3708 Depth=3
	v_add_co_u32 v50, vcc_lo, v50, 2
	v_add_co_ci_u32_e64 v51, null, 0, v51, vcc_lo
	s_waitcnt vmcnt(0) lgkmcnt(0)
	s_waitcnt_vscnt null, 0x0
	flat_store_dwordx2 v[22:23], v[50:51]
	s_branch .LBB2_3707
.LBB2_3887:                             ;   in Loop: Header=BB2_3705 Depth=2
	s_or_b32 exec_lo, exec_lo, s62
.LBB2_3888:                             ;   in Loop: Header=BB2_3705 Depth=2
	s_or_b32 exec_lo, exec_lo, s61
	s_mov_b32 s17, exec_lo
	v_cmpx_gt_i32_e32 2, v10
	s_cbranch_execz .LBB2_3964
; %bb.3889:                             ;   in Loop: Header=BB2_3705 Depth=2
	v_cmp_eq_u32_e64 s19, 0, v10
	s_mov_b32 s18, 0
	s_branch .LBB2_3891
.LBB2_3890:                             ;   in Loop: Header=BB2_3891 Depth=3
	s_or_b32 exec_lo, exec_lo, s16
	v_add_nc_u32_e32 v15, v12, v15
	s_mov_b32 s19, 0
	s_andn2_b32 exec_lo, exec_lo, s18
	s_cbranch_execz .LBB2_3963
.LBB2_3891:                             ;   Parent Loop BB2_47 Depth=1
                                        ;     Parent Loop BB2_3705 Depth=2
                                        ; =>    This Loop Header: Depth=3
                                        ;         Child Loop BB2_3897 Depth 4
                                        ;         Child Loop BB2_3925 Depth 4
	;; [unrolled: 1-line block ×3, first 2 shown]
	v_sub_nc_u32_e32 v8, v3, v15
	v_and_b32_e32 v9, 12, v84
	s_mov_b32 s22, exec_lo
	v_min_i32_e32 v12, v12, v8
	v_cmpx_ne_u32_e32 0, v9
	s_cbranch_execz .LBB2_3917
; %bb.3892:                             ;   in Loop: Header=BB2_3891 Depth=3
	v_and_b32_e32 v54, 8, v84
	s_mov_b32 s23, exec_lo
	s_waitcnt vmcnt(0) lgkmcnt(1)
	v_add_co_u32 v10, vcc_lo, v32, v54
	v_add_co_ci_u32_e64 v11, null, 0, v33, vcc_lo
	v_add_co_u32 v8, vcc_lo, v50, 2
	v_add_co_ci_u32_e64 v9, null, 0, v51, vcc_lo
	v_cmpx_lt_u64_e64 v[10:11], v[8:9]
	s_cbranch_execz .LBB2_3904
; %bb.3893:                             ;   in Loop: Header=BB2_3891 Depth=3
	v_and_b32_e32 v10, 64, v84
	s_mov_b32 s61, 0
	s_mov_b32 s73, 0
                                        ; implicit-def: $sgpr62
                                        ; implicit-def: $sgpr63
                                        ; implicit-def: $sgpr72
	v_cmp_eq_u32_e32 vcc_lo, 0, v10
	s_branch .LBB2_3897
.LBB2_3894:                             ;   in Loop: Header=BB2_3897 Depth=4
	s_waitcnt vmcnt(0) lgkmcnt(0)
	v_add_co_u32 v13, s16, v32, v54
	v_add_co_ci_u32_e64 v14, null, 0, v33, s16
	s_or_b32 s76, s76, exec_lo
	v_cmp_ge_u64_e64 s16, v[13:14], v[8:9]
	s_orn2_b32 s75, s16, exec_lo
.LBB2_3895:                             ;   in Loop: Header=BB2_3897 Depth=4
	s_or_b32 exec_lo, exec_lo, s78
	s_andn2_b32 s16, s72, exec_lo
	s_and_b32 s72, s76, exec_lo
	s_andn2_b32 s63, s63, exec_lo
	s_and_b32 s75, s75, exec_lo
	s_or_b32 s72, s16, s72
	s_or_b32 s63, s63, s75
.LBB2_3896:                             ;   in Loop: Header=BB2_3897 Depth=4
	s_or_b32 exec_lo, exec_lo, s74
	s_and_b32 s16, exec_lo, s63
	s_or_b32 s61, s16, s61
	s_andn2_b32 s16, s62, exec_lo
	s_and_b32 s62, s72, exec_lo
	s_or_b32 s62, s16, s62
	s_andn2_b32 exec_lo, exec_lo, s61
	s_cbranch_execz .LBB2_3901
.LBB2_3897:                             ;   Parent Loop BB2_47 Depth=1
                                        ;     Parent Loop BB2_3705 Depth=2
                                        ;       Parent Loop BB2_3891 Depth=3
                                        ; =>      This Inner Loop Header: Depth=4
	s_sleep 1
	s_waitcnt vmcnt(0) lgkmcnt(0)
	flat_load_dwordx2 v[32:33], v[22:23] glc dlc
	s_or_b32 s72, s72, exec_lo
	s_or_b32 s63, s63, exec_lo
                                        ; implicit-def: $vgpr10
	s_and_saveexec_b32 s74, vcc_lo
	s_cbranch_execz .LBB2_3896
; %bb.3898:                             ;   in Loop: Header=BB2_3897 Depth=4
	s_cmpk_lt_i32 s73, 0x270f
	s_mov_b32 s75, -1
	s_cselect_b32 s77, -1, 0
	s_cmpk_gt_i32 s73, 0x270e
	s_cbranch_scc0 .LBB2_3900
; %bb.3899:                             ;   in Loop: Header=BB2_3897 Depth=4
	s_trap 2
	ds_read_b64 v[10:11], v0
	s_andn2_b32 s73, s77, exec_lo
	s_mov_b32 s76, 0
	s_waitcnt vmcnt(0) lgkmcnt(0)
	s_waitcnt_vscnt null, 0x0
	flat_load_dword v10, v[10:11] glc dlc
	s_waitcnt vmcnt(0) lgkmcnt(0)
	buffer_gl1_inv
	buffer_gl0_inv
	v_cmp_eq_u32_e64 s16, 0, v10
	s_and_b32 s16, s16, exec_lo
	s_or_b32 s77, s73, s16
	s_mov_b32 s73, 0
	s_and_saveexec_b32 s78, s77
	s_cbranch_execz .LBB2_3895
	s_branch .LBB2_3894
.LBB2_3900:                             ;   in Loop: Header=BB2_3897 Depth=4
	s_add_i32 s73, s73, 1
	s_mov_b32 s76, -1
                                        ; implicit-def: $vgpr10
	s_and_saveexec_b32 s78, s77
	s_cbranch_execz .LBB2_3895
	s_branch .LBB2_3894
.LBB2_3901:                             ;   in Loop: Header=BB2_3891 Depth=3
	s_or_b32 exec_lo, exec_lo, s61
	s_xor_b32 s16, s62, -1
	s_and_saveexec_b32 s61, s16
	s_xor_b32 s16, exec_lo, s61
	s_cbranch_execz .LBB2_3903
; %bb.3902:                             ;   in Loop: Header=BB2_3891 Depth=3
	v_or_b32_e32 v84, 64, v84
	s_waitcnt vmcnt(0) lgkmcnt(0)
	s_waitcnt_vscnt null, 0x0
	ds_write_b32 v0, v10
	s_trap 2
.LBB2_3903:                             ;   in Loop: Header=BB2_3891 Depth=3
	s_or_b32 exec_lo, exec_lo, s16
.LBB2_3904:                             ;   in Loop: Header=BB2_3891 Depth=3
	s_or_b32 exec_lo, exec_lo, s23
	v_and_b32_e32 v10, 0x108, v84
	;;#ASMSTART
	s_wakeup
	;;#ASMEND
	v_cmp_ne_u32_e32 vcc_lo, 0x108, v10
                                        ; implicit-def: $vgpr10_vgpr11
	s_and_saveexec_b32 s16, vcc_lo
	s_xor_b32 s16, exec_lo, s16
; %bb.3905:                             ;   in Loop: Header=BB2_3891 Depth=3
	v_and_b32_e32 v10, 7, v50
	v_mov_b32_e32 v11, v2
                                        ; implicit-def: $vgpr50_vgpr51
; %bb.3906:                             ;   in Loop: Header=BB2_3891 Depth=3
	s_andn2_saveexec_b32 s16, s16
	s_cbranch_execz .LBB2_3908
; %bb.3907:                             ;   in Loop: Header=BB2_3891 Depth=3
	v_and_b32_e32 v10, 7, v50
	v_ashrrev_i32_e32 v13, 31, v12
	v_mov_b32_e32 v11, v2
	v_mad_u64_u32 v[50:51], null, v10, 24, v[6:7]
	flat_store_dwordx2 v[50:51], v[12:13] offset:8
.LBB2_3908:                             ;   in Loop: Header=BB2_3891 Depth=3
	s_or_b32 exec_lo, exec_lo, s16
	v_and_b32_e32 v13, 0x100, v84
	s_mov_b32 s16, -1
	v_cmp_ne_u32_e32 vcc_lo, 0, v13
                                        ; implicit-def: $vgpr13_vgpr14
	s_and_saveexec_b32 s23, vcc_lo
	s_cbranch_execz .LBB2_3912
; %bb.3909:                             ;   in Loop: Header=BB2_3891 Depth=3
	v_mad_u64_u32 v[50:51], null, v10, 24, v[6:7]
	v_mov_b32_e32 v13, v51
	v_mad_u64_u32 v[13:14], null, v11, 24, v[13:14]
	v_mov_b32_e32 v51, v13
	flat_load_dword v13, v[50:51]
	s_waitcnt vmcnt(0) lgkmcnt(0)
	v_cmp_eq_u32_e64 s16, 1, v13
	v_cmp_ne_u32_e32 vcc_lo, 1, v13
                                        ; implicit-def: $vgpr13_vgpr14
	s_and_saveexec_b32 s61, s16
	s_cbranch_execz .LBB2_3911
; %bb.3910:                             ;   in Loop: Header=BB2_3891 Depth=3
	flat_load_dword v13, v[50:51] offset:4 glc dlc
	s_waitcnt vmcnt(0) lgkmcnt(0)
	v_ashrrev_i32_e32 v14, 31, v13
.LBB2_3911:                             ;   in Loop: Header=BB2_3891 Depth=3
	s_or_b32 exec_lo, exec_lo, s61
	s_orn2_b32 s16, vcc_lo, exec_lo
.LBB2_3912:                             ;   in Loop: Header=BB2_3891 Depth=3
	s_or_b32 exec_lo, exec_lo, s23
	s_and_saveexec_b32 s23, s16
; %bb.3913:                             ;   in Loop: Header=BB2_3891 Depth=3
	v_mul_lo_u32 v11, v11, v85
	v_mul_lo_u32 v50, v10, v86
	v_mad_u64_u32 v[13:14], null, v10, v85, 0
	v_add3_u32 v14, v14, v50, v11
; %bb.3914:                             ;   in Loop: Header=BB2_3891 Depth=3
	s_or_b32 exec_lo, exec_lo, s23
	v_cmp_eq_u32_e32 vcc_lo, 0, v54
	v_and_b32_e32 v51, 0x2000, v84
	s_mov_b32 s16, exec_lo
	v_cndmask_b32_e32 v50, 0xd0, v114, vcc_lo
	v_add_co_u32 v10, vcc_lo, v24, v13
	v_add_co_ci_u32_e64 v11, null, v25, v14, vcc_lo
	v_add_nc_u32_e32 v13, v0, v50
	ds_write_b64 v13, v[10:11] offset:584
	v_cmpx_ne_u32_e32 0, v51
	s_cbranch_execz .LBB2_3916
; %bb.3915:                             ;   in Loop: Header=BB2_3891 Depth=3
	ds_read_b64 v[10:11], v0 offset:872
	s_waitcnt lgkmcnt(0)
	v_add_co_u32 v10, vcc_lo, v10, 1
	v_add_co_ci_u32_e64 v11, null, 0, v11, vcc_lo
	ds_write_b64 v0, v[10:11] offset:872
.LBB2_3916:                             ;   in Loop: Header=BB2_3891 Depth=3
	s_or_b32 exec_lo, exec_lo, s16
	v_mov_b32_e32 v51, v9
	v_mov_b32_e32 v50, v8
.LBB2_3917:                             ;   in Loop: Header=BB2_3891 Depth=3
	s_or_b32 exec_lo, exec_lo, s22
	s_xor_b32 s16, s19, -1
	s_and_b32 s16, exec_lo, s16
	s_or_b32 s18, s16, s18
	s_and_saveexec_b32 s16, s6
	s_cbranch_execz .LBB2_3936
; %bb.3918:                             ;   in Loop: Header=BB2_3891 Depth=3
	s_and_saveexec_b32 s19, s29
	s_xor_b32 s19, exec_lo, s19
	s_cbranch_execz .LBB2_3933
; %bb.3919:                             ;   in Loop: Header=BB2_3891 Depth=3
	s_and_saveexec_b32 s22, s11
	s_cbranch_execz .LBB2_3932
; %bb.3920:                             ;   in Loop: Header=BB2_3891 Depth=3
	s_mov_b32 s61, exec_lo
	s_mov_b32 s23, exec_lo
	v_mbcnt_lo_u32_b32 v8, s61, 0
	s_waitcnt vmcnt(0) lgkmcnt(0)
	s_waitcnt_vscnt null, 0x0
	buffer_gl1_inv
	buffer_gl0_inv
	v_cmpx_eq_u32_e32 0, v8
	s_cbranch_execz .LBB2_3922
; %bb.3921:                             ;   in Loop: Header=BB2_3891 Depth=3
	s_bcnt1_i32_b32 s61, s61
	v_mov_b32_e32 v9, v2
	v_mov_b32_e32 v8, s61
	ds_add_u64 v0, v[8:9]
	s_trap 2
.LBB2_3922:                             ;   in Loop: Header=BB2_3891 Depth=3
	s_or_b32 exec_lo, exec_lo, s23
	s_trap 2
	ds_read_b64 v[8:9], v0
	s_waitcnt lgkmcnt(0)
	buffer_gl0_inv
	v_add_co_u32 v28, vcc_lo, v28, v87
	v_add_co_ci_u32_e64 v29, null, 0, v29, vcc_lo
	s_mov_b32 s23, exec_lo
	v_cmpx_lt_u64_e64 v[8:9], v[28:29]
	s_cbranch_execz .LBB2_3931
; %bb.3923:                             ;   in Loop: Header=BB2_3891 Depth=3
	s_mov_b32 s61, 0
	s_mov_b32 s72, 0
                                        ; implicit-def: $sgpr62
                                        ; implicit-def: $sgpr63
	s_inst_prefetch 0x1
	s_branch .LBB2_3925
	.p2align	6
.LBB2_3924:                             ;   in Loop: Header=BB2_3925 Depth=4
	s_or_b32 exec_lo, exec_lo, s74
	s_and_b32 s73, exec_lo, s75
	s_or_b32 s61, s73, s61
	s_andn2_b32 s62, s62, exec_lo
	s_and_b32 s73, s63, exec_lo
	s_or_b32 s62, s62, s73
	s_andn2_b32 exec_lo, exec_lo, s61
	s_cbranch_execz .LBB2_3929
.LBB2_3925:                             ;   Parent Loop BB2_47 Depth=1
                                        ;     Parent Loop BB2_3705 Depth=2
                                        ;       Parent Loop BB2_3891 Depth=3
                                        ; =>      This Inner Loop Header: Depth=4
	s_add_i32 s72, s72, 1
	s_cmpk_lg_i32 s72, 0x2710
	s_cselect_b32 s73, -1, 0
	s_and_b32 vcc_lo, exec_lo, s73
	s_cbranch_vccz .LBB2_3927
; %bb.3926:                             ;   in Loop: Header=BB2_3925 Depth=4
	s_mov_b32 s75, -1
	s_or_b32 s63, s63, exec_lo
	s_and_saveexec_b32 s74, s73
	s_cbranch_execz .LBB2_3924
	s_branch .LBB2_3928
	.p2align	6
.LBB2_3927:                             ;   in Loop: Header=BB2_3925 Depth=4
	s_trap 2
	ds_read_b64 v[8:9], v0
	s_andn2_b32 s73, s73, exec_lo
	s_mov_b32 s72, 0
	s_waitcnt lgkmcnt(0)
	flat_load_dword v8, v[8:9] glc dlc
	s_waitcnt vmcnt(0) lgkmcnt(0)
	buffer_gl1_inv
	buffer_gl0_inv
	v_cmp_eq_u32_e32 vcc_lo, 0, v8
	s_and_b32 s74, vcc_lo, exec_lo
	s_or_b32 s73, s73, s74
	s_mov_b32 s75, -1
	s_or_b32 s63, s63, exec_lo
	s_and_saveexec_b32 s74, s73
	s_cbranch_execz .LBB2_3924
.LBB2_3928:                             ;   in Loop: Header=BB2_3925 Depth=4
	s_sleep 1
	s_trap 2
	ds_read_b64 v[8:9], v0
	s_waitcnt lgkmcnt(0)
	buffer_gl0_inv
	s_andn2_b32 s63, s63, exec_lo
	v_cmp_ge_u64_e32 vcc_lo, v[8:9], v[28:29]
	s_orn2_b32 s75, vcc_lo, exec_lo
	s_branch .LBB2_3924
.LBB2_3929:                             ;   in Loop: Header=BB2_3891 Depth=3
	s_inst_prefetch 0x2
	s_or_b32 exec_lo, exec_lo, s61
	s_and_saveexec_b32 s61, s62
	s_xor_b32 s61, exec_lo, s61
	s_cbranch_execz .LBB2_3931
; %bb.3930:                             ;   in Loop: Header=BB2_3891 Depth=3
	ds_write_b32 v0, v98
	s_trap 2
.LBB2_3931:                             ;   in Loop: Header=BB2_3891 Depth=3
	s_or_b32 exec_lo, exec_lo, s23
	;;#ASMSTART
	s_wakeup
	;;#ASMEND
.LBB2_3932:                             ;   in Loop: Header=BB2_3891 Depth=3
	s_or_b32 exec_lo, exec_lo, s22
.LBB2_3933:                             ;   in Loop: Header=BB2_3891 Depth=3
	s_andn2_saveexec_b32 s19, s19
	s_cbranch_execz .LBB2_3935
; %bb.3934:                             ;   in Loop: Header=BB2_3891 Depth=3
	s_waitcnt vmcnt(0) lgkmcnt(0)
	s_waitcnt_vscnt null, 0x0
	buffer_gl1_inv
	buffer_gl0_inv
	s_barrier
.LBB2_3935:                             ;   in Loop: Header=BB2_3891 Depth=3
	s_or_b32 exec_lo, exec_lo, s19
.LBB2_3936:                             ;   in Loop: Header=BB2_3891 Depth=3
	s_or_b32 exec_lo, exec_lo, s16
	v_and_b32_e32 v8, 16, v84
	s_and_saveexec_b32 s16, s12
	s_xor_b32 s19, exec_lo, s16
	s_cbranch_execz .LBB2_3940
; %bb.3937:                             ;   in Loop: Header=BB2_3891 Depth=3
	s_trap 2
	ds_read_b32 v8, v0
	v_cmp_lt_i32_e32 vcc_lo, 0, v12
	s_waitcnt lgkmcnt(0)
	v_readfirstlane_b32 s16, v8
	v_and_b32_e32 v8, 16, v84
	s_cmp_eq_u32 s16, 0
	v_cmp_ne_u32_e64 s16, 0, v8
	s_cselect_b32 s22, -1, 0
	v_and_b32_e32 v8, 16, v84
	s_and_b32 s22, vcc_lo, s22
	s_and_b32 s22, s16, s22
	s_and_saveexec_b32 s16, s22
	s_cbranch_execz .LBB2_3939
; %bb.3938:                             ;   in Loop: Header=BB2_3891 Depth=3
	v_mov_b32_e32 v8, 1
	s_waitcnt vmcnt(0)
	s_waitcnt_vscnt null, 0x0
	buffer_gl1_inv
	buffer_gl0_inv
.LBB2_3939:                             ;   in Loop: Header=BB2_3891 Depth=3
	s_or_b32 exec_lo, exec_lo, s16
.LBB2_3940:                             ;   in Loop: Header=BB2_3891 Depth=3
	s_andn2_saveexec_b32 s16, s19
	s_cbranch_execz .LBB2_3959
; %bb.3941:                             ;   in Loop: Header=BB2_3891 Depth=3
	s_and_saveexec_b32 s19, s29
	s_xor_b32 s19, exec_lo, s19
	s_cbranch_execz .LBB2_3956
; %bb.3942:                             ;   in Loop: Header=BB2_3891 Depth=3
	s_and_saveexec_b32 s22, s11
	s_cbranch_execz .LBB2_3955
; %bb.3943:                             ;   in Loop: Header=BB2_3891 Depth=3
	s_mov_b32 s61, exec_lo
	s_mov_b32 s23, exec_lo
	v_mbcnt_lo_u32_b32 v9, s61, 0
	;;#ASMSTART
	s_waitcnt lgkmcnt(0) vmcnt(0)
	;;#ASMEND
	v_cmpx_eq_u32_e32 0, v9
	s_cbranch_execz .LBB2_3945
; %bb.3944:                             ;   in Loop: Header=BB2_3891 Depth=3
	s_bcnt1_i32_b32 s61, s61
	v_mov_b32_e32 v10, v2
	v_mov_b32_e32 v9, s61
	s_waitcnt vmcnt(0) lgkmcnt(0)
	s_waitcnt_vscnt null, 0x0
	ds_add_u64 v0, v[9:10]
	s_trap 2
.LBB2_3945:                             ;   in Loop: Header=BB2_3891 Depth=3
	s_or_b32 exec_lo, exec_lo, s23
	s_trap 2
	ds_read_b64 v[9:10], v0
	s_waitcnt vmcnt(0) lgkmcnt(0)
	buffer_gl0_inv
	v_add_co_u32 v28, vcc_lo, v28, v87
	v_add_co_ci_u32_e64 v29, null, 0, v29, vcc_lo
	s_mov_b32 s23, exec_lo
	v_cmpx_lt_u64_e64 v[9:10], v[28:29]
	s_cbranch_execz .LBB2_3954
; %bb.3946:                             ;   in Loop: Header=BB2_3891 Depth=3
	s_mov_b32 s61, 0
	s_mov_b32 s72, 0
                                        ; implicit-def: $sgpr62
                                        ; implicit-def: $sgpr63
	s_inst_prefetch 0x1
	s_branch .LBB2_3948
	.p2align	6
.LBB2_3947:                             ;   in Loop: Header=BB2_3948 Depth=4
	s_or_b32 exec_lo, exec_lo, s74
	s_and_b32 s73, exec_lo, s75
	s_or_b32 s61, s73, s61
	s_andn2_b32 s62, s62, exec_lo
	s_and_b32 s73, s63, exec_lo
	s_or_b32 s62, s62, s73
	s_andn2_b32 exec_lo, exec_lo, s61
	s_cbranch_execz .LBB2_3952
.LBB2_3948:                             ;   Parent Loop BB2_47 Depth=1
                                        ;     Parent Loop BB2_3705 Depth=2
                                        ;       Parent Loop BB2_3891 Depth=3
                                        ; =>      This Inner Loop Header: Depth=4
	s_add_i32 s72, s72, 1
	s_cmpk_lg_i32 s72, 0x2710
	s_cselect_b32 s73, -1, 0
	s_and_b32 vcc_lo, exec_lo, s73
	s_cbranch_vccz .LBB2_3950
; %bb.3949:                             ;   in Loop: Header=BB2_3948 Depth=4
	s_mov_b32 s75, -1
	s_or_b32 s63, s63, exec_lo
	s_and_saveexec_b32 s74, s73
	s_cbranch_execz .LBB2_3947
	s_branch .LBB2_3951
	.p2align	6
.LBB2_3950:                             ;   in Loop: Header=BB2_3948 Depth=4
	s_trap 2
	ds_read_b64 v[9:10], v0
	s_andn2_b32 s73, s73, exec_lo
	s_mov_b32 s72, 0
	s_waitcnt lgkmcnt(0)
	s_waitcnt_vscnt null, 0x0
	flat_load_dword v9, v[9:10] glc dlc
	s_waitcnt vmcnt(0) lgkmcnt(0)
	buffer_gl1_inv
	buffer_gl0_inv
	v_cmp_eq_u32_e32 vcc_lo, 0, v9
	s_and_b32 s74, vcc_lo, exec_lo
	s_or_b32 s73, s73, s74
	s_mov_b32 s75, -1
	s_or_b32 s63, s63, exec_lo
	s_and_saveexec_b32 s74, s73
	s_cbranch_execz .LBB2_3947
.LBB2_3951:                             ;   in Loop: Header=BB2_3948 Depth=4
	s_sleep 1
	s_trap 2
	ds_read_b64 v[9:10], v0
	s_waitcnt lgkmcnt(0)
	buffer_gl0_inv
	s_andn2_b32 s63, s63, exec_lo
	v_cmp_ge_u64_e32 vcc_lo, v[9:10], v[28:29]
	s_orn2_b32 s75, vcc_lo, exec_lo
	s_branch .LBB2_3947
.LBB2_3952:                             ;   in Loop: Header=BB2_3891 Depth=3
	s_inst_prefetch 0x2
	s_or_b32 exec_lo, exec_lo, s61
	s_and_saveexec_b32 s61, s62
	s_xor_b32 s61, exec_lo, s61
	s_cbranch_execz .LBB2_3954
; %bb.3953:                             ;   in Loop: Header=BB2_3891 Depth=3
	ds_write_b32 v0, v98
	s_trap 2
.LBB2_3954:                             ;   in Loop: Header=BB2_3891 Depth=3
	s_or_b32 exec_lo, exec_lo, s23
	;;#ASMSTART
	s_wakeup
	;;#ASMEND
.LBB2_3955:                             ;   in Loop: Header=BB2_3891 Depth=3
	s_or_b32 exec_lo, exec_lo, s22
.LBB2_3956:                             ;   in Loop: Header=BB2_3891 Depth=3
	s_andn2_saveexec_b32 s19, s19
	s_cbranch_execz .LBB2_3958
; %bb.3957:                             ;   in Loop: Header=BB2_3891 Depth=3
	;;#ASMSTART
	s_waitcnt lgkmcnt(0) vmcnt(0)
	;;#ASMEND
	s_barrier
.LBB2_3958:                             ;   in Loop: Header=BB2_3891 Depth=3
	s_or_b32 exec_lo, exec_lo, s19
.LBB2_3959:                             ;   in Loop: Header=BB2_3891 Depth=3
	s_or_b32 exec_lo, exec_lo, s16
	v_cmp_ne_u32_e32 vcc_lo, 0, v8
	s_xor_b32 s16, s7, -1
	s_and_b32 s19, vcc_lo, s16
	s_and_saveexec_b32 s16, s19
	s_cbranch_execz .LBB2_3961
; %bb.3960:                             ;   in Loop: Header=BB2_3891 Depth=3
	s_waitcnt vmcnt(0) lgkmcnt(0)
	s_waitcnt_vscnt null, 0x0
	flat_store_dword v[26:27], v98
.LBB2_3961:                             ;   in Loop: Header=BB2_3891 Depth=3
	s_or_b32 exec_lo, exec_lo, s16
	v_and_b32_e32 v8, 48, v84
	s_mov_b32 s16, exec_lo
	v_cmpx_ne_u32_e32 0, v8
	s_cbranch_execz .LBB2_3890
; %bb.3962:                             ;   in Loop: Header=BB2_3891 Depth=3
	v_add_co_u32 v50, vcc_lo, v50, 2
	v_add_co_ci_u32_e64 v51, null, 0, v51, vcc_lo
	s_waitcnt vmcnt(0) lgkmcnt(0)
	s_waitcnt_vscnt null, 0x0
	flat_store_dwordx2 v[22:23], v[50:51]
	s_branch .LBB2_3890
.LBB2_3963:                             ;   in Loop: Header=BB2_3705 Depth=2
	s_or_b32 exec_lo, exec_lo, s18
.LBB2_3964:                             ;   in Loop: Header=BB2_3705 Depth=2
	s_or_b32 exec_lo, exec_lo, s17
	s_add_i32 s16, s21, 1
	s_cmp_eq_u32 s21, s56
	s_cbranch_scc1 .LBB2_3966
; %bb.3965:                             ;   in Loop: Header=BB2_3705 Depth=2
	s_mov_b32 s21, s16
	s_branch .LBB2_3705
.LBB2_3966:                             ;   in Loop: Header=BB2_47 Depth=1
	v_mul_lo_u32 v3, v49, s58
	v_mul_lo_u32 v10, v48, s59
	v_mad_u64_u32 v[8:9], null, v48, s58, 0
	v_mov_b32_e32 v15, 0
	v_add3_u32 v9, v9, v10, v3
	v_sub_co_u32 v10, vcc_lo, v52, v8
	v_sub_co_ci_u32_e64 v11, null, v53, v9, vcc_lo
	v_cmp_lt_i64_e32 vcc_lo, v[48:49], v[10:11]
	v_cndmask_b32_e32 v11, v10, v48, vcc_lo
	v_max_i32_e32 v3, 0, v11
	v_cmp_lt_i32_e32 vcc_lo, 0, v11
	v_add_nc_u32_e32 v10, 31, v3
	s_and_b32 s16, s57, vcc_lo
	v_lshrrev_b32_e32 v10, 1, v10
	v_and_b32_e32 v12, 0x3ffffff0, v10
	v_mov_b32_e32 v10, 0
	v_max_i32_e32 v14, s45, v12
	s_and_saveexec_b32 s18, s16
	s_cbranch_execz .LBB2_4106
; %bb.3967:                             ;   in Loop: Header=BB2_47 Depth=1
	v_add_co_u32 v52, vcc_lo, v8, v58
	v_add_co_ci_u32_e64 v53, null, v9, v59, vcc_lo
	v_mov_b32_e32 v15, 0
	s_mov_b32 s22, 1
	s_mov_b32 s21, -1
	s_mov_b32 s19, 0
	s_branch .LBB2_3969
.LBB2_3968:                             ;   in Loop: Header=BB2_3969 Depth=2
	s_or_b32 exec_lo, exec_lo, s16
	v_add_nc_u32_e32 v15, v14, v15
	s_xor_b32 s16, s21, -1
	v_mov_b32_e32 v10, s22
	s_mov_b32 s21, 0
	s_mov_b32 s22, 2
	v_cmp_ge_i32_e32 vcc_lo, v15, v3
	s_or_b32 s16, s16, vcc_lo
	s_and_b32 s16, exec_lo, s16
	s_or_b32 s19, s16, s19
	s_andn2_b32 exec_lo, exec_lo, s19
	s_cbranch_execz .LBB2_4105
.LBB2_3969:                             ;   Parent Loop BB2_47 Depth=1
                                        ; =>  This Loop Header: Depth=2
                                        ;       Child Loop BB2_3977 Depth 3
                                        ;       Child Loop BB2_4001 Depth 3
                                        ;       Child Loop BB2_4020 Depth 3
                                        ;       Child Loop BB2_4046 Depth 3
                                        ;       Child Loop BB2_4051 Depth 3
                                        ;       Child Loop BB2_4059 Depth 3
                                        ;       Child Loop BB2_4064 Depth 3
                                        ;       Child Loop BB2_4073 Depth 3
                                        ;       Child Loop BB2_4092 Depth 3
	s_and_saveexec_b32 s17, s4
	s_cbranch_execz .LBB2_3971
; %bb.3970:                             ;   in Loop: Header=BB2_3969 Depth=2
	s_trap 2
	ds_read_b128 v[8:11], v0
	v_ashrrev_i32_e32 v12, 31, v15
	s_waitcnt lgkmcnt(0)
	v_add_co_u32 v13, vcc_lo, v10, v52
	v_add_co_ci_u32_e64 v54, null, v11, v53, vcc_lo
	v_add_co_u32 v8, vcc_lo, v8, v52
	v_add_co_ci_u32_e64 v9, null, v9, v53, vcc_lo
	;; [unrolled: 2-line block ×3, first 2 shown]
	v_cmp_ne_u64_e32 vcc_lo, 0, v[10:11]
	v_add_co_u32 v8, s16, v8, v15
	v_add_co_ci_u32_e64 v9, null, v9, v12, s16
	v_cndmask_b32_e32 v11, 0, v54, vcc_lo
	v_cndmask_b32_e32 v10, 0, v13, vcc_lo
	ds_write_b64 v0, v[8:9]
	ds_write_b64 v0, v[10:11]
.LBB2_3971:                             ;   in Loop: Header=BB2_3969 Depth=2
	s_or_b32 exec_lo, exec_lo, s17
	v_and_b32_e32 v8, 4, v84
	s_mov_b32 s17, exec_lo
	v_cmpx_ne_u32_e32 0, v8
	s_cbranch_execz .LBB2_3993
; %bb.3972:                             ;   in Loop: Header=BB2_3969 Depth=2
	v_add_co_u32 v8, vcc_lo, v50, 2
	v_add_co_ci_u32_e64 v9, null, 0, v51, vcc_lo
	s_mov_b32 s23, exec_lo
	s_waitcnt vmcnt(0) lgkmcnt(1)
	v_cmpx_lt_u64_e64 v[32:33], v[8:9]
	s_cbranch_execz .LBB2_3984
; %bb.3973:                             ;   in Loop: Header=BB2_3969 Depth=2
	v_and_b32_e32 v10, 64, v84
	s_mov_b32 s61, 0
	s_mov_b32 s73, 0
                                        ; implicit-def: $sgpr62
                                        ; implicit-def: $sgpr63
                                        ; implicit-def: $sgpr72
	v_cmp_eq_u32_e32 vcc_lo, 0, v10
	s_branch .LBB2_3977
.LBB2_3974:                             ;   in Loop: Header=BB2_3977 Depth=3
	s_waitcnt vmcnt(0) lgkmcnt(0)
	v_cmp_ge_u64_e64 s16, v[32:33], v[8:9]
	s_or_b32 s76, s76, exec_lo
	s_orn2_b32 s75, s16, exec_lo
.LBB2_3975:                             ;   in Loop: Header=BB2_3977 Depth=3
	s_or_b32 exec_lo, exec_lo, s78
	s_andn2_b32 s16, s72, exec_lo
	s_and_b32 s72, s76, exec_lo
	s_andn2_b32 s63, s63, exec_lo
	s_and_b32 s75, s75, exec_lo
	s_or_b32 s72, s16, s72
	s_or_b32 s63, s63, s75
.LBB2_3976:                             ;   in Loop: Header=BB2_3977 Depth=3
	s_or_b32 exec_lo, exec_lo, s74
	s_and_b32 s16, exec_lo, s63
	s_or_b32 s61, s16, s61
	s_andn2_b32 s16, s62, exec_lo
	s_and_b32 s62, s72, exec_lo
	s_or_b32 s62, s16, s62
	s_andn2_b32 exec_lo, exec_lo, s61
	s_cbranch_execz .LBB2_3981
.LBB2_3977:                             ;   Parent Loop BB2_47 Depth=1
                                        ;     Parent Loop BB2_3969 Depth=2
                                        ; =>    This Inner Loop Header: Depth=3
	s_sleep 1
	s_waitcnt vmcnt(0) lgkmcnt(0)
	flat_load_dwordx2 v[32:33], v[22:23] glc dlc
	s_or_b32 s72, s72, exec_lo
	s_or_b32 s63, s63, exec_lo
                                        ; implicit-def: $vgpr10
	s_and_saveexec_b32 s74, vcc_lo
	s_cbranch_execz .LBB2_3976
; %bb.3978:                             ;   in Loop: Header=BB2_3977 Depth=3
	s_cmpk_lt_i32 s73, 0x270f
	s_mov_b32 s75, -1
	s_cselect_b32 s77, -1, 0
	s_cmpk_gt_i32 s73, 0x270e
	s_cbranch_scc0 .LBB2_3980
; %bb.3979:                             ;   in Loop: Header=BB2_3977 Depth=3
	s_trap 2
	ds_read_b64 v[10:11], v0
	s_andn2_b32 s73, s77, exec_lo
	s_mov_b32 s76, 0
	s_waitcnt vmcnt(0) lgkmcnt(0)
	s_waitcnt_vscnt null, 0x0
	flat_load_dword v10, v[10:11] glc dlc
	s_waitcnt vmcnt(0) lgkmcnt(0)
	buffer_gl1_inv
	buffer_gl0_inv
	v_cmp_eq_u32_e64 s16, 0, v10
	s_and_b32 s16, s16, exec_lo
	s_or_b32 s77, s73, s16
	s_mov_b32 s73, 0
	s_and_saveexec_b32 s78, s77
	s_cbranch_execz .LBB2_3975
	s_branch .LBB2_3974
.LBB2_3980:                             ;   in Loop: Header=BB2_3977 Depth=3
	s_add_i32 s73, s73, 1
	s_mov_b32 s76, -1
                                        ; implicit-def: $vgpr10
	s_and_saveexec_b32 s78, s77
	s_cbranch_execz .LBB2_3975
	s_branch .LBB2_3974
.LBB2_3981:                             ;   in Loop: Header=BB2_3969 Depth=2
	s_or_b32 exec_lo, exec_lo, s61
	s_xor_b32 s16, s62, -1
	s_and_saveexec_b32 s61, s16
	s_xor_b32 s16, exec_lo, s61
	s_cbranch_execz .LBB2_3983
; %bb.3982:                             ;   in Loop: Header=BB2_3969 Depth=2
	v_or_b32_e32 v84, 64, v84
	s_waitcnt vmcnt(0) lgkmcnt(0)
	s_waitcnt_vscnt null, 0x0
	ds_write_b32 v0, v10
	s_trap 2
.LBB2_3983:                             ;   in Loop: Header=BB2_3969 Depth=2
	s_or_b32 exec_lo, exec_lo, s16
.LBB2_3984:                             ;   in Loop: Header=BB2_3969 Depth=2
	s_or_b32 exec_lo, exec_lo, s23
	v_and_b32_e32 v10, 0x100, v84
	v_and_b32_e32 v50, 7, v50
	s_mov_b32 s16, -1
	;;#ASMSTART
	s_wakeup
	;;#ASMEND
	v_cmp_ne_u32_e32 vcc_lo, 0, v10
                                        ; implicit-def: $vgpr10_vgpr11
	s_and_saveexec_b32 s23, vcc_lo
	s_cbranch_execz .LBB2_3988
; %bb.3985:                             ;   in Loop: Header=BB2_3969 Depth=2
	v_mad_u64_u32 v[12:13], null, v50, 24, v[6:7]
	flat_load_dword v10, v[12:13]
	s_waitcnt vmcnt(0) lgkmcnt(0)
	v_cmp_eq_u32_e64 s16, 1, v10
	v_cmp_ne_u32_e32 vcc_lo, 1, v10
                                        ; implicit-def: $vgpr10_vgpr11
	s_and_saveexec_b32 s61, s16
	s_cbranch_execz .LBB2_3987
; %bb.3986:                             ;   in Loop: Header=BB2_3969 Depth=2
	flat_load_dword v10, v[12:13] offset:4 glc dlc
	s_waitcnt vmcnt(0) lgkmcnt(0)
	v_ashrrev_i32_e32 v11, 31, v10
.LBB2_3987:                             ;   in Loop: Header=BB2_3969 Depth=2
	s_or_b32 exec_lo, exec_lo, s61
	s_orn2_b32 s16, vcc_lo, exec_lo
.LBB2_3988:                             ;   in Loop: Header=BB2_3969 Depth=2
	s_or_b32 exec_lo, exec_lo, s23
	s_and_saveexec_b32 s23, s16
; %bb.3989:                             ;   in Loop: Header=BB2_3969 Depth=2
	v_mad_i64_i32 v[10:11], null, v50, v85, 0
; %bb.3990:                             ;   in Loop: Header=BB2_3969 Depth=2
	s_or_b32 exec_lo, exec_lo, s23
	v_add_co_u32 v10, vcc_lo, v24, v10
	v_and_b32_e32 v12, 0x2000, v84
	v_add_co_ci_u32_e64 v11, null, v25, v11, vcc_lo
	s_mov_b32 s16, exec_lo
	ds_write_b64 v0, v[10:11] offset:720
	v_cmpx_ne_u32_e32 0, v12
	s_cbranch_execz .LBB2_3992
; %bb.3991:                             ;   in Loop: Header=BB2_3969 Depth=2
	ds_read_b64 v[10:11], v0 offset:872
	s_waitcnt lgkmcnt(0)
	v_add_co_u32 v10, vcc_lo, v10, 1
	v_add_co_ci_u32_e64 v11, null, 0, v11, vcc_lo
	ds_write_b64 v0, v[10:11] offset:872
.LBB2_3992:                             ;   in Loop: Header=BB2_3969 Depth=2
	s_or_b32 exec_lo, exec_lo, s16
	v_mov_b32_e32 v51, v9
	v_mov_b32_e32 v50, v8
.LBB2_3993:                             ;   in Loop: Header=BB2_3969 Depth=2
	s_or_b32 exec_lo, exec_lo, s17
	s_and_saveexec_b32 s16, s6
	s_cbranch_execz .LBB2_4012
; %bb.3994:                             ;   in Loop: Header=BB2_3969 Depth=2
	s_and_saveexec_b32 s17, s29
	s_xor_b32 s17, exec_lo, s17
	s_cbranch_execz .LBB2_4009
; %bb.3995:                             ;   in Loop: Header=BB2_3969 Depth=2
	s_and_saveexec_b32 s23, s11
	s_cbranch_execz .LBB2_4008
; %bb.3996:                             ;   in Loop: Header=BB2_3969 Depth=2
	s_mov_b32 s62, exec_lo
	s_mov_b32 s61, exec_lo
	v_mbcnt_lo_u32_b32 v8, s62, 0
	s_waitcnt vmcnt(0) lgkmcnt(0)
	s_waitcnt_vscnt null, 0x0
	buffer_gl1_inv
	buffer_gl0_inv
	v_cmpx_eq_u32_e32 0, v8
	s_cbranch_execz .LBB2_3998
; %bb.3997:                             ;   in Loop: Header=BB2_3969 Depth=2
	s_bcnt1_i32_b32 s62, s62
	v_mov_b32_e32 v9, v2
	v_mov_b32_e32 v8, s62
	ds_add_u64 v0, v[8:9]
	s_trap 2
.LBB2_3998:                             ;   in Loop: Header=BB2_3969 Depth=2
	s_or_b32 exec_lo, exec_lo, s61
	s_trap 2
	ds_read_b64 v[8:9], v0
	s_waitcnt lgkmcnt(0)
	buffer_gl0_inv
	v_add_co_u32 v28, vcc_lo, v28, v87
	v_add_co_ci_u32_e64 v29, null, 0, v29, vcc_lo
	s_mov_b32 s61, exec_lo
	v_cmpx_lt_u64_e64 v[8:9], v[28:29]
	s_cbranch_execz .LBB2_4007
; %bb.3999:                             ;   in Loop: Header=BB2_3969 Depth=2
	s_mov_b32 s62, 0
	s_mov_b32 s73, 0
                                        ; implicit-def: $sgpr63
                                        ; implicit-def: $sgpr72
	s_inst_prefetch 0x1
	s_branch .LBB2_4001
	.p2align	6
.LBB2_4000:                             ;   in Loop: Header=BB2_4001 Depth=3
	s_or_b32 exec_lo, exec_lo, s75
	s_and_b32 s74, exec_lo, s76
	s_or_b32 s62, s74, s62
	s_andn2_b32 s63, s63, exec_lo
	s_and_b32 s74, s72, exec_lo
	s_or_b32 s63, s63, s74
	s_andn2_b32 exec_lo, exec_lo, s62
	s_cbranch_execz .LBB2_4005
.LBB2_4001:                             ;   Parent Loop BB2_47 Depth=1
                                        ;     Parent Loop BB2_3969 Depth=2
                                        ; =>    This Inner Loop Header: Depth=3
	s_add_i32 s73, s73, 1
	s_cmpk_lg_i32 s73, 0x2710
	s_cselect_b32 s74, -1, 0
	s_and_b32 vcc_lo, exec_lo, s74
	s_cbranch_vccz .LBB2_4003
; %bb.4002:                             ;   in Loop: Header=BB2_4001 Depth=3
	s_mov_b32 s76, -1
	s_or_b32 s72, s72, exec_lo
	s_and_saveexec_b32 s75, s74
	s_cbranch_execz .LBB2_4000
	s_branch .LBB2_4004
	.p2align	6
.LBB2_4003:                             ;   in Loop: Header=BB2_4001 Depth=3
	s_trap 2
	ds_read_b64 v[8:9], v0
	s_andn2_b32 s74, s74, exec_lo
	s_mov_b32 s73, 0
	s_waitcnt lgkmcnt(0)
	flat_load_dword v8, v[8:9] glc dlc
	s_waitcnt vmcnt(0) lgkmcnt(0)
	buffer_gl1_inv
	buffer_gl0_inv
	v_cmp_eq_u32_e32 vcc_lo, 0, v8
	s_and_b32 s75, vcc_lo, exec_lo
	s_or_b32 s74, s74, s75
	s_mov_b32 s76, -1
	s_or_b32 s72, s72, exec_lo
	s_and_saveexec_b32 s75, s74
	s_cbranch_execz .LBB2_4000
.LBB2_4004:                             ;   in Loop: Header=BB2_4001 Depth=3
	s_sleep 1
	s_trap 2
	ds_read_b64 v[8:9], v0
	s_waitcnt lgkmcnt(0)
	buffer_gl0_inv
	s_andn2_b32 s72, s72, exec_lo
	v_cmp_ge_u64_e32 vcc_lo, v[8:9], v[28:29]
	s_orn2_b32 s76, vcc_lo, exec_lo
	s_branch .LBB2_4000
.LBB2_4005:                             ;   in Loop: Header=BB2_3969 Depth=2
	s_inst_prefetch 0x2
	s_or_b32 exec_lo, exec_lo, s62
	s_and_saveexec_b32 s62, s63
	s_xor_b32 s62, exec_lo, s62
	s_cbranch_execz .LBB2_4007
; %bb.4006:                             ;   in Loop: Header=BB2_3969 Depth=2
	ds_write_b32 v0, v98
	s_trap 2
.LBB2_4007:                             ;   in Loop: Header=BB2_3969 Depth=2
	s_or_b32 exec_lo, exec_lo, s61
	;;#ASMSTART
	s_wakeup
	;;#ASMEND
.LBB2_4008:                             ;   in Loop: Header=BB2_3969 Depth=2
	s_or_b32 exec_lo, exec_lo, s23
.LBB2_4009:                             ;   in Loop: Header=BB2_3969 Depth=2
	s_andn2_saveexec_b32 s17, s17
	s_cbranch_execz .LBB2_4011
; %bb.4010:                             ;   in Loop: Header=BB2_3969 Depth=2
	s_waitcnt vmcnt(0) lgkmcnt(0)
	s_waitcnt_vscnt null, 0x0
	buffer_gl1_inv
	buffer_gl0_inv
	s_barrier
.LBB2_4011:                             ;   in Loop: Header=BB2_3969 Depth=2
	s_or_b32 exec_lo, exec_lo, s17
.LBB2_4012:                             ;   in Loop: Header=BB2_3969 Depth=2
	s_or_b32 exec_lo, exec_lo, s16
	s_trap 2
	ds_read_b32 v12, v0
	v_and_b32_e32 v8, 0x4000, v84
	s_xor_b32 s16, s5, -1
	v_cmp_ne_u32_e32 vcc_lo, 0, v8
	s_and_b32 s17, s16, vcc_lo
	s_and_saveexec_b32 s16, s17
	s_cbranch_execz .LBB2_4031
; %bb.4013:                             ;   in Loop: Header=BB2_3969 Depth=2
	s_and_saveexec_b32 s17, s29
	s_xor_b32 s17, exec_lo, s17
	s_cbranch_execz .LBB2_4028
; %bb.4014:                             ;   in Loop: Header=BB2_3969 Depth=2
	s_and_saveexec_b32 s23, s11
	s_cbranch_execz .LBB2_4027
; %bb.4015:                             ;   in Loop: Header=BB2_3969 Depth=2
	s_mov_b32 s62, exec_lo
	s_mov_b32 s61, exec_lo
	v_mbcnt_lo_u32_b32 v8, s62, 0
	s_waitcnt vmcnt(0) lgkmcnt(0)
	s_waitcnt_vscnt null, 0x0
	buffer_gl1_inv
	buffer_gl0_inv
	v_cmpx_eq_u32_e32 0, v8
	s_cbranch_execz .LBB2_4017
; %bb.4016:                             ;   in Loop: Header=BB2_3969 Depth=2
	s_bcnt1_i32_b32 s62, s62
	v_mov_b32_e32 v9, v2
	v_mov_b32_e32 v8, s62
	ds_add_u64 v0, v[8:9]
	s_trap 2
.LBB2_4017:                             ;   in Loop: Header=BB2_3969 Depth=2
	s_or_b32 exec_lo, exec_lo, s61
	s_trap 2
	ds_read_b64 v[8:9], v0
	s_waitcnt lgkmcnt(0)
	buffer_gl0_inv
	v_add_co_u32 v28, vcc_lo, v28, v87
	v_add_co_ci_u32_e64 v29, null, 0, v29, vcc_lo
	s_mov_b32 s61, exec_lo
	v_cmpx_lt_u64_e64 v[8:9], v[28:29]
	s_cbranch_execz .LBB2_4026
; %bb.4018:                             ;   in Loop: Header=BB2_3969 Depth=2
	s_mov_b32 s62, 0
	s_mov_b32 s73, 0
                                        ; implicit-def: $sgpr63
                                        ; implicit-def: $sgpr72
	s_inst_prefetch 0x1
	s_branch .LBB2_4020
	.p2align	6
.LBB2_4019:                             ;   in Loop: Header=BB2_4020 Depth=3
	s_or_b32 exec_lo, exec_lo, s75
	s_and_b32 s74, exec_lo, s76
	s_or_b32 s62, s74, s62
	s_andn2_b32 s63, s63, exec_lo
	s_and_b32 s74, s72, exec_lo
	s_or_b32 s63, s63, s74
	s_andn2_b32 exec_lo, exec_lo, s62
	s_cbranch_execz .LBB2_4024
.LBB2_4020:                             ;   Parent Loop BB2_47 Depth=1
                                        ;     Parent Loop BB2_3969 Depth=2
                                        ; =>    This Inner Loop Header: Depth=3
	s_add_i32 s73, s73, 1
	s_cmpk_lg_i32 s73, 0x2710
	s_cselect_b32 s74, -1, 0
	s_and_b32 vcc_lo, exec_lo, s74
	s_cbranch_vccz .LBB2_4022
; %bb.4021:                             ;   in Loop: Header=BB2_4020 Depth=3
	s_mov_b32 s76, -1
	s_or_b32 s72, s72, exec_lo
	s_and_saveexec_b32 s75, s74
	s_cbranch_execz .LBB2_4019
	s_branch .LBB2_4023
	.p2align	6
.LBB2_4022:                             ;   in Loop: Header=BB2_4020 Depth=3
	s_trap 2
	ds_read_b64 v[8:9], v0
	s_andn2_b32 s74, s74, exec_lo
	s_mov_b32 s73, 0
	s_waitcnt lgkmcnt(0)
	flat_load_dword v8, v[8:9] glc dlc
	s_waitcnt vmcnt(0) lgkmcnt(0)
	buffer_gl1_inv
	buffer_gl0_inv
	v_cmp_eq_u32_e32 vcc_lo, 0, v8
	s_and_b32 s75, vcc_lo, exec_lo
	s_or_b32 s74, s74, s75
	s_mov_b32 s76, -1
	s_or_b32 s72, s72, exec_lo
	s_and_saveexec_b32 s75, s74
	s_cbranch_execz .LBB2_4019
.LBB2_4023:                             ;   in Loop: Header=BB2_4020 Depth=3
	s_sleep 1
	s_trap 2
	ds_read_b64 v[8:9], v0
	s_waitcnt lgkmcnt(0)
	buffer_gl0_inv
	s_andn2_b32 s72, s72, exec_lo
	v_cmp_ge_u64_e32 vcc_lo, v[8:9], v[28:29]
	s_orn2_b32 s76, vcc_lo, exec_lo
	s_branch .LBB2_4019
.LBB2_4024:                             ;   in Loop: Header=BB2_3969 Depth=2
	s_inst_prefetch 0x2
	s_or_b32 exec_lo, exec_lo, s62
	s_and_saveexec_b32 s62, s63
	s_xor_b32 s62, exec_lo, s62
	s_cbranch_execz .LBB2_4026
; %bb.4025:                             ;   in Loop: Header=BB2_3969 Depth=2
	ds_write_b32 v0, v98
	s_trap 2
.LBB2_4026:                             ;   in Loop: Header=BB2_3969 Depth=2
	s_or_b32 exec_lo, exec_lo, s61
	;;#ASMSTART
	s_wakeup
	;;#ASMEND
.LBB2_4027:                             ;   in Loop: Header=BB2_3969 Depth=2
	s_or_b32 exec_lo, exec_lo, s23
.LBB2_4028:                             ;   in Loop: Header=BB2_3969 Depth=2
	s_andn2_saveexec_b32 s17, s17
	s_cbranch_execz .LBB2_4030
; %bb.4029:                             ;   in Loop: Header=BB2_3969 Depth=2
	s_waitcnt vmcnt(0) lgkmcnt(0)
	s_waitcnt_vscnt null, 0x0
	buffer_gl1_inv
	buffer_gl0_inv
	s_barrier
.LBB2_4030:                             ;   in Loop: Header=BB2_3969 Depth=2
	s_or_b32 exec_lo, exec_lo, s17
.LBB2_4031:                             ;   in Loop: Header=BB2_3969 Depth=2
	s_or_b32 exec_lo, exec_lo, s16
	s_trap 2
	ds_read_b64 v[8:9], v0
	v_sub_nc_u32_e32 v10, v3, v15
	v_min_i32_e32 v14, v14, v10
	s_waitcnt lgkmcnt(0)
	v_cmp_eq_u64_e32 vcc_lo, 0, v[8:9]
	s_cbranch_vccnz .LBB2_4039
; %bb.4032:                             ;   in Loop: Header=BB2_3969 Depth=2
	s_trap 2
	ds_read_b64 v[10:11], v0
	s_waitcnt lgkmcnt(0)
	v_cmp_eq_u64_e32 vcc_lo, 0, v[10:11]
	s_cbranch_vccnz .LBB2_4039
; %bb.4033:                             ;   in Loop: Header=BB2_3969 Depth=2
	s_mov_b32 s16, -1
	s_and_saveexec_b32 s17, s14
	s_cbranch_execz .LBB2_4035
; %bb.4034:                             ;   in Loop: Header=BB2_3969 Depth=2
	ds_read_b32 v13, v0 offset:720
	s_waitcnt lgkmcnt(0)
	v_and_b32_e32 v13, 15, v13
	v_cmp_eq_u32_e32 vcc_lo, 0, v13
	s_orn2_b32 s16, vcc_lo, exec_lo
.LBB2_4035:                             ;   in Loop: Header=BB2_3969 Depth=2
	s_or_b32 exec_lo, exec_lo, s17
	s_and_saveexec_b32 s17, s13
	s_cbranch_execz .LBB2_4037
; %bb.4036:                             ;   in Loop: Header=BB2_3969 Depth=2
	ds_read_b32 v13, v0 offset:784
	s_waitcnt lgkmcnt(0)
	v_and_b32_e32 v13, 15, v13
	v_cmp_eq_u32_e32 vcc_lo, 0, v13
	s_and_b32 s23, s16, vcc_lo
	s_andn2_b32 s16, s16, exec_lo
	s_and_b32 s23, s23, exec_lo
	s_or_b32 s16, s16, s23
.LBB2_4037:                             ;   in Loop: Header=BB2_3969 Depth=2
	s_or_b32 exec_lo, exec_lo, s17
	v_cmp_eq_u32_e32 vcc_lo, 0, v12
	s_xor_b32 s16, s16, -1
	v_mov_b32_e32 v12, 0
	v_cndmask_b32_e64 v13, 0, 1, s16
	v_mov_b32_e32 v55, v0
	v_cndmask_b32_e32 v54, 0, v14, vcc_lo
	v_mov_b32_e32 v69, v42
	s_mov_b32 s16, -1
	v_cmp_ne_u32_e32 vcc_lo, 0, v13
	v_mov_b32_e32 v13, v54
	s_cbranch_vccz .LBB2_4044
; %bb.4038:                             ;   in Loop: Header=BB2_3969 Depth=2
	s_and_saveexec_b32 s17, s16
	s_cbranch_execnz .LBB2_4057
	s_branch .LBB2_4065
.LBB2_4039:                             ;   in Loop: Header=BB2_3969 Depth=2
	s_mov_b32 s16, 0
	s_and_saveexec_b32 s17, s6
	s_cbranch_execnz .LBB2_4066
.LBB2_4040:                             ;   in Loop: Header=BB2_3969 Depth=2
	s_or_b32 exec_lo, exec_lo, s17
	s_and_saveexec_b32 s17, s12
	s_xor_b32 s17, exec_lo, s17
	s_cbranch_execz .LBB2_4084
.LBB2_4041:                             ;   in Loop: Header=BB2_3969 Depth=2
	v_and_b32_e32 v8, 16, v84
	v_cmp_ne_u32_e32 vcc_lo, 0, v8
	s_and_b32 s23, vcc_lo, s16
	s_and_saveexec_b32 s16, s23
	s_cbranch_execz .LBB2_4043
; %bb.4042:                             ;   in Loop: Header=BB2_3969 Depth=2
	s_waitcnt vmcnt(0) lgkmcnt(0)
	s_waitcnt_vscnt null, 0x0
	buffer_gl1_inv
	buffer_gl0_inv
.LBB2_4043:                             ;   in Loop: Header=BB2_3969 Depth=2
	s_or_b32 exec_lo, exec_lo, s16
	s_andn2_saveexec_b32 s16, s17
	s_cbranch_execz .LBB2_4103
	s_branch .LBB2_4085
.LBB2_4044:                             ;   in Loop: Header=BB2_3969 Depth=2
	v_ashrrev_i32_e32 v12, 31, v54
	s_mov_b32 s17, exec_lo
	v_lshrrev_b32_e32 v12, 22, v12
	v_add_nc_u32_e32 v12, v54, v12
	v_ashrrev_i32_e32 v55, 10, v12
	v_sub_nc_u32_e32 v65, v55, v42
	v_cmpx_lt_i32_e32 0, v65
	s_cbranch_execz .LBB2_4048
; %bb.4045:                             ;   in Loop: Header=BB2_3969 Depth=2
	v_mov_b32_e32 v12, v38
	v_mov_b32_e32 v13, v39
	s_mov_b32 s23, 0
	.p2align	6
.LBB2_4046:                             ;   Parent Loop BB2_47 Depth=1
                                        ;     Parent Loop BB2_3969 Depth=2
                                        ; =>    This Inner Loop Header: Depth=3
	v_add_co_u32 v70, vcc_lo, v8, v12
	v_add_co_ci_u32_e64 v71, null, v9, v13, vcc_lo
	v_sub_nc_u32_e32 v65, v65, v87
	s_clause 0x1
	global_load_dwordx4 v[66:69], v[70:71], off slc
	global_load_dwordx4 v[80:83], v[70:71], off offset:512 slc
	v_add_co_u32 v70, vcc_lo, v10, v12
	v_add_co_ci_u32_e64 v71, null, v11, v13, vcc_lo
	v_cmp_gt_i32_e32 vcc_lo, 1, v65
	v_add_co_u32 v12, s16, v12, v115
	v_add_co_ci_u32_e64 v13, null, 0, v13, s16
	s_or_b32 s23, vcc_lo, s23
	s_waitcnt vmcnt(1)
	global_store_dwordx4 v[70:71], v[66:69], off glc slc
	s_waitcnt vmcnt(0)
	global_store_dwordx4 v[70:71], v[80:83], off offset:512 glc slc
	s_andn2_b32 exec_lo, exec_lo, s23
	s_cbranch_execnz .LBB2_4046
; %bb.4047:                             ;   in Loop: Header=BB2_3969 Depth=2
	s_or_b32 exec_lo, exec_lo, s23
.LBB2_4048:                             ;   in Loop: Header=BB2_3969 Depth=2
	s_or_b32 exec_lo, exec_lo, s17
	v_lshlrev_b32_e32 v64, 10, v55
	v_mov_b32_e32 v12, 0
	s_mov_b32 s16, 0
	s_mov_b32 s23, exec_lo
                                        ; implicit-def: $vgpr13
                                        ; implicit-def: $vgpr55
                                        ; implicit-def: $vgpr69
	v_cmpx_ne_u32_e64 v54, v64
	s_cbranch_execz .LBB2_4056
; %bb.4049:                             ;   in Loop: Header=BB2_3969 Depth=2
	v_lshlrev_b32_e32 v12, 5, v65
	v_sub_nc_u32_e32 v55, v54, v64
	s_mov_b32 s61, exec_lo
	v_sub_nc_u32_e32 v12, v46, v12
	v_ashrrev_i32_e32 v65, 31, v55
	v_ashrrev_i32_e32 v13, 31, v12
	v_lshrrev_b32_e32 v65, 23, v65
	v_lshrrev_b32_e32 v13, 27, v13
	v_add_nc_u32_e32 v68, v55, v65
	v_add_nc_u32_e32 v13, v12, v13
	v_and_b32_e32 v65, 0xfffffe00, v68
	v_ashrrev_i32_e32 v68, 9, v68
	v_and_b32_e32 v66, 0xffffffe0, v13
	v_sub_nc_u32_e32 v67, v55, v65
	v_ashrrev_i32_e32 v69, 5, v13
	v_sub_nc_u32_e32 v66, v12, v66
	v_cmp_lt_i32_e32 vcc_lo, 15, v67
	v_lshlrev_b32_e32 v12, 4, v66
	v_add_co_ci_u32_e64 v68, null, 0, v68, vcc_lo
	v_lshl_add_u32 v13, v69, 9, v12
	v_sub_nc_u32_e32 v68, v68, v69
	v_sub_nc_u32_e32 v12, v55, v13
	v_cmpx_lt_i32_e32 15, v12
	s_cbranch_execz .LBB2_4053
; %bb.4050:                             ;   in Loop: Header=BB2_3969 Depth=2
	v_add_nc_u32_e32 v13, v13, v64
	s_mov_b32 s62, 0
	v_ashrrev_i32_e32 v55, 31, v13
	.p2align	6
.LBB2_4051:                             ;   Parent Loop BB2_47 Depth=1
                                        ;     Parent Loop BB2_3969 Depth=2
                                        ; =>    This Inner Loop Header: Depth=3
	v_add_co_u32 v69, s16, v8, v13
	v_add_co_ci_u32_e64 v70, null, v9, v55, s16
	v_sub_nc_u32_e32 v12, v12, v116
	v_sub_nc_u32_e32 v68, v68, v87
	global_load_dwordx4 v[80:83], v[69:70], off slc
	v_add_co_u32 v69, s16, v10, v13
	v_add_co_ci_u32_e64 v70, null, v11, v55, s16
	v_cmp_gt_i32_e64 s16, 16, v12
	v_add_co_u32 v13, s17, v13, v116
	v_add_co_ci_u32_e64 v55, null, 0, v55, s17
	s_or_b32 s62, s16, s62
	s_waitcnt vmcnt(0)
	global_store_dwordx4 v[69:70], v[80:83], off glc slc
	s_andn2_b32 exec_lo, exec_lo, s62
	s_cbranch_execnz .LBB2_4051
; %bb.4052:                             ;   in Loop: Header=BB2_3969 Depth=2
	s_or_b32 exec_lo, exec_lo, s62
.LBB2_4053:                             ;   in Loop: Header=BB2_3969 Depth=2
	s_or_b32 exec_lo, exec_lo, s61
	v_and_b32_e32 v70, 15, v54
	v_mov_b32_e32 v12, 0
	s_mov_b32 s17, 0
	s_mov_b32 s61, exec_lo
                                        ; implicit-def: $vgpr55
                                        ; implicit-def: $vgpr69
	v_cndmask_b32_e32 v13, v67, v70, vcc_lo
	v_cmpx_ne_u32_e32 0, v13
	s_cbranch_execz .LBB2_4055
; %bb.4054:                             ;   in Loop: Header=BB2_3969 Depth=2
	v_cmp_lt_i32_e64 s16, 0, v68
	s_mov_b32 s17, exec_lo
	v_cndmask_b32_e64 v12, 0, v87, s16
	v_sub_nc_u32_e32 v12, v12, v68
	v_lshl_add_u32 v55, v12, 5, v66
	v_sub_nc_u32_e32 v66, v67, v70
	v_ashrrev_i32_e32 v12, 31, v55
	v_cndmask_b32_e32 v66, 0, v66, vcc_lo
	v_lshrrev_b32_e32 v12, 27, v12
	v_add_nc_u32_e32 v67, v55, v12
	v_add3_u32 v12, v65, v64, v66
	v_ashrrev_i32_e32 v69, 5, v67
.LBB2_4055:                             ;   in Loop: Header=BB2_3969 Depth=2
	s_or_b32 exec_lo, exec_lo, s61
	s_and_b32 s16, s17, exec_lo
.LBB2_4056:                             ;   in Loop: Header=BB2_3969 Depth=2
	s_or_b32 exec_lo, exec_lo, s23
	s_and_saveexec_b32 s17, s16
	s_cbranch_execz .LBB2_4065
.LBB2_4057:                             ;   in Loop: Header=BB2_3969 Depth=2
	v_ashrrev_i32_e32 v64, 31, v13
	v_ashrrev_i32_e32 v65, 31, v55
	s_mov_b32 s16, exec_lo
	v_add_nc_u32_sdwa v64, v13, v64 dst_sel:DWORD dst_unused:UNUSED_PAD src0_sel:DWORD src1_sel:BYTE_3
	v_lshrrev_b32_e32 v65, 27, v65
	v_ashrrev_i32_e32 v66, 8, v64
	v_sub_nc_u32_e32 v64, v66, v69
	v_cmpx_lt_i32_e32 0, v64
	s_cbranch_execz .LBB2_4061
; %bb.4058:                             ;   in Loop: Header=BB2_3969 Depth=2
	v_add_nc_u32_e32 v67, v55, v65
	v_lshlrev_b32_e32 v68, 8, v69
	s_mov_b32 s23, 0
	v_and_b32_e32 v67, 0xffffffe0, v67
	v_sub_nc_u32_e32 v67, v55, v67
	v_add3_u32 v67, v12, v67, v68
	v_ashrrev_i32_e32 v68, 31, v67
.LBB2_4059:                             ;   Parent Loop BB2_47 Depth=1
                                        ;     Parent Loop BB2_3969 Depth=2
                                        ; =>    This Inner Loop Header: Depth=3
	v_add_co_u32 v69, vcc_lo, v67, v8
	v_add_co_ci_u32_e64 v70, null, v68, v9, vcc_lo
	v_sub_nc_u32_e32 v64, v64, v87
	s_clause 0x7
	flat_load_ubyte v71, v[69:70] slc
	flat_load_ubyte v80, v[69:70] offset:32 slc
	flat_load_ubyte v81, v[69:70] offset:64 slc
	;; [unrolled: 1-line block ×7, first 2 shown]
	v_add_co_u32 v69, vcc_lo, v67, v10
	v_add_co_ci_u32_e64 v70, null, v68, v11, vcc_lo
	v_add_co_u32 v8, vcc_lo, v8, v117
	v_add_co_ci_u32_e64 v9, null, 0, v9, vcc_lo
	;; [unrolled: 2-line block ×3, first 2 shown]
	v_cmp_gt_i32_e32 vcc_lo, 1, v64
	s_waitcnt vmcnt(7) lgkmcnt(7)
	flat_store_byte v[69:70], v71 glc slc
	s_waitcnt vmcnt(6) lgkmcnt(7)
	flat_store_byte v[69:70], v80 offset:32 glc slc
	s_waitcnt vmcnt(5) lgkmcnt(7)
	flat_store_byte v[69:70], v81 offset:64 glc slc
	;; [unrolled: 2-line block ×7, first 2 shown]
	s_or_b32 s23, vcc_lo, s23
	s_andn2_b32 exec_lo, exec_lo, s23
	s_cbranch_execnz .LBB2_4059
; %bb.4060:                             ;   in Loop: Header=BB2_3969 Depth=2
	s_or_b32 exec_lo, exec_lo, s23
.LBB2_4061:                             ;   in Loop: Header=BB2_3969 Depth=2
	s_or_b32 exec_lo, exec_lo, s16
	v_lshlrev_b32_e32 v8, 8, v66
	v_cmp_ne_u32_e32 vcc_lo, v13, v8
	s_and_b32 exec_lo, exec_lo, vcc_lo
	s_cbranch_execz .LBB2_4065
; %bb.4062:                             ;   in Loop: Header=BB2_3969 Depth=2
	v_add_nc_u32_e32 v9, v55, v65
	v_lshlrev_b32_e32 v10, 5, v64
	v_and_b32_e32 v9, 0xffffffe0, v9
	v_sub_nc_u32_e32 v9, v55, v9
	v_sub_nc_u32_e32 v9, v9, v10
	v_add_nc_u32_e32 v11, v8, v9
	v_sub_nc_u32_e32 v10, v13, v11
	v_cmp_lt_i32_e32 vcc_lo, 0, v10
	s_and_b32 exec_lo, exec_lo, vcc_lo
	s_cbranch_execz .LBB2_4065
; %bb.4063:                             ;   in Loop: Header=BB2_3969 Depth=2
	s_trap 2
	ds_read_b64 v[8:9], v0
	v_add_nc_u32_e32 v11, v11, v12
	s_mov_b32 s23, 0
	v_ashrrev_i32_e32 v12, 31, v11
	.p2align	6
.LBB2_4064:                             ;   Parent Loop BB2_47 Depth=1
                                        ;     Parent Loop BB2_3969 Depth=2
                                        ; =>    This Inner Loop Header: Depth=3
	s_waitcnt lgkmcnt(0)
	v_add_co_u32 v64, vcc_lo, v8, v11
	v_add_co_ci_u32_e64 v65, null, v9, v12, vcc_lo
	v_sub_nc_u32_e32 v10, v10, v96
	v_add_co_u32 v11, s16, v11, v96
	flat_load_ubyte v13, v[64:65] slc
	v_add_co_ci_u32_e64 v12, null, 0, v12, s16
	v_cmp_gt_i32_e32 vcc_lo, 1, v10
	s_or_b32 s23, vcc_lo, s23
	s_waitcnt vmcnt(0) lgkmcnt(0)
	flat_store_byte v[64:65], v13 glc slc
	s_andn2_b32 exec_lo, exec_lo, s23
	s_cbranch_execnz .LBB2_4064
.LBB2_4065:                             ;   in Loop: Header=BB2_3969 Depth=2
	s_or_b32 exec_lo, exec_lo, s17
	v_cmp_lt_i32_e64 s16, 0, v54
	s_and_saveexec_b32 s17, s6
	s_cbranch_execz .LBB2_4040
.LBB2_4066:                             ;   in Loop: Header=BB2_3969 Depth=2
	s_and_saveexec_b32 s23, s29
	s_xor_b32 s23, exec_lo, s23
	s_cbranch_execz .LBB2_4081
; %bb.4067:                             ;   in Loop: Header=BB2_3969 Depth=2
	s_and_saveexec_b32 s61, s11
	s_cbranch_execz .LBB2_4080
; %bb.4068:                             ;   in Loop: Header=BB2_3969 Depth=2
	s_mov_b32 s63, exec_lo
	s_mov_b32 s62, exec_lo
	v_mbcnt_lo_u32_b32 v8, s63, 0
	s_waitcnt vmcnt(0) lgkmcnt(0)
	s_waitcnt_vscnt null, 0x0
	buffer_gl1_inv
	buffer_gl0_inv
	v_cmpx_eq_u32_e32 0, v8
	s_cbranch_execz .LBB2_4070
; %bb.4069:                             ;   in Loop: Header=BB2_3969 Depth=2
	s_bcnt1_i32_b32 s63, s63
	v_mov_b32_e32 v9, v2
	v_mov_b32_e32 v8, s63
	ds_add_u64 v0, v[8:9]
	s_trap 2
.LBB2_4070:                             ;   in Loop: Header=BB2_3969 Depth=2
	s_or_b32 exec_lo, exec_lo, s62
	s_trap 2
	ds_read_b64 v[8:9], v0
	s_waitcnt lgkmcnt(0)
	buffer_gl0_inv
	v_add_co_u32 v28, vcc_lo, v28, v87
	v_add_co_ci_u32_e64 v29, null, 0, v29, vcc_lo
	s_mov_b32 s62, exec_lo
	v_cmpx_lt_u64_e64 v[8:9], v[28:29]
	s_cbranch_execz .LBB2_4079
; %bb.4071:                             ;   in Loop: Header=BB2_3969 Depth=2
	s_mov_b32 s63, 0
	s_mov_b32 s74, 0
                                        ; implicit-def: $sgpr72
                                        ; implicit-def: $sgpr73
	s_inst_prefetch 0x1
	s_branch .LBB2_4073
	.p2align	6
.LBB2_4072:                             ;   in Loop: Header=BB2_4073 Depth=3
	s_or_b32 exec_lo, exec_lo, s76
	s_and_b32 s75, exec_lo, s77
	s_or_b32 s63, s75, s63
	s_andn2_b32 s72, s72, exec_lo
	s_and_b32 s75, s73, exec_lo
	s_or_b32 s72, s72, s75
	s_andn2_b32 exec_lo, exec_lo, s63
	s_cbranch_execz .LBB2_4077
.LBB2_4073:                             ;   Parent Loop BB2_47 Depth=1
                                        ;     Parent Loop BB2_3969 Depth=2
                                        ; =>    This Inner Loop Header: Depth=3
	s_add_i32 s74, s74, 1
	s_cmpk_lg_i32 s74, 0x2710
	s_cselect_b32 s75, -1, 0
	s_and_b32 vcc_lo, exec_lo, s75
	s_cbranch_vccz .LBB2_4075
; %bb.4074:                             ;   in Loop: Header=BB2_4073 Depth=3
	s_mov_b32 s77, -1
	s_or_b32 s73, s73, exec_lo
	s_and_saveexec_b32 s76, s75
	s_cbranch_execz .LBB2_4072
	s_branch .LBB2_4076
	.p2align	6
.LBB2_4075:                             ;   in Loop: Header=BB2_4073 Depth=3
	s_trap 2
	ds_read_b64 v[8:9], v0
	s_andn2_b32 s75, s75, exec_lo
	s_mov_b32 s74, 0
	s_waitcnt lgkmcnt(0)
	flat_load_dword v8, v[8:9] glc dlc
	s_waitcnt vmcnt(0) lgkmcnt(0)
	buffer_gl1_inv
	buffer_gl0_inv
	v_cmp_eq_u32_e32 vcc_lo, 0, v8
	s_and_b32 s76, vcc_lo, exec_lo
	s_or_b32 s75, s75, s76
	s_mov_b32 s77, -1
	s_or_b32 s73, s73, exec_lo
	s_and_saveexec_b32 s76, s75
	s_cbranch_execz .LBB2_4072
.LBB2_4076:                             ;   in Loop: Header=BB2_4073 Depth=3
	s_sleep 1
	s_trap 2
	ds_read_b64 v[8:9], v0
	s_waitcnt lgkmcnt(0)
	buffer_gl0_inv
	s_andn2_b32 s73, s73, exec_lo
	v_cmp_ge_u64_e32 vcc_lo, v[8:9], v[28:29]
	s_orn2_b32 s77, vcc_lo, exec_lo
	s_branch .LBB2_4072
.LBB2_4077:                             ;   in Loop: Header=BB2_3969 Depth=2
	s_inst_prefetch 0x2
	s_or_b32 exec_lo, exec_lo, s63
	s_and_saveexec_b32 s63, s72
	s_xor_b32 s63, exec_lo, s63
	s_cbranch_execz .LBB2_4079
; %bb.4078:                             ;   in Loop: Header=BB2_3969 Depth=2
	ds_write_b32 v0, v98
	s_trap 2
.LBB2_4079:                             ;   in Loop: Header=BB2_3969 Depth=2
	s_or_b32 exec_lo, exec_lo, s62
	;;#ASMSTART
	s_wakeup
	;;#ASMEND
.LBB2_4080:                             ;   in Loop: Header=BB2_3969 Depth=2
	s_or_b32 exec_lo, exec_lo, s61
.LBB2_4081:                             ;   in Loop: Header=BB2_3969 Depth=2
	s_andn2_saveexec_b32 s23, s23
	s_cbranch_execz .LBB2_4083
; %bb.4082:                             ;   in Loop: Header=BB2_3969 Depth=2
	s_waitcnt vmcnt(0) lgkmcnt(0)
	s_waitcnt_vscnt null, 0x0
	buffer_gl1_inv
	buffer_gl0_inv
	s_barrier
.LBB2_4083:                             ;   in Loop: Header=BB2_3969 Depth=2
	s_or_b32 exec_lo, exec_lo, s23
	s_or_b32 exec_lo, exec_lo, s17
	s_and_saveexec_b32 s17, s12
	s_xor_b32 s17, exec_lo, s17
	s_cbranch_execnz .LBB2_4041
.LBB2_4084:                             ;   in Loop: Header=BB2_3969 Depth=2
	s_andn2_saveexec_b32 s16, s17
	s_cbranch_execz .LBB2_4103
.LBB2_4085:                             ;   in Loop: Header=BB2_3969 Depth=2
	s_and_saveexec_b32 s17, s29
	s_xor_b32 s17, exec_lo, s17
	s_cbranch_execz .LBB2_4100
; %bb.4086:                             ;   in Loop: Header=BB2_3969 Depth=2
	s_and_saveexec_b32 s23, s11
	s_cbranch_execz .LBB2_4099
; %bb.4087:                             ;   in Loop: Header=BB2_3969 Depth=2
	s_mov_b32 s62, exec_lo
	s_mov_b32 s61, exec_lo
	v_mbcnt_lo_u32_b32 v8, s62, 0
	;;#ASMSTART
	s_waitcnt lgkmcnt(0) vmcnt(0)
	;;#ASMEND
	v_cmpx_eq_u32_e32 0, v8
	s_cbranch_execz .LBB2_4089
; %bb.4088:                             ;   in Loop: Header=BB2_3969 Depth=2
	s_bcnt1_i32_b32 s62, s62
	v_mov_b32_e32 v9, v2
	v_mov_b32_e32 v8, s62
	s_waitcnt vmcnt(0) lgkmcnt(0)
	s_waitcnt_vscnt null, 0x0
	ds_add_u64 v0, v[8:9]
	s_trap 2
.LBB2_4089:                             ;   in Loop: Header=BB2_3969 Depth=2
	s_or_b32 exec_lo, exec_lo, s61
	s_trap 2
	ds_read_b64 v[8:9], v0
	s_waitcnt vmcnt(0) lgkmcnt(0)
	buffer_gl0_inv
	v_add_co_u32 v28, vcc_lo, v28, v87
	v_add_co_ci_u32_e64 v29, null, 0, v29, vcc_lo
	s_mov_b32 s61, exec_lo
	v_cmpx_lt_u64_e64 v[8:9], v[28:29]
	s_cbranch_execz .LBB2_4098
; %bb.4090:                             ;   in Loop: Header=BB2_3969 Depth=2
	s_mov_b32 s62, 0
	s_mov_b32 s73, 0
                                        ; implicit-def: $sgpr63
                                        ; implicit-def: $sgpr72
	s_inst_prefetch 0x1
	s_branch .LBB2_4092
	.p2align	6
.LBB2_4091:                             ;   in Loop: Header=BB2_4092 Depth=3
	s_or_b32 exec_lo, exec_lo, s75
	s_and_b32 s74, exec_lo, s76
	s_or_b32 s62, s74, s62
	s_andn2_b32 s63, s63, exec_lo
	s_and_b32 s74, s72, exec_lo
	s_or_b32 s63, s63, s74
	s_andn2_b32 exec_lo, exec_lo, s62
	s_cbranch_execz .LBB2_4096
.LBB2_4092:                             ;   Parent Loop BB2_47 Depth=1
                                        ;     Parent Loop BB2_3969 Depth=2
                                        ; =>    This Inner Loop Header: Depth=3
	s_add_i32 s73, s73, 1
	s_cmpk_lg_i32 s73, 0x2710
	s_cselect_b32 s74, -1, 0
	s_and_b32 vcc_lo, exec_lo, s74
	s_cbranch_vccz .LBB2_4094
; %bb.4093:                             ;   in Loop: Header=BB2_4092 Depth=3
	s_mov_b32 s76, -1
	s_or_b32 s72, s72, exec_lo
	s_and_saveexec_b32 s75, s74
	s_cbranch_execz .LBB2_4091
	s_branch .LBB2_4095
	.p2align	6
.LBB2_4094:                             ;   in Loop: Header=BB2_4092 Depth=3
	s_trap 2
	ds_read_b64 v[8:9], v0
	s_andn2_b32 s74, s74, exec_lo
	s_mov_b32 s73, 0
	s_waitcnt lgkmcnt(0)
	s_waitcnt_vscnt null, 0x0
	flat_load_dword v8, v[8:9] glc dlc
	s_waitcnt vmcnt(0) lgkmcnt(0)
	buffer_gl1_inv
	buffer_gl0_inv
	v_cmp_eq_u32_e32 vcc_lo, 0, v8
	s_and_b32 s75, vcc_lo, exec_lo
	s_or_b32 s74, s74, s75
	s_mov_b32 s76, -1
	s_or_b32 s72, s72, exec_lo
	s_and_saveexec_b32 s75, s74
	s_cbranch_execz .LBB2_4091
.LBB2_4095:                             ;   in Loop: Header=BB2_4092 Depth=3
	s_sleep 1
	s_trap 2
	ds_read_b64 v[8:9], v0
	s_waitcnt lgkmcnt(0)
	buffer_gl0_inv
	s_andn2_b32 s72, s72, exec_lo
	v_cmp_ge_u64_e32 vcc_lo, v[8:9], v[28:29]
	s_orn2_b32 s76, vcc_lo, exec_lo
	s_branch .LBB2_4091
.LBB2_4096:                             ;   in Loop: Header=BB2_3969 Depth=2
	s_inst_prefetch 0x2
	s_or_b32 exec_lo, exec_lo, s62
	s_and_saveexec_b32 s62, s63
	s_xor_b32 s62, exec_lo, s62
	s_cbranch_execz .LBB2_4098
; %bb.4097:                             ;   in Loop: Header=BB2_3969 Depth=2
	ds_write_b32 v0, v98
	s_trap 2
.LBB2_4098:                             ;   in Loop: Header=BB2_3969 Depth=2
	s_or_b32 exec_lo, exec_lo, s61
	;;#ASMSTART
	s_wakeup
	;;#ASMEND
.LBB2_4099:                             ;   in Loop: Header=BB2_3969 Depth=2
	s_or_b32 exec_lo, exec_lo, s23
.LBB2_4100:                             ;   in Loop: Header=BB2_3969 Depth=2
	s_andn2_saveexec_b32 s17, s17
	s_cbranch_execz .LBB2_4102
; %bb.4101:                             ;   in Loop: Header=BB2_3969 Depth=2
	;;#ASMSTART
	s_waitcnt lgkmcnt(0) vmcnt(0)
	;;#ASMEND
	s_barrier
.LBB2_4102:                             ;   in Loop: Header=BB2_3969 Depth=2
	s_or_b32 exec_lo, exec_lo, s17
.LBB2_4103:                             ;   in Loop: Header=BB2_3969 Depth=2
	s_or_b32 exec_lo, exec_lo, s16
	v_and_b32_e32 v8, 32, v84
	s_mov_b32 s16, exec_lo
	v_cmpx_ne_u32_e32 0, v8
	s_cbranch_execz .LBB2_3968
; %bb.4104:                             ;   in Loop: Header=BB2_3969 Depth=2
	v_add_co_u32 v50, vcc_lo, v50, 2
	v_add_co_ci_u32_e64 v51, null, 0, v51, vcc_lo
	s_waitcnt vmcnt(0) lgkmcnt(0)
	s_waitcnt_vscnt null, 0x0
	flat_store_dwordx2 v[22:23], v[50:51]
	s_branch .LBB2_3968
.LBB2_4105:                             ;   in Loop: Header=BB2_47 Depth=1
	s_or_b32 exec_lo, exec_lo, s19
.LBB2_4106:                             ;   in Loop: Header=BB2_47 Depth=1
	s_or_b32 exec_lo, exec_lo, s18
	s_mov_b32 s17, exec_lo
	v_cmpx_gt_i32_e32 2, v10
	s_cbranch_execnz .LBB2_4107
; %bb.4219:                             ;   in Loop: Header=BB2_47 Depth=1
	s_getpc_b64 s[34:35]
.Lpost_getpc3:
	s_add_u32 s34, s34, (.LBB2_46-.Lpost_getpc3)&4294967295
	s_addc_u32 s35, s35, (.LBB2_46-.Lpost_getpc3)>>32
	s_setpc_b64 s[34:35]
.LBB2_4107:                             ;   in Loop: Header=BB2_47 Depth=1
	v_cmp_eq_u32_e64 s19, 0, v10
	s_mov_b32 s18, 0
	s_branch .LBB2_4109
.LBB2_4108:                             ;   in Loop: Header=BB2_4109 Depth=2
	s_or_b32 exec_lo, exec_lo, s16
	v_add_nc_u32_e32 v15, v14, v15
	s_mov_b32 s19, 0
	s_andn2_b32 exec_lo, exec_lo, s18
	s_cbranch_execnz .LBB2_4109
; %bb.4221:                             ;   in Loop: Header=BB2_47 Depth=1
	s_getpc_b64 s[34:35]
.Lpost_getpc4:
	s_add_u32 s34, s34, (.LBB2_45-.Lpost_getpc4)&4294967295
	s_addc_u32 s35, s35, (.LBB2_45-.Lpost_getpc4)>>32
	s_setpc_b64 s[34:35]
.LBB2_4109:                             ;   Parent Loop BB2_47 Depth=1
                                        ; =>  This Loop Header: Depth=2
                                        ;       Child Loop BB2_4115 Depth 3
                                        ;       Child Loop BB2_4139 Depth 3
	;; [unrolled: 1-line block ×3, first 2 shown]
	v_and_b32_e32 v8, 4, v84
	s_mov_b32 s21, exec_lo
	v_cmpx_ne_u32_e32 0, v8
	s_cbranch_execz .LBB2_4131
; %bb.4110:                             ;   in Loop: Header=BB2_4109 Depth=2
	v_add_co_u32 v8, vcc_lo, v50, 2
	v_add_co_ci_u32_e64 v9, null, 0, v51, vcc_lo
	s_mov_b32 s22, exec_lo
	s_waitcnt vmcnt(0) lgkmcnt(1)
	v_cmpx_lt_u64_e64 v[32:33], v[8:9]
	s_cbranch_execz .LBB2_4122
; %bb.4111:                             ;   in Loop: Header=BB2_4109 Depth=2
	v_and_b32_e32 v10, 64, v84
	s_mov_b32 s23, 0
	s_mov_b32 s72, 0
                                        ; implicit-def: $sgpr61
                                        ; implicit-def: $sgpr62
                                        ; implicit-def: $sgpr63
	v_cmp_eq_u32_e32 vcc_lo, 0, v10
	s_branch .LBB2_4115
.LBB2_4112:                             ;   in Loop: Header=BB2_4115 Depth=3
	s_waitcnt vmcnt(0) lgkmcnt(0)
	v_cmp_ge_u64_e64 s16, v[32:33], v[8:9]
	s_or_b32 s75, s75, exec_lo
	s_orn2_b32 s74, s16, exec_lo
.LBB2_4113:                             ;   in Loop: Header=BB2_4115 Depth=3
	s_or_b32 exec_lo, exec_lo, s77
	s_andn2_b32 s16, s63, exec_lo
	s_and_b32 s63, s75, exec_lo
	s_andn2_b32 s62, s62, exec_lo
	s_and_b32 s74, s74, exec_lo
	s_or_b32 s63, s16, s63
	s_or_b32 s62, s62, s74
.LBB2_4114:                             ;   in Loop: Header=BB2_4115 Depth=3
	s_or_b32 exec_lo, exec_lo, s73
	s_and_b32 s16, exec_lo, s62
	s_or_b32 s23, s16, s23
	s_andn2_b32 s16, s61, exec_lo
	s_and_b32 s61, s63, exec_lo
	s_or_b32 s61, s16, s61
	s_andn2_b32 exec_lo, exec_lo, s23
	s_cbranch_execz .LBB2_4119
.LBB2_4115:                             ;   Parent Loop BB2_47 Depth=1
                                        ;     Parent Loop BB2_4109 Depth=2
                                        ; =>    This Inner Loop Header: Depth=3
	s_sleep 1
	s_waitcnt vmcnt(0) lgkmcnt(0)
	flat_load_dwordx2 v[32:33], v[22:23] glc dlc
	s_or_b32 s63, s63, exec_lo
	s_or_b32 s62, s62, exec_lo
                                        ; implicit-def: $vgpr10
	s_and_saveexec_b32 s73, vcc_lo
	s_cbranch_execz .LBB2_4114
; %bb.4116:                             ;   in Loop: Header=BB2_4115 Depth=3
	s_cmpk_lt_i32 s72, 0x270f
	s_mov_b32 s74, -1
	s_cselect_b32 s76, -1, 0
	s_cmpk_gt_i32 s72, 0x270e
	s_cbranch_scc0 .LBB2_4118
; %bb.4117:                             ;   in Loop: Header=BB2_4115 Depth=3
	s_trap 2
	ds_read_b64 v[10:11], v0
	s_andn2_b32 s72, s76, exec_lo
	s_mov_b32 s75, 0
	s_waitcnt vmcnt(0) lgkmcnt(0)
	s_waitcnt_vscnt null, 0x0
	flat_load_dword v10, v[10:11] glc dlc
	s_waitcnt vmcnt(0) lgkmcnt(0)
	buffer_gl1_inv
	buffer_gl0_inv
	v_cmp_eq_u32_e64 s16, 0, v10
	s_and_b32 s16, s16, exec_lo
	s_or_b32 s76, s72, s16
	s_mov_b32 s72, 0
	s_and_saveexec_b32 s77, s76
	s_cbranch_execz .LBB2_4113
	s_branch .LBB2_4112
.LBB2_4118:                             ;   in Loop: Header=BB2_4115 Depth=3
	s_add_i32 s72, s72, 1
	s_mov_b32 s75, -1
                                        ; implicit-def: $vgpr10
	s_and_saveexec_b32 s77, s76
	s_cbranch_execz .LBB2_4113
	s_branch .LBB2_4112
.LBB2_4119:                             ;   in Loop: Header=BB2_4109 Depth=2
	s_or_b32 exec_lo, exec_lo, s23
	s_xor_b32 s16, s61, -1
	s_and_saveexec_b32 s23, s16
	s_xor_b32 s16, exec_lo, s23
	s_cbranch_execz .LBB2_4121
; %bb.4120:                             ;   in Loop: Header=BB2_4109 Depth=2
	v_or_b32_e32 v84, 64, v84
	s_waitcnt vmcnt(0) lgkmcnt(0)
	s_waitcnt_vscnt null, 0x0
	ds_write_b32 v0, v10
	s_trap 2
.LBB2_4121:                             ;   in Loop: Header=BB2_4109 Depth=2
	s_or_b32 exec_lo, exec_lo, s16
.LBB2_4122:                             ;   in Loop: Header=BB2_4109 Depth=2
	s_or_b32 exec_lo, exec_lo, s22
	v_and_b32_e32 v10, 0x100, v84
	v_and_b32_e32 v50, 7, v50
	s_mov_b32 s16, -1
	;;#ASMSTART
	s_wakeup
	;;#ASMEND
	v_cmp_ne_u32_e32 vcc_lo, 0, v10
                                        ; implicit-def: $vgpr10_vgpr11
	s_and_saveexec_b32 s22, vcc_lo
	s_cbranch_execz .LBB2_4126
; %bb.4123:                             ;   in Loop: Header=BB2_4109 Depth=2
	v_mad_u64_u32 v[12:13], null, v50, 24, v[6:7]
	flat_load_dword v10, v[12:13]
	s_waitcnt vmcnt(0) lgkmcnt(0)
	v_cmp_eq_u32_e64 s16, 1, v10
	v_cmp_ne_u32_e32 vcc_lo, 1, v10
                                        ; implicit-def: $vgpr10_vgpr11
	s_and_saveexec_b32 s23, s16
	s_cbranch_execz .LBB2_4125
; %bb.4124:                             ;   in Loop: Header=BB2_4109 Depth=2
	flat_load_dword v10, v[12:13] offset:4 glc dlc
	s_waitcnt vmcnt(0) lgkmcnt(0)
	v_ashrrev_i32_e32 v11, 31, v10
.LBB2_4125:                             ;   in Loop: Header=BB2_4109 Depth=2
	s_or_b32 exec_lo, exec_lo, s23
	s_orn2_b32 s16, vcc_lo, exec_lo
.LBB2_4126:                             ;   in Loop: Header=BB2_4109 Depth=2
	s_or_b32 exec_lo, exec_lo, s22
	s_and_saveexec_b32 s22, s16
; %bb.4127:                             ;   in Loop: Header=BB2_4109 Depth=2
	v_mad_i64_i32 v[10:11], null, v50, v85, 0
; %bb.4128:                             ;   in Loop: Header=BB2_4109 Depth=2
	s_or_b32 exec_lo, exec_lo, s22
	v_add_co_u32 v10, vcc_lo, v24, v10
	v_and_b32_e32 v12, 0x2000, v84
	v_add_co_ci_u32_e64 v11, null, v25, v11, vcc_lo
	s_mov_b32 s16, exec_lo
	ds_write_b64 v0, v[10:11] offset:720
	v_cmpx_ne_u32_e32 0, v12
	s_cbranch_execz .LBB2_4130
; %bb.4129:                             ;   in Loop: Header=BB2_4109 Depth=2
	ds_read_b64 v[10:11], v0 offset:872
	s_waitcnt lgkmcnt(0)
	v_add_co_u32 v10, vcc_lo, v10, 1
	v_add_co_ci_u32_e64 v11, null, 0, v11, vcc_lo
	ds_write_b64 v0, v[10:11] offset:872
.LBB2_4130:                             ;   in Loop: Header=BB2_4109 Depth=2
	s_or_b32 exec_lo, exec_lo, s16
	v_mov_b32_e32 v51, v9
	v_mov_b32_e32 v50, v8
.LBB2_4131:                             ;   in Loop: Header=BB2_4109 Depth=2
	s_or_b32 exec_lo, exec_lo, s21
	s_xor_b32 s16, s19, -1
	s_and_b32 s16, exec_lo, s16
	s_or_b32 s18, s16, s18
	s_and_saveexec_b32 s16, s6
	s_cbranch_execz .LBB2_4150
; %bb.4132:                             ;   in Loop: Header=BB2_4109 Depth=2
	s_and_saveexec_b32 s19, s29
	s_xor_b32 s19, exec_lo, s19
	s_cbranch_execz .LBB2_4147
; %bb.4133:                             ;   in Loop: Header=BB2_4109 Depth=2
	s_and_saveexec_b32 s21, s11
	s_cbranch_execz .LBB2_4146
; %bb.4134:                             ;   in Loop: Header=BB2_4109 Depth=2
	s_mov_b32 s23, exec_lo
	s_mov_b32 s22, exec_lo
	v_mbcnt_lo_u32_b32 v8, s23, 0
	s_waitcnt vmcnt(0) lgkmcnt(0)
	s_waitcnt_vscnt null, 0x0
	buffer_gl1_inv
	buffer_gl0_inv
	v_cmpx_eq_u32_e32 0, v8
	s_cbranch_execz .LBB2_4136
; %bb.4135:                             ;   in Loop: Header=BB2_4109 Depth=2
	s_bcnt1_i32_b32 s23, s23
	v_mov_b32_e32 v9, v2
	v_mov_b32_e32 v8, s23
	ds_add_u64 v0, v[8:9]
	s_trap 2
.LBB2_4136:                             ;   in Loop: Header=BB2_4109 Depth=2
	s_or_b32 exec_lo, exec_lo, s22
	s_trap 2
	ds_read_b64 v[8:9], v0
	s_waitcnt lgkmcnt(0)
	buffer_gl0_inv
	v_add_co_u32 v28, vcc_lo, v28, v87
	v_add_co_ci_u32_e64 v29, null, 0, v29, vcc_lo
	s_mov_b32 s22, exec_lo
	v_cmpx_lt_u64_e64 v[8:9], v[28:29]
	s_cbranch_execz .LBB2_4145
; %bb.4137:                             ;   in Loop: Header=BB2_4109 Depth=2
	s_mov_b32 s23, 0
	s_mov_b32 s63, 0
                                        ; implicit-def: $sgpr61
                                        ; implicit-def: $sgpr62
	s_inst_prefetch 0x1
	s_branch .LBB2_4139
	.p2align	6
.LBB2_4138:                             ;   in Loop: Header=BB2_4139 Depth=3
	s_or_b32 exec_lo, exec_lo, s73
	s_and_b32 s72, exec_lo, s74
	s_or_b32 s23, s72, s23
	s_andn2_b32 s61, s61, exec_lo
	s_and_b32 s72, s62, exec_lo
	s_or_b32 s61, s61, s72
	s_andn2_b32 exec_lo, exec_lo, s23
	s_cbranch_execz .LBB2_4143
.LBB2_4139:                             ;   Parent Loop BB2_47 Depth=1
                                        ;     Parent Loop BB2_4109 Depth=2
                                        ; =>    This Inner Loop Header: Depth=3
	s_add_i32 s63, s63, 1
	s_cmpk_lg_i32 s63, 0x2710
	s_cselect_b32 s72, -1, 0
	s_and_b32 vcc_lo, exec_lo, s72
	s_cbranch_vccz .LBB2_4141
; %bb.4140:                             ;   in Loop: Header=BB2_4139 Depth=3
	s_mov_b32 s74, -1
	s_or_b32 s62, s62, exec_lo
	s_and_saveexec_b32 s73, s72
	s_cbranch_execz .LBB2_4138
	s_branch .LBB2_4142
	.p2align	6
.LBB2_4141:                             ;   in Loop: Header=BB2_4139 Depth=3
	s_trap 2
	ds_read_b64 v[8:9], v0
	s_andn2_b32 s72, s72, exec_lo
	s_mov_b32 s63, 0
	s_waitcnt lgkmcnt(0)
	flat_load_dword v8, v[8:9] glc dlc
	s_waitcnt vmcnt(0) lgkmcnt(0)
	buffer_gl1_inv
	buffer_gl0_inv
	v_cmp_eq_u32_e32 vcc_lo, 0, v8
	s_and_b32 s73, vcc_lo, exec_lo
	s_or_b32 s72, s72, s73
	s_mov_b32 s74, -1
	s_or_b32 s62, s62, exec_lo
	s_and_saveexec_b32 s73, s72
	s_cbranch_execz .LBB2_4138
.LBB2_4142:                             ;   in Loop: Header=BB2_4139 Depth=3
	s_sleep 1
	s_trap 2
	ds_read_b64 v[8:9], v0
	s_waitcnt lgkmcnt(0)
	buffer_gl0_inv
	s_andn2_b32 s62, s62, exec_lo
	v_cmp_ge_u64_e32 vcc_lo, v[8:9], v[28:29]
	s_orn2_b32 s74, vcc_lo, exec_lo
	s_branch .LBB2_4138
.LBB2_4143:                             ;   in Loop: Header=BB2_4109 Depth=2
	s_inst_prefetch 0x2
	s_or_b32 exec_lo, exec_lo, s23
	s_and_saveexec_b32 s23, s61
	s_xor_b32 s23, exec_lo, s23
	s_cbranch_execz .LBB2_4145
; %bb.4144:                             ;   in Loop: Header=BB2_4109 Depth=2
	ds_write_b32 v0, v98
	s_trap 2
.LBB2_4145:                             ;   in Loop: Header=BB2_4109 Depth=2
	s_or_b32 exec_lo, exec_lo, s22
	;;#ASMSTART
	s_wakeup
	;;#ASMEND
.LBB2_4146:                             ;   in Loop: Header=BB2_4109 Depth=2
	s_or_b32 exec_lo, exec_lo, s21
.LBB2_4147:                             ;   in Loop: Header=BB2_4109 Depth=2
	s_andn2_saveexec_b32 s19, s19
	s_cbranch_execz .LBB2_4149
; %bb.4148:                             ;   in Loop: Header=BB2_4109 Depth=2
	s_waitcnt vmcnt(0) lgkmcnt(0)
	s_waitcnt_vscnt null, 0x0
	buffer_gl1_inv
	buffer_gl0_inv
	s_barrier
.LBB2_4149:                             ;   in Loop: Header=BB2_4109 Depth=2
	s_or_b32 exec_lo, exec_lo, s19
.LBB2_4150:                             ;   in Loop: Header=BB2_4109 Depth=2
	s_or_b32 exec_lo, exec_lo, s16
	v_sub_nc_u32_e32 v8, v3, v15
	v_min_i32_e32 v14, v14, v8
	s_and_saveexec_b32 s16, s12
	s_xor_b32 s19, exec_lo, s16
	s_cbranch_execz .LBB2_4154
; %bb.4151:                             ;   in Loop: Header=BB2_4109 Depth=2
	s_trap 2
	ds_read_b32 v8, v0
	v_cmp_lt_i32_e32 vcc_lo, 0, v14
	s_waitcnt lgkmcnt(0)
	v_readfirstlane_b32 s16, v8
	v_and_b32_e32 v8, 16, v84
	s_cmp_eq_u32 s16, 0
	v_cmp_ne_u32_e64 s16, 0, v8
	s_cselect_b32 s21, -1, 0
	s_and_b32 s21, vcc_lo, s21
	s_and_b32 s21, s16, s21
	s_and_saveexec_b32 s16, s21
	s_cbranch_execz .LBB2_4153
; %bb.4152:                             ;   in Loop: Header=BB2_4109 Depth=2
	s_waitcnt vmcnt(0)
	s_waitcnt_vscnt null, 0x0
	buffer_gl1_inv
	buffer_gl0_inv
.LBB2_4153:                             ;   in Loop: Header=BB2_4109 Depth=2
	s_or_b32 exec_lo, exec_lo, s16
.LBB2_4154:                             ;   in Loop: Header=BB2_4109 Depth=2
	s_andn2_saveexec_b32 s16, s19
	s_cbranch_execz .LBB2_4173
; %bb.4155:                             ;   in Loop: Header=BB2_4109 Depth=2
	s_and_saveexec_b32 s19, s29
	s_xor_b32 s19, exec_lo, s19
	s_cbranch_execz .LBB2_4170
; %bb.4156:                             ;   in Loop: Header=BB2_4109 Depth=2
	s_and_saveexec_b32 s21, s11
	s_cbranch_execz .LBB2_4169
; %bb.4157:                             ;   in Loop: Header=BB2_4109 Depth=2
	s_mov_b32 s23, exec_lo
	s_mov_b32 s22, exec_lo
	v_mbcnt_lo_u32_b32 v8, s23, 0
	;;#ASMSTART
	s_waitcnt lgkmcnt(0) vmcnt(0)
	;;#ASMEND
	v_cmpx_eq_u32_e32 0, v8
	s_cbranch_execz .LBB2_4159
; %bb.4158:                             ;   in Loop: Header=BB2_4109 Depth=2
	s_bcnt1_i32_b32 s23, s23
	v_mov_b32_e32 v9, v2
	v_mov_b32_e32 v8, s23
	s_waitcnt vmcnt(0) lgkmcnt(0)
	s_waitcnt_vscnt null, 0x0
	ds_add_u64 v0, v[8:9]
	s_trap 2
.LBB2_4159:                             ;   in Loop: Header=BB2_4109 Depth=2
	s_or_b32 exec_lo, exec_lo, s22
	s_trap 2
	ds_read_b64 v[8:9], v0
	s_waitcnt vmcnt(0) lgkmcnt(0)
	buffer_gl0_inv
	v_add_co_u32 v28, vcc_lo, v28, v87
	v_add_co_ci_u32_e64 v29, null, 0, v29, vcc_lo
	s_mov_b32 s22, exec_lo
	v_cmpx_lt_u64_e64 v[8:9], v[28:29]
	s_cbranch_execz .LBB2_4168
; %bb.4160:                             ;   in Loop: Header=BB2_4109 Depth=2
	s_mov_b32 s23, 0
	s_mov_b32 s63, 0
                                        ; implicit-def: $sgpr61
                                        ; implicit-def: $sgpr62
	s_inst_prefetch 0x1
	s_branch .LBB2_4162
	.p2align	6
.LBB2_4161:                             ;   in Loop: Header=BB2_4162 Depth=3
	s_or_b32 exec_lo, exec_lo, s73
	s_and_b32 s72, exec_lo, s74
	s_or_b32 s23, s72, s23
	s_andn2_b32 s61, s61, exec_lo
	s_and_b32 s72, s62, exec_lo
	s_or_b32 s61, s61, s72
	s_andn2_b32 exec_lo, exec_lo, s23
	s_cbranch_execz .LBB2_4166
.LBB2_4162:                             ;   Parent Loop BB2_47 Depth=1
                                        ;     Parent Loop BB2_4109 Depth=2
                                        ; =>    This Inner Loop Header: Depth=3
	s_add_i32 s63, s63, 1
	s_cmpk_lg_i32 s63, 0x2710
	s_cselect_b32 s72, -1, 0
	s_and_b32 vcc_lo, exec_lo, s72
	s_cbranch_vccz .LBB2_4164
; %bb.4163:                             ;   in Loop: Header=BB2_4162 Depth=3
	s_mov_b32 s74, -1
	s_or_b32 s62, s62, exec_lo
	s_and_saveexec_b32 s73, s72
	s_cbranch_execz .LBB2_4161
	s_branch .LBB2_4165
	.p2align	6
.LBB2_4164:                             ;   in Loop: Header=BB2_4162 Depth=3
	s_trap 2
	ds_read_b64 v[8:9], v0
	s_andn2_b32 s72, s72, exec_lo
	s_mov_b32 s63, 0
	s_waitcnt lgkmcnt(0)
	s_waitcnt_vscnt null, 0x0
	flat_load_dword v8, v[8:9] glc dlc
	s_waitcnt vmcnt(0) lgkmcnt(0)
	buffer_gl1_inv
	buffer_gl0_inv
	v_cmp_eq_u32_e32 vcc_lo, 0, v8
	s_and_b32 s73, vcc_lo, exec_lo
	s_or_b32 s72, s72, s73
	s_mov_b32 s74, -1
	s_or_b32 s62, s62, exec_lo
	s_and_saveexec_b32 s73, s72
	s_cbranch_execz .LBB2_4161
.LBB2_4165:                             ;   in Loop: Header=BB2_4162 Depth=3
	s_sleep 1
	s_trap 2
	ds_read_b64 v[8:9], v0
	s_waitcnt lgkmcnt(0)
	buffer_gl0_inv
	s_andn2_b32 s62, s62, exec_lo
	v_cmp_ge_u64_e32 vcc_lo, v[8:9], v[28:29]
	s_orn2_b32 s74, vcc_lo, exec_lo
	s_branch .LBB2_4161
.LBB2_4166:                             ;   in Loop: Header=BB2_4109 Depth=2
	s_inst_prefetch 0x2
	s_or_b32 exec_lo, exec_lo, s23
	s_and_saveexec_b32 s23, s61
	s_xor_b32 s23, exec_lo, s23
	s_cbranch_execz .LBB2_4168
; %bb.4167:                             ;   in Loop: Header=BB2_4109 Depth=2
	ds_write_b32 v0, v98
	s_trap 2
.LBB2_4168:                             ;   in Loop: Header=BB2_4109 Depth=2
	s_or_b32 exec_lo, exec_lo, s22
	;;#ASMSTART
	s_wakeup
	;;#ASMEND
.LBB2_4169:                             ;   in Loop: Header=BB2_4109 Depth=2
	s_or_b32 exec_lo, exec_lo, s21
.LBB2_4170:                             ;   in Loop: Header=BB2_4109 Depth=2
	s_andn2_saveexec_b32 s19, s19
	s_cbranch_execz .LBB2_4172
; %bb.4171:                             ;   in Loop: Header=BB2_4109 Depth=2
	;;#ASMSTART
	s_waitcnt lgkmcnt(0) vmcnt(0)
	;;#ASMEND
	s_barrier
.LBB2_4172:                             ;   in Loop: Header=BB2_4109 Depth=2
	s_or_b32 exec_lo, exec_lo, s19
.LBB2_4173:                             ;   in Loop: Header=BB2_4109 Depth=2
	s_or_b32 exec_lo, exec_lo, s16
	v_and_b32_e32 v8, 32, v84
	s_mov_b32 s16, exec_lo
	v_cmpx_ne_u32_e32 0, v8
	s_cbranch_execz .LBB2_4108
; %bb.4174:                             ;   in Loop: Header=BB2_4109 Depth=2
	v_add_co_u32 v50, vcc_lo, v50, 2
	v_add_co_ci_u32_e64 v51, null, 0, v51, vcc_lo
	s_waitcnt vmcnt(0) lgkmcnt(0)
	s_waitcnt_vscnt null, 0x0
	flat_store_dwordx2 v[22:23], v[50:51]
	s_branch .LBB2_4108
.LBB2_4175:
	s_or_b32 exec_lo, exec_lo, s27
.LBB2_4176:
	s_or_b32 exec_lo, exec_lo, s26
	v_and_b32_e32 v0, 0x800, v84
	s_mov_b32 s5, exec_lo
	v_cmpx_eq_u32_e32 0, v0
	s_cbranch_execz .LBB2_4209
; %bb.4177:
	v_and_b32_e32 v0, 48, v84
	s_mov_b32 s4, exec_lo
	v_cmpx_ne_u32_e32 0, v0
	s_cbranch_execz .LBB2_4179
; %bb.4178:
	flat_store_dwordx2 v[20:21], v[50:51] offset:104
.LBB2_4179:
	s_or_b32 exec_lo, exec_lo, s4
	v_and_b32_e32 v0, 0x88, v84
	s_mov_b32 s6, exec_lo
	v_cmpx_eq_u32_e32 0x88, v0
	s_cbranch_execz .LBB2_4189
; %bb.4180:
	v_add_nc_u32_e32 v0, 6, v50
	s_mov_b32 s7, 0
	v_and_b32_e32 v0, 7, v0
	v_mad_u64_u32 v[2:3], null, v0, 24, v[6:7]
	v_and_b32_e32 v0, 64, v84
	v_cmp_eq_u32_e64 s4, 0, v0
	flat_load_dwordx2 v[4:5], v[2:3] offset:8 glc dlc
	s_waitcnt vmcnt(0) lgkmcnt(0)
	v_cmp_ne_u64_e32 vcc_lo, -1, v[4:5]
	s_and_b32 s4, vcc_lo, s4
	s_and_b32 exec_lo, exec_lo, s4
	s_cbranch_execz .LBB2_4189
; %bb.4181:
	s_mov_b32 s11, 0
                                        ; implicit-def: $sgpr4
                                        ; implicit-def: $sgpr10
	s_inst_prefetch 0x1
	s_branch .LBB2_4184
	.p2align	6
.LBB2_4182:                             ;   in Loop: Header=BB2_4184 Depth=1
	flat_load_dwordx2 v[4:5], v[2:3] offset:8 glc dlc
	s_waitcnt vmcnt(0)
	s_andn2_b32 s10, s10, exec_lo
	s_waitcnt lgkmcnt(0)
	v_cmp_eq_u64_e32 vcc_lo, -1, v[4:5]
	s_orn2_b32 s13, vcc_lo, exec_lo
.LBB2_4183:                             ;   in Loop: Header=BB2_4184 Depth=1
	s_or_b32 exec_lo, exec_lo, s14
	s_and_b32 s12, exec_lo, s13
	s_or_b32 s7, s12, s7
	s_andn2_b32 s4, s4, exec_lo
	s_and_b32 s12, s10, exec_lo
	s_or_b32 s4, s4, s12
	s_andn2_b32 exec_lo, exec_lo, s7
	s_cbranch_execz .LBB2_4187
.LBB2_4184:                             ; =>This Inner Loop Header: Depth=1
	s_cmpk_lt_i32 s11, 0x270f
	s_cselect_b32 s12, -1, 0
	s_and_b32 vcc_lo, exec_lo, s12
	s_cbranch_vccnz .LBB2_4186
; %bb.4185:                             ;   in Loop: Header=BB2_4184 Depth=1
	s_trap 2
	ds_read_b64 v[4:5], v0
	s_andn2_b32 s12, s12, exec_lo
	s_mov_b32 s11, 0
	s_waitcnt lgkmcnt(0)
	s_waitcnt_vscnt null, 0x0
	flat_load_dword v0, v[4:5] glc dlc
	s_waitcnt vmcnt(0) lgkmcnt(0)
	buffer_gl1_inv
	buffer_gl0_inv
	v_cmp_eq_u32_e32 vcc_lo, 0, v0
	s_and_b32 s13, vcc_lo, exec_lo
	s_or_b32 s12, s12, s13
	s_mov_b32 s13, -1
	s_or_b32 s10, s10, exec_lo
	s_and_saveexec_b32 s14, s12
	s_cbranch_execz .LBB2_4183
	s_branch .LBB2_4182
	.p2align	6
.LBB2_4186:                             ;   in Loop: Header=BB2_4184 Depth=1
	s_add_i32 s11, s11, 1
                                        ; implicit-def: $vgpr0
	s_mov_b32 s13, -1
	s_or_b32 s10, s10, exec_lo
	s_and_saveexec_b32 s14, s12
	s_cbranch_execz .LBB2_4183
	s_branch .LBB2_4182
.LBB2_4187:
	s_inst_prefetch 0x2
	s_or_b32 exec_lo, exec_lo, s7
	s_and_saveexec_b32 s7, s4
	s_xor_b32 s7, exec_lo, s7
	s_cbranch_execz .LBB2_4189
; %bb.4188:
	s_waitcnt_vscnt null, 0x0
	ds_write_b32 v0, v0
	s_trap 2
.LBB2_4189:
	s_or_b32 exec_lo, exec_lo, s6
	v_and_b32_e32 v0, 0x2000, v84
	s_mov_b32 s4, exec_lo
	v_cmpx_ne_u32_e32 0, v0
	s_cbranch_execz .LBB2_4191
; %bb.4190:
	s_trap 2
	ds_read_b64 v[2:3], v0
	s_waitcnt lgkmcnt(0)
	flat_store_dwordx2 v[18:19], v[2:3] offset:16
.LBB2_4191:
	s_or_b32 exec_lo, exec_lo, s4
	v_cmp_ne_u32_e32 vcc_lo, 32, v1
	s_and_b32 exec_lo, exec_lo, vcc_lo
	s_cbranch_execz .LBB2_4209
; %bb.4192:
	s_waitcnt vmcnt(0)
	v_cmp_ne_u32_sdwa s4, v1, v30 src0_sel:DWORD src1_sel:WORD_0
	s_and_saveexec_b32 s6, s4
	s_xor_b32 s4, exec_lo, s6
	s_cbranch_execz .LBB2_4207
; %bb.4193:
	v_and_b32_e32 v0, 31, v31
	s_mov_b32 s6, exec_lo
	v_cmpx_eq_u32_e32 0, v0
	s_cbranch_execz .LBB2_4206
; %bb.4194:
	s_mov_b32 s10, exec_lo
	s_mov_b32 s7, exec_lo
	v_mbcnt_lo_u32_b32 v0, s10, 0
	s_waitcnt lgkmcnt(0)
	s_waitcnt_vscnt null, 0x0
	buffer_gl1_inv
	buffer_gl0_inv
	v_cmpx_eq_u32_e32 0, v0
	s_cbranch_execz .LBB2_4196
; %bb.4195:
	s_bcnt1_i32_b32 s10, s10
	v_mov_b32_e32 v3, 0
	v_mov_b32_e32 v2, s10
	ds_add_u64 v0, v[2:3]
	s_trap 2
.LBB2_4196:
	s_or_b32 exec_lo, exec_lo, s7
	s_trap 2
	ds_read_b64 v[2:3], v0
	s_waitcnt lgkmcnt(0)
	buffer_gl0_inv
	v_lshrrev_b32_e32 v0, 5, v1
	s_mov_b32 s7, exec_lo
	v_add_co_u32 v0, vcc_lo, v28, v0
	v_add_co_ci_u32_e64 v1, null, 0, v29, vcc_lo
	v_cmpx_lt_u64_e64 v[2:3], v[0:1]
	s_cbranch_execz .LBB2_4205
; %bb.4197:
	s_mov_b32 s10, 0
	s_mov_b32 s13, 0
                                        ; implicit-def: $sgpr11
                                        ; implicit-def: $sgpr12
	s_inst_prefetch 0x1
	s_branch .LBB2_4199
	.p2align	6
.LBB2_4198:                             ;   in Loop: Header=BB2_4199 Depth=1
	s_or_b32 exec_lo, exec_lo, s15
	s_and_b32 s14, exec_lo, s16
	s_or_b32 s10, s14, s10
	s_andn2_b32 s11, s11, exec_lo
	s_and_b32 s14, s12, exec_lo
	s_or_b32 s11, s11, s14
	s_andn2_b32 exec_lo, exec_lo, s10
	s_cbranch_execz .LBB2_4203
.LBB2_4199:                             ; =>This Inner Loop Header: Depth=1
	s_add_i32 s13, s13, 1
	s_cmpk_lg_i32 s13, 0x2710
	s_cselect_b32 s14, -1, 0
	s_and_b32 vcc_lo, exec_lo, s14
	s_cbranch_vccz .LBB2_4201
; %bb.4200:                             ;   in Loop: Header=BB2_4199 Depth=1
	s_mov_b32 s16, -1
	s_or_b32 s12, s12, exec_lo
	s_and_saveexec_b32 s15, s14
	s_cbranch_execz .LBB2_4198
	s_branch .LBB2_4202
.LBB2_4201:                             ;   in Loop: Header=BB2_4199 Depth=1
	s_trap 2
	ds_read_b64 v[2:3], v0
	s_andn2_b32 s14, s14, exec_lo
	s_mov_b32 s13, 0
	s_waitcnt lgkmcnt(0)
	flat_load_dword v2, v[2:3] glc dlc
	s_waitcnt vmcnt(0) lgkmcnt(0)
	buffer_gl1_inv
	buffer_gl0_inv
	v_cmp_eq_u32_e32 vcc_lo, 0, v2
	s_and_b32 s15, vcc_lo, exec_lo
	s_or_b32 s14, s14, s15
	s_mov_b32 s16, -1
	s_or_b32 s12, s12, exec_lo
	s_and_saveexec_b32 s15, s14
	s_cbranch_execz .LBB2_4198
.LBB2_4202:                             ;   in Loop: Header=BB2_4199 Depth=1
	s_sleep 1
	s_trap 2
	ds_read_b64 v[2:3], v0
	s_waitcnt lgkmcnt(0)
	buffer_gl0_inv
	s_andn2_b32 s12, s12, exec_lo
	v_cmp_ge_u64_e32 vcc_lo, v[2:3], v[0:1]
	s_orn2_b32 s16, vcc_lo, exec_lo
	s_branch .LBB2_4198
.LBB2_4203:
	s_inst_prefetch 0x2
	s_or_b32 exec_lo, exec_lo, s10
	s_and_saveexec_b32 s10, s11
	s_xor_b32 s10, exec_lo, s10
	s_cbranch_execz .LBB2_4205
; %bb.4204:
	v_mov_b32_e32 v0, 1
	ds_write_b32 v0, v0
	s_trap 2
.LBB2_4205:
	s_or_b32 exec_lo, exec_lo, s7
	;;#ASMSTART
	s_wakeup
	;;#ASMEND
.LBB2_4206:
	s_or_b32 exec_lo, exec_lo, s6
.LBB2_4207:
	s_andn2_saveexec_b32 s4, s4
	s_cbranch_execz .LBB2_4209
; %bb.4208:
	s_waitcnt lgkmcnt(0)
	s_waitcnt_vscnt null, 0x0
	buffer_gl1_inv
	buffer_gl0_inv
	s_barrier
.LBB2_4209:
	s_or_b32 exec_lo, exec_lo, s5
.LBB2_4210:
	s_andn2_saveexec_b32 s25, s24
	s_cbranch_execz .LBB2_4212
; %bb.4211:
	s_getpc_b64 s[4:5]
	s_add_u32 s4, s4, __PRETTY_FUNCTION__._ZN10PrimitivesI12rccl_bfloat88FuncProdIS0_E12FanSymmetricILi1EELi0E11ProtoSimpleILi2ELi2ELi0ELi1ELi0ELi0EELi0ELb0ELi0ELi0ELi0EEC2EiiPKiS9_PKvPvmhhhP15ncclDevWorkCollP14ncclDevWorkP2pii@rel32@lo+4
	s_addc_u32 s5, s5, __PRETTY_FUNCTION__._ZN10PrimitivesI12rccl_bfloat88FuncProdIS0_E12FanSymmetricILi1EELi0E11ProtoSimpleILi2ELi2ELi0ELi1ELi0ELi0EELi0ELb0ELi0ELi0ELi0EEC2EiiPKiS9_PKvPvmhhhP15ncclDevWorkCollP14ncclDevWorkP2pii@rel32@hi+12
	v_mov_b32_e32 v0, s4
	v_mov_b32_e32 v1, s5
	s_getpc_b64 s[6:7]
	s_add_u32 s6, s6, __assert_fail@rel32@lo+4
	s_addc_u32 s7, s7, __assert_fail@rel32@hi+12
	s_swappc_b64 s[30:31], s[6:7]
	; divergent unreachable
.LBB2_4212:
	s_or_b32 exec_lo, exec_lo, s25
	s_clause 0x27
	buffer_load_dword v111, off, s[0:3], s33
	buffer_load_dword v110, off, s[0:3], s33 offset:4
	buffer_load_dword v109, off, s[0:3], s33 offset:8
	;; [unrolled: 1-line block ×39, first 2 shown]
	v_readlane_b32 s30, v120, 0
	v_readlane_b32 s31, v120, 1
	s_mov_b32 s32, s33
	s_or_saveexec_b32 s4, -1
	buffer_load_dword v120, off, s[0:3], s33 offset:160 ; 4-byte Folded Reload
	s_mov_b32 exec_lo, s4
	s_mov_b32 s33, s88
	s_waitcnt vmcnt(0) lgkmcnt(0)
	s_setpc_b64 s[30:31]
.Lfunc_end2:
	.size	_ZN12_GLOBAL__N_17runRingI12rccl_bfloat88FuncProdIS1_E11ProtoSimpleILi2ELi2ELi0ELi1ELi0ELi0EELi0ELi0ELi1ELi0EEEviiP15ncclDevWorkColl, .Lfunc_end2-_ZN12_GLOBAL__N_17runRingI12rccl_bfloat88FuncProdIS1_E11ProtoSimpleILi2ELi2ELi0ELi1ELi0ELi0EELi0ELi0ELi1ELi0EEEviiP15ncclDevWorkColl
                                        ; -- End function
	.set .L_ZN12_GLOBAL__N_17runRingI12rccl_bfloat88FuncProdIS1_E11ProtoSimpleILi2ELi2ELi0ELi1ELi0ELi0EELi0ELi0ELi1ELi0EEEviiP15ncclDevWorkColl.num_vgpr, max(121, .L__assert_fail.num_vgpr)
	.set .L_ZN12_GLOBAL__N_17runRingI12rccl_bfloat88FuncProdIS1_E11ProtoSimpleILi2ELi2ELi0ELi1ELi0ELi0EELi0ELi0ELi1ELi0EEEviiP15ncclDevWorkColl.num_agpr, max(0, .L__assert_fail.num_agpr)
	.set .L_ZN12_GLOBAL__N_17runRingI12rccl_bfloat88FuncProdIS1_E11ProtoSimpleILi2ELi2ELi0ELi1ELi0ELi0EELi0ELi0ELi1ELi0EEEviiP15ncclDevWorkColl.numbered_sgpr, max(89, .L__assert_fail.numbered_sgpr)
	.set .L_ZN12_GLOBAL__N_17runRingI12rccl_bfloat88FuncProdIS1_E11ProtoSimpleILi2ELi2ELi0ELi1ELi0ELi0EELi0ELi0ELi1ELi0EEEviiP15ncclDevWorkColl.num_named_barrier, max(0, .L__assert_fail.num_named_barrier)
	.set .L_ZN12_GLOBAL__N_17runRingI12rccl_bfloat88FuncProdIS1_E11ProtoSimpleILi2ELi2ELi0ELi1ELi0ELi0EELi0ELi0ELi1ELi0EEEviiP15ncclDevWorkColl.private_seg_size, 176+max(.L__assert_fail.private_seg_size)
	.set .L_ZN12_GLOBAL__N_17runRingI12rccl_bfloat88FuncProdIS1_E11ProtoSimpleILi2ELi2ELi0ELi1ELi0ELi0EELi0ELi0ELi1ELi0EEEviiP15ncclDevWorkColl.uses_vcc, or(1, .L__assert_fail.uses_vcc)
	.set .L_ZN12_GLOBAL__N_17runRingI12rccl_bfloat88FuncProdIS1_E11ProtoSimpleILi2ELi2ELi0ELi1ELi0ELi0EELi0ELi0ELi1ELi0EEEviiP15ncclDevWorkColl.uses_flat_scratch, or(1, .L__assert_fail.uses_flat_scratch)
	.set .L_ZN12_GLOBAL__N_17runRingI12rccl_bfloat88FuncProdIS1_E11ProtoSimpleILi2ELi2ELi0ELi1ELi0ELi0EELi0ELi0ELi1ELi0EEEviiP15ncclDevWorkColl.has_dyn_sized_stack, or(0, .L__assert_fail.has_dyn_sized_stack)
	.set .L_ZN12_GLOBAL__N_17runRingI12rccl_bfloat88FuncProdIS1_E11ProtoSimpleILi2ELi2ELi0ELi1ELi0ELi0EELi0ELi0ELi1ELi0EEEviiP15ncclDevWorkColl.has_recursion, or(1, .L__assert_fail.has_recursion)
	.set .L_ZN12_GLOBAL__N_17runRingI12rccl_bfloat88FuncProdIS1_E11ProtoSimpleILi2ELi2ELi0ELi1ELi0ELi0EELi0ELi0ELi1ELi0EEEviiP15ncclDevWorkColl.has_indirect_call, or(0, .L__assert_fail.has_indirect_call)
	.section	.AMDGPU.csdata,"",@progbits
; Function info:
; codeLenInByte = 151904
; TotalNumSgprs: 91
; NumVgprs: 121
; ScratchSize: 240
; MemoryBound: 1
	.text
	.p2align	2                               ; -- Begin function _Z51ncclDevFunc_AllReduce_RING_SIMPLE_Prod_f8e5m2_0_0_1v
	.type	_Z51ncclDevFunc_AllReduce_RING_SIMPLE_Prod_f8e5m2_0_0_1v,@function
_Z51ncclDevFunc_AllReduce_RING_SIMPLE_Prod_f8e5m2_0_0_1v: ; @_Z51ncclDevFunc_AllReduce_RING_SIMPLE_Prod_f8e5m2_0_0_1v
; %bb.0:
	s_waitcnt vmcnt(0) expcnt(0) lgkmcnt(0)
	s_mov_b32 s94, s33
	s_mov_b32 s33, s32
	s_or_saveexec_b32 s4, -1
	buffer_store_dword v43, off, s[0:3], s33 offset:16 ; 4-byte Folded Spill
	s_mov_b32 exec_lo, s4
	s_addk_i32 s32, 0x400
	buffer_store_dword v40, off, s[0:3], s33 offset:12 ; 4-byte Folded Spill
	buffer_store_dword v41, off, s[0:3], s33 offset:8 ; 4-byte Folded Spill
	;; [unrolled: 1-line block ×3, first 2 shown]
	buffer_store_dword v120, off, s[0:3], s33 ; 4-byte Folded Spill
	v_writelane_b32 v43, s34, 0
	v_writelane_b32 v43, s35, 1
	v_writelane_b32 v43, s30, 2
	v_writelane_b32 v43, s31, 3
	s_trap 2
	ds_read_b32 v0, v0
	v_mov_b32_e32 v40, v31
	s_waitcnt lgkmcnt(0)
	v_cmp_gt_i32_e32 vcc_lo, 1, v0
	s_cbranch_vccnz .LBB3_8
; %bb.1:
	v_and_b32_e32 v41, 0x3ff, v40
	v_mov_b32_e32 v42, 5
	s_mov_b32 s89, s12
	s_mov_b64 s[90:91], s[8:9]
	s_mov_b32 s92, 0
	s_inst_prefetch 0x1
	s_branch .LBB3_3
	.p2align	6
.LBB3_2:                                ;   in Loop: Header=BB3_3 Depth=1
	s_or_b32 exec_lo, exec_lo, s93
	s_trap 2
	ds_read_b32 v0, v0
	s_add_i32 s92, s92, 1
	s_waitcnt lgkmcnt(0)
	v_cmp_lt_i32_e32 vcc_lo, s92, v0
	s_cbranch_vccz .LBB3_8
.LBB3_3:                                ; =>This Inner Loop Header: Depth=1
	s_trap 2
	ds_read_b32 v0, v0
	s_cmp_eq_u32 s92, 0
	s_cbranch_scc1 .LBB3_6
; %bb.4:                                ;   in Loop: Header=BB3_3 Depth=1
	s_trap 2
	s_waitcnt lgkmcnt(0)
	ds_read_b32 v1, v0
	s_waitcnt lgkmcnt(0)
	v_xor_b32_e32 v1, v1, v0
	v_and_b32_e32 v1, 0xff0000, v1
	v_cmp_eq_u32_e32 vcc_lo, 0, v1
	s_cbranch_vccnz .LBB3_6
; %bb.5:                                ;   in Loop: Header=BB3_3 Depth=1
	s_waitcnt_vscnt null, 0x0
	s_barrier
	buffer_gl0_inv
	ds_read_b32 v0, v0
.LBB3_6:                                ;   in Loop: Header=BB3_3 Depth=1
	s_waitcnt lgkmcnt(0)
	v_lshlrev_b32_sdwa v1, v42, v0 dst_sel:DWORD dst_unused:UNUSED_PAD src0_sel:DWORD src1_sel:BYTE_2
	s_mov_b32 s93, exec_lo
	v_cmpx_lt_u32_e64 v41, v1
	s_cbranch_execz .LBB3_2
; %bb.7:                                ;   in Loop: Header=BB3_3 Depth=1
	s_mov_b64 s[4:5], src_shared_base
	v_mov_b32_e32 v31, v40
	v_mov_b32_e32 v0, v41
	;; [unrolled: 1-line block ×3, first 2 shown]
	s_getpc_b64 s[6:7]
	s_add_u32 s6, s6, _ZN12_GLOBAL__N_17runRingI12rccl_bfloat88FuncProdIS1_E11ProtoSimpleILi2ELi2ELi0ELi1ELi0ELi0EELi0ELi0ELi1ELi0EEEviiP15ncclDevWorkColl@rel32@lo+4
	s_addc_u32 s7, s7, _ZN12_GLOBAL__N_17runRingI12rccl_bfloat88FuncProdIS1_E11ProtoSimpleILi2ELi2ELi0ELi1ELi0ELi0EELi0ELi0ELi1ELi0EEEviiP15ncclDevWorkColl@rel32@hi+12
	s_mov_b64 s[8:9], s[90:91]
	s_mov_b32 s12, s89
	s_swappc_b64 s[30:31], s[6:7]
	s_branch .LBB3_2
.LBB3_8:
	s_inst_prefetch 0x2
	s_clause 0x3
	buffer_load_dword v120, off, s[0:3], s33
	buffer_load_dword v42, off, s[0:3], s33 offset:4
	buffer_load_dword v41, off, s[0:3], s33 offset:8
	;; [unrolled: 1-line block ×3, first 2 shown]
	v_readlane_b32 s30, v43, 2
	v_readlane_b32 s31, v43, 3
	;; [unrolled: 1-line block ×4, first 2 shown]
	s_mov_b32 s32, s33
	s_or_saveexec_b32 s4, -1
	buffer_load_dword v43, off, s[0:3], s33 offset:16 ; 4-byte Folded Reload
	s_mov_b32 exec_lo, s4
	s_mov_b32 s33, s94
	s_waitcnt vmcnt(0)
	s_setpc_b64 s[30:31]
.Lfunc_end3:
	.size	_Z51ncclDevFunc_AllReduce_RING_SIMPLE_Prod_f8e5m2_0_0_1v, .Lfunc_end3-_Z51ncclDevFunc_AllReduce_RING_SIMPLE_Prod_f8e5m2_0_0_1v
                                        ; -- End function
	.set .L_Z51ncclDevFunc_AllReduce_RING_SIMPLE_Prod_f8e5m2_0_0_1v.num_vgpr, max(121, .L_ZN12_GLOBAL__N_17runRingI12rccl_bfloat88FuncProdIS1_E11ProtoSimpleILi2ELi2ELi0ELi1ELi0ELi0EELi0ELi0ELi1ELi0EEEviiP15ncclDevWorkColl.num_vgpr)
	.set .L_Z51ncclDevFunc_AllReduce_RING_SIMPLE_Prod_f8e5m2_0_0_1v.num_agpr, max(0, .L_ZN12_GLOBAL__N_17runRingI12rccl_bfloat88FuncProdIS1_E11ProtoSimpleILi2ELi2ELi0ELi1ELi0ELi0EELi0ELi0ELi1ELi0EEEviiP15ncclDevWorkColl.num_agpr)
	.set .L_Z51ncclDevFunc_AllReduce_RING_SIMPLE_Prod_f8e5m2_0_0_1v.numbered_sgpr, max(95, .L_ZN12_GLOBAL__N_17runRingI12rccl_bfloat88FuncProdIS1_E11ProtoSimpleILi2ELi2ELi0ELi1ELi0ELi0EELi0ELi0ELi1ELi0EEEviiP15ncclDevWorkColl.numbered_sgpr)
	.set .L_Z51ncclDevFunc_AllReduce_RING_SIMPLE_Prod_f8e5m2_0_0_1v.num_named_barrier, max(0, .L_ZN12_GLOBAL__N_17runRingI12rccl_bfloat88FuncProdIS1_E11ProtoSimpleILi2ELi2ELi0ELi1ELi0ELi0EELi0ELi0ELi1ELi0EEEviiP15ncclDevWorkColl.num_named_barrier)
	.set .L_Z51ncclDevFunc_AllReduce_RING_SIMPLE_Prod_f8e5m2_0_0_1v.private_seg_size, 32+max(.L_ZN12_GLOBAL__N_17runRingI12rccl_bfloat88FuncProdIS1_E11ProtoSimpleILi2ELi2ELi0ELi1ELi0ELi0EELi0ELi0ELi1ELi0EEEviiP15ncclDevWorkColl.private_seg_size)
	.set .L_Z51ncclDevFunc_AllReduce_RING_SIMPLE_Prod_f8e5m2_0_0_1v.uses_vcc, or(1, .L_ZN12_GLOBAL__N_17runRingI12rccl_bfloat88FuncProdIS1_E11ProtoSimpleILi2ELi2ELi0ELi1ELi0ELi0EELi0ELi0ELi1ELi0EEEviiP15ncclDevWorkColl.uses_vcc)
	.set .L_Z51ncclDevFunc_AllReduce_RING_SIMPLE_Prod_f8e5m2_0_0_1v.uses_flat_scratch, or(0, .L_ZN12_GLOBAL__N_17runRingI12rccl_bfloat88FuncProdIS1_E11ProtoSimpleILi2ELi2ELi0ELi1ELi0ELi0EELi0ELi0ELi1ELi0EEEviiP15ncclDevWorkColl.uses_flat_scratch)
	.set .L_Z51ncclDevFunc_AllReduce_RING_SIMPLE_Prod_f8e5m2_0_0_1v.has_dyn_sized_stack, or(0, .L_ZN12_GLOBAL__N_17runRingI12rccl_bfloat88FuncProdIS1_E11ProtoSimpleILi2ELi2ELi0ELi1ELi0ELi0EELi0ELi0ELi1ELi0EEEviiP15ncclDevWorkColl.has_dyn_sized_stack)
	.set .L_Z51ncclDevFunc_AllReduce_RING_SIMPLE_Prod_f8e5m2_0_0_1v.has_recursion, or(1, .L_ZN12_GLOBAL__N_17runRingI12rccl_bfloat88FuncProdIS1_E11ProtoSimpleILi2ELi2ELi0ELi1ELi0ELi0EELi0ELi0ELi1ELi0EEEviiP15ncclDevWorkColl.has_recursion)
	.set .L_Z51ncclDevFunc_AllReduce_RING_SIMPLE_Prod_f8e5m2_0_0_1v.has_indirect_call, or(0, .L_ZN12_GLOBAL__N_17runRingI12rccl_bfloat88FuncProdIS1_E11ProtoSimpleILi2ELi2ELi0ELi1ELi0ELi0EELi0ELi0ELi1ELi0EEEviiP15ncclDevWorkColl.has_indirect_call)
	.section	.AMDGPU.csdata,"",@progbits
; Function info:
; codeLenInByte = 492
; TotalNumSgprs: 97
; NumVgprs: 121
; ScratchSize: 272
; MemoryBound: 0
	.text
	.p2align	2                               ; -- Begin function _ZN12_GLOBAL__N_17runRingI12rccl_bfloat88FuncProdIS1_E11ProtoSimpleILi2ELi2ELi0ELi2ELi0ELi0EELi0ELi0ELi2ELi0EEEviiP15ncclDevWorkColl
	.type	_ZN12_GLOBAL__N_17runRingI12rccl_bfloat88FuncProdIS1_E11ProtoSimpleILi2ELi2ELi0ELi2ELi0ELi0EELi0ELi0ELi2ELi0EEEviiP15ncclDevWorkColl,@function
_ZN12_GLOBAL__N_17runRingI12rccl_bfloat88FuncProdIS1_E11ProtoSimpleILi2ELi2ELi0ELi2ELi0ELi0EELi0ELi0ELi2ELi0EEEviiP15ncclDevWorkColl: ; @_ZN12_GLOBAL__N_17runRingI12rccl_bfloat88FuncProdIS1_E11ProtoSimpleILi2ELi2ELi0ELi2ELi0ELi0EELi0ELi0ELi2ELi0EEEviiP15ncclDevWorkColl
; %bb.0:
	s_waitcnt vmcnt(0) expcnt(0) lgkmcnt(0)
	s_mov_b32 s88, s33
	s_mov_b32 s33, s32
	s_or_saveexec_b32 s4, -1
	buffer_store_dword v127, off, s[0:3], s33 offset:196 ; 4-byte Folded Spill
	s_mov_b32 exec_lo, s4
	s_addk_i32 s32, 0x1a00
	buffer_store_dword v40, off, s[0:3], s33 offset:184 ; 4-byte Folded Spill
	buffer_store_dword v41, off, s[0:3], s33 offset:180 ; 4-byte Folded Spill
	buffer_store_dword v42, off, s[0:3], s33 offset:176 ; 4-byte Folded Spill
	buffer_store_dword v43, off, s[0:3], s33 offset:172 ; 4-byte Folded Spill
	buffer_store_dword v44, off, s[0:3], s33 offset:168 ; 4-byte Folded Spill
	buffer_store_dword v45, off, s[0:3], s33 offset:164 ; 4-byte Folded Spill
	buffer_store_dword v46, off, s[0:3], s33 offset:160 ; 4-byte Folded Spill
	buffer_store_dword v47, off, s[0:3], s33 offset:156 ; 4-byte Folded Spill
	buffer_store_dword v56, off, s[0:3], s33 offset:152 ; 4-byte Folded Spill
	buffer_store_dword v57, off, s[0:3], s33 offset:148 ; 4-byte Folded Spill
	buffer_store_dword v58, off, s[0:3], s33 offset:144 ; 4-byte Folded Spill
	buffer_store_dword v59, off, s[0:3], s33 offset:140 ; 4-byte Folded Spill
	buffer_store_dword v60, off, s[0:3], s33 offset:136 ; 4-byte Folded Spill
	buffer_store_dword v61, off, s[0:3], s33 offset:132 ; 4-byte Folded Spill
	buffer_store_dword v62, off, s[0:3], s33 offset:128 ; 4-byte Folded Spill
	buffer_store_dword v63, off, s[0:3], s33 offset:124 ; 4-byte Folded Spill
	buffer_store_dword v72, off, s[0:3], s33 offset:120 ; 4-byte Folded Spill
	buffer_store_dword v73, off, s[0:3], s33 offset:116 ; 4-byte Folded Spill
	buffer_store_dword v74, off, s[0:3], s33 offset:112 ; 4-byte Folded Spill
	buffer_store_dword v75, off, s[0:3], s33 offset:108 ; 4-byte Folded Spill
	buffer_store_dword v76, off, s[0:3], s33 offset:104 ; 4-byte Folded Spill
	buffer_store_dword v77, off, s[0:3], s33 offset:100 ; 4-byte Folded Spill
	buffer_store_dword v78, off, s[0:3], s33 offset:96 ; 4-byte Folded Spill
	buffer_store_dword v79, off, s[0:3], s33 offset:92 ; 4-byte Folded Spill
	buffer_store_dword v88, off, s[0:3], s33 offset:88 ; 4-byte Folded Spill
	buffer_store_dword v89, off, s[0:3], s33 offset:84 ; 4-byte Folded Spill
	buffer_store_dword v90, off, s[0:3], s33 offset:80 ; 4-byte Folded Spill
	buffer_store_dword v91, off, s[0:3], s33 offset:76 ; 4-byte Folded Spill
	buffer_store_dword v92, off, s[0:3], s33 offset:72 ; 4-byte Folded Spill
	buffer_store_dword v93, off, s[0:3], s33 offset:68 ; 4-byte Folded Spill
	buffer_store_dword v94, off, s[0:3], s33 offset:64 ; 4-byte Folded Spill
	buffer_store_dword v95, off, s[0:3], s33 offset:60 ; 4-byte Folded Spill
	buffer_store_dword v104, off, s[0:3], s33 offset:56 ; 4-byte Folded Spill
	buffer_store_dword v105, off, s[0:3], s33 offset:52 ; 4-byte Folded Spill
	buffer_store_dword v106, off, s[0:3], s33 offset:48 ; 4-byte Folded Spill
	buffer_store_dword v107, off, s[0:3], s33 offset:44 ; 4-byte Folded Spill
	buffer_store_dword v108, off, s[0:3], s33 offset:40 ; 4-byte Folded Spill
	buffer_store_dword v109, off, s[0:3], s33 offset:36 ; 4-byte Folded Spill
	buffer_store_dword v110, off, s[0:3], s33 offset:32 ; 4-byte Folded Spill
	buffer_store_dword v111, off, s[0:3], s33 offset:28 ; 4-byte Folded Spill
	buffer_store_dword v120, off, s[0:3], s33 offset:24 ; 4-byte Folded Spill
	buffer_store_dword v121, off, s[0:3], s33 offset:20 ; 4-byte Folded Spill
	buffer_store_dword v122, off, s[0:3], s33 offset:16 ; 4-byte Folded Spill
	buffer_store_dword v123, off, s[0:3], s33 offset:12 ; 4-byte Folded Spill
	buffer_store_dword v124, off, s[0:3], s33 offset:8 ; 4-byte Folded Spill
	buffer_store_dword v125, off, s[0:3], s33 offset:4 ; 4-byte Folded Spill
	buffer_store_dword v126, off, s[0:3], s33 ; 4-byte Folded Spill
	v_writelane_b32 v127, s30, 0
	v_writelane_b32 v127, s31, 1
	s_trap 2
	flat_load_dword v9, v[2:3]
	ds_read_b32 v6, v0
                                        ; implicit-def: $vgpr14_vgpr15
                                        ; implicit-def: $vgpr24_vgpr25
                                        ; implicit-def: $vgpr4_vgpr5
	s_waitcnt lgkmcnt(0)
	v_readfirstlane_b32 s25, v6
	s_waitcnt vmcnt(0)
	v_cmp_ne_u32_sdwa s4, v6, v9 src0_sel:DWORD src1_sel:BYTE_0
	s_and_saveexec_b32 s5, s4
	s_xor_b32 s4, exec_lo, s5
	s_cbranch_execz .LBB4_6
; %bb.1:
	v_not_b32_sdwa v8, v9 dst_sel:DWORD dst_unused:UNUSED_PAD src0_sel:BYTE_0
	v_cmp_ne_u32_sdwa s5, v6, v9 src0_sel:DWORD src1_sel:BYTE_1
                                        ; implicit-def: $vgpr14_vgpr15
                                        ; implicit-def: $vgpr24_vgpr25
                                        ; implicit-def: $vgpr4_vgpr5
	s_and_saveexec_b32 s6, s5
	s_xor_b32 s5, exec_lo, s6
	s_cbranch_execz .LBB4_3
; %bb.2:
	s_clause 0x1
	flat_load_dwordx4 v[9:12], v[2:3] offset:72
	flat_load_dwordx2 v[4:5], v[2:3] offset:96
	v_add_nc_u32_e32 v6, v6, v8
                                        ; implicit-def: $vgpr8
	v_ashrrev_i32_e32 v7, 31, v6
	s_waitcnt vmcnt(1) lgkmcnt(1)
	v_mul_lo_u32 v7, v11, v7
	v_mad_u64_u32 v[24:25], null, v11, v6, v[9:10]
	v_mul_lo_u32 v6, v12, v6
	s_waitcnt vmcnt(0) lgkmcnt(0)
	v_lshrrev_b64 v[14:15], 12, v[4:5]
	v_mov_b32_e32 v4, v11
	v_mov_b32_e32 v5, v12
                                        ; implicit-def: $vgpr9
	v_add3_u32 v25, v6, v25, v7
.LBB4_3:
	s_andn2_saveexec_b32 s5, s5
	s_cbranch_execz .LBB4_5
; %bb.4:
	s_clause 0x1
	flat_load_dwordx4 v[10:13], v[2:3] offset:72
	flat_load_dwordx4 v[4:7], v[2:3] offset:88
	s_waitcnt vmcnt(0) lgkmcnt(0)
	v_add_nc_u32_sdwa v6, v9, v8 dst_sel:DWORD dst_unused:UNUSED_PAD src0_sel:BYTE_1 src1_sel:DWORD
	v_ashrrev_i32_e32 v8, 31, v6
	v_mul_lo_u32 v8, v12, v8
	v_mad_u64_u32 v[24:25], null, v12, v6, v[10:11]
	v_mul_lo_u32 v6, v13, v6
	v_lshrrev_b32_e32 v14, 1, v7
	v_add3_u32 v25, v6, v25, v8
.LBB4_5:
	s_or_b32 exec_lo, exec_lo, s5
.LBB4_6:
	s_andn2_saveexec_b32 s4, s4
	s_cbranch_execz .LBB4_8
; %bb.7:
	s_clause 0x1
	flat_load_dwordx2 v[6:7], v[2:3] offset:96
	flat_load_dwordx2 v[4:5], v[2:3] offset:72
	v_mov_b32_e32 v24, 0
	v_mov_b32_e32 v25, 0
	s_waitcnt vmcnt(1) lgkmcnt(1)
	v_lshlrev_b64 v[14:15], 9, v[6:7]
.LBB4_8:
	s_or_b32 exec_lo, exec_lo, s4
	s_trap 2
	ds_read_b64 v[6:7], v0
	s_mov_b32 s5, exec_lo
	s_waitcnt lgkmcnt(0)
	v_cmp_ne_u32_e32 vcc_lo, -1, v6
	v_cndmask_b32_e64 v19, 0, 1, vcc_lo
	v_cmp_ne_u32_e32 vcc_lo, -1, v7
	v_add_co_ci_u32_e64 v8, null, 0, v19, vcc_lo
	v_lshlrev_b32_e32 v6, 1, v8
	v_cmpx_le_u32_e64 v6, v1
	s_xor_b32 s24, exec_lo, s5
	s_cbranch_execnz .LBB4_9
; %bb.5937:
	s_getpc_b64 s[34:35]
.Lpost_getpc5:
	s_add_u32 s34, s34, (.LBB4_5934-.Lpost_getpc5)&4294967295
	s_addc_u32 s35, s35, (.LBB4_5934-.Lpost_getpc5)>>32
	s_setpc_b64 s[34:35]
.LBB4_9:
	s_clause 0x3
	flat_load_dwordx4 v[10:13], v[2:3] offset:16
	flat_load_dwordx2 v[15:16], v[2:3] offset:104
	flat_load_ushort v7, v[2:3] offset:8
	flat_load_dword v6, v[2:3] offset:4
	s_trap 2
	s_load_dword s4, s[8:9], 0x0
	v_mov_b32_e32 v9, 0
	v_mov_b32_e32 v100, 4
	s_waitcnt lgkmcnt(0)
	s_cmp_lt_u32 s12, s4
	s_cselect_b32 s4, 12, 18
	s_add_u32 s4, s8, s4
	s_addc_u32 s5, s9, 0
	global_load_ushort v30, v9, s[4:5]
	ds_read_b32 v9, v0
	s_mov_b32 s5, exec_lo
	s_waitcnt lgkmcnt(0)
	v_readfirstlane_b32 s12, v9
	v_cmpx_ge_i32_e64 v0, v19
	s_cbranch_execz .LBB4_19
; %bb.10:
	v_cmp_ge_u32_e64 s4, v0, v8
                                        ; implicit-def: $vgpr100
	s_and_saveexec_b32 s6, s4
	s_xor_b32 s4, exec_lo, s6
	s_cbranch_execz .LBB4_16
; %bb.11:
	v_cndmask_b32_e64 v9, 0, 1, vcc_lo
	s_mov_b32 s6, exec_lo
	v_sub_nc_u32_e32 v9, v1, v9
	v_cmpx_ge_u32_e64 v0, v9
	s_xor_b32 s6, exec_lo, s6
; %bb.12:
                                        ; implicit-def: $vgpr8
; %bb.13:
	s_or_saveexec_b32 s6, s6
	v_mov_b32_e32 v100, 16
	s_xor_b32 exec_lo, exec_lo, s6
; %bb.14:
	v_sub_nc_u32_e32 v8, v1, v8
	v_cmp_lt_i32_e32 vcc_lo, v0, v8
	v_cndmask_b32_e64 v100, 32, 0, vcc_lo
; %bb.15:
	s_or_b32 exec_lo, exec_lo, s6
.LBB4_16:
	s_andn2_saveexec_b32 s4, s4
; %bb.17:
	v_mov_b32_e32 v100, 8
; %bb.18:
	s_or_b32 exec_lo, exec_lo, s4
.LBB4_19:
	s_or_b32 exec_lo, exec_lo, s5
	v_and_b32_e32 v8, 36, v100
	v_cmp_ne_u32_e32 vcc_lo, 0, v8
	v_mov_b32_e32 v8, -1
	s_and_saveexec_b32 s4, vcc_lo
	s_cbranch_execz .LBB4_21
; %bb.20:
	s_trap 2
	ds_read_b32 v8, v0
.LBB4_21:
	s_or_b32 exec_lo, exec_lo, s4
	v_and_b32_e32 v9, 24, v100
	s_mov_b32 s5, exec_lo
	v_cmpx_ne_u32_e32 0, v9
	s_cbranch_execz .LBB4_23
; %bb.22:
	s_trap 2
	s_waitcnt lgkmcnt(0)
	ds_read_b32 v8, v0
.LBB4_23:
	s_or_b32 exec_lo, exec_lo, s5
	s_waitcnt vmcnt(1)
	v_lshrrev_b64 v[17:18], 31, v[6:7]
	v_mov_b32_e32 v28, 0
	v_mov_b32_e32 v6, 0
	;; [unrolled: 1-line block ×4, first 2 shown]
                                        ; implicit-def: $vgpr101
                                        ; implicit-def: $vgpr64_vgpr65
                                        ; implicit-def: $vgpr34_vgpr35
                                        ; implicit-def: $vgpr48_vgpr49
                                        ; implicit-def: $vgpr32_vgpr33
	v_and_b32_e32 v20, 3, v17
                                        ; implicit-def: $vgpr17_vgpr18
                                        ; kill: killed $vgpr17_vgpr18
	s_and_saveexec_b32 s4, vcc_lo
	s_cbranch_execz .LBB4_33
; %bb.24:
	s_trap 2
	ds_read_b64 v[6:7], v0
	s_waitcnt lgkmcnt(1)
	v_ashrrev_i32_e32 v9, 31, v8
	v_lshlrev_b64 v[17:18], 3, v[8:9]
	v_and_b32_e32 v9, 0xffff, v20
	s_waitcnt lgkmcnt(0)
	v_add_co_u32 v6, vcc_lo, v6, v17
	v_add_co_ci_u32_e64 v7, null, v7, v18, vcc_lo
	flat_load_dwordx2 v[6:7], v[6:7]
	s_waitcnt vmcnt(0) lgkmcnt(0)
	v_mad_u64_u32 v[17:18], null, 0xa8, v9, v[6:7]
	flat_load_dword v6, v[17:18] offset:640
	s_waitcnt vmcnt(0) lgkmcnt(0)
	v_cmp_eq_u32_e32 vcc_lo, 1, v6
                                        ; implicit-def: $vgpr6_vgpr7
                                        ; kill: killed $vgpr6_vgpr7
	s_and_saveexec_b32 s5, vcc_lo
	s_cbranch_execz .LBB4_26
; %bb.25:
	flat_load_dwordx2 v[21:22], v[17:18] offset:648
	v_or_b32_e32 v100, 0x2000, v100
	s_waitcnt vmcnt(0) lgkmcnt(0)
	flat_load_dwordx2 v[6:7], v[21:22]
	s_trap 2
	s_waitcnt vmcnt(0) lgkmcnt(0)
	ds_write_b64 v0, v[6:7]
	flat_load_dwordx2 v[6:7], v[21:22] offset:8
	s_waitcnt vmcnt(0) lgkmcnt(0)
	ds_write_b64 v0, v[6:7]
	buffer_store_dword v21, off, s[0:3], s33 offset:188 ; 4-byte Folded Spill
	buffer_store_dword v22, off, s[0:3], s33 offset:192 ; 4-byte Folded Spill
	flat_load_dwordx2 v[6:7], v[21:22] offset:16
	s_waitcnt vmcnt(0) lgkmcnt(0)
	ds_write_b64 v0, v[6:7]
.LBB4_26:
	s_or_b32 exec_lo, exec_lo, s5
	flat_load_dwordx2 v[6:7], v[17:18] offset:608
	v_and_b32_e32 v9, 32, v100
	s_mov_b32 s5, exec_lo
                                        ; implicit-def: $vgpr32_vgpr33
	s_waitcnt vmcnt(0) lgkmcnt(0)
	v_add_co_u32 v6, vcc_lo, v6, 3
	v_add_co_ci_u32_e64 v65, null, 0, v7, vcc_lo
	v_and_b32_e32 v64, -4, v6
	v_cmpx_ne_u32_e32 0, v9
	s_cbranch_execz .LBB4_28
; %bb.27:
	flat_load_dwordx2 v[32:33], v[17:18] offset:560
	s_waitcnt vmcnt(0) lgkmcnt(0)
	s_waitcnt_vscnt null, 0x0
	flat_store_dwordx2 v[32:33], v[64:65]
.LBB4_28:
	s_or_b32 exec_lo, exec_lo, s5
	v_add_co_u32 v28, vcc_lo, 0x1f8, v17
	v_mov_b32_e32 v6, 0
	v_and_b32_e32 v9, 4, v100
	v_add_co_ci_u32_e64 v29, null, 0, v18, vcc_lo
	v_mov_b32_e32 v7, 0
	s_mov_b32 s5, exec_lo
                                        ; implicit-def: $vgpr101
                                        ; implicit-def: $vgpr34_vgpr35
                                        ; implicit-def: $vgpr48_vgpr49
	v_cmpx_ne_u32_e32 0, v9
	s_cbranch_execz .LBB4_32
; %bb.29:
	v_and_b32_e32 v6, 0x800, v100
	s_mov_b32 s6, exec_lo
	v_cmpx_eq_u32_e32 0, v6
	s_cbranch_execz .LBB4_31
; %bb.30:
	s_trap 2
	ds_write_b64 v0, v[28:29]
.LBB4_31:
	s_or_b32 exec_lo, exec_lo, s6
	flat_load_dwordx2 v[32:33], v[17:18] offset:552
	v_or_b32_e32 v9, 0x100, v100
	s_waitcnt vmcnt(0) lgkmcnt(0)
	flat_load_dwordx2 v[48:49], v[32:33] glc dlc
	s_clause 0x2
	flat_load_dwordx2 v[6:7], v[17:18] offset:600
	flat_load_dword v101, v[17:18] offset:576
	flat_load_dwordx2 v[34:35], v[17:18] offset:520
	s_waitcnt vmcnt(2) lgkmcnt(2)
	v_cmp_eq_u64_e32 vcc_lo, 0, v[6:7]
	v_cndmask_b32_e32 v100, v9, v100, vcc_lo
.LBB4_32:
	s_or_b32 exec_lo, exec_lo, s5
.LBB4_33:
	s_or_b32 exec_lo, exec_lo, s4
	v_and_b32_e32 v9, 24, v100
	s_mov_b32 s4, exec_lo
                                        ; implicit-def: $vgpr36_vgpr37
	v_cmpx_ne_u32_e32 0, v9
	s_cbranch_execz .LBB4_41
; %bb.34:
	s_trap 2
	ds_read_b64 v[6:7], v0
	s_waitcnt lgkmcnt(1)
	v_ashrrev_i32_e32 v9, 31, v8
	v_or_b32_e32 v17, 0x100, v100
	s_mov_b32 s5, exec_lo
                                        ; implicit-def: $vgpr36_vgpr37
	v_lshlrev_b64 v[8:9], 3, v[8:9]
	s_waitcnt lgkmcnt(0)
	v_add_co_u32 v6, vcc_lo, v6, v8
	v_add_co_ci_u32_e64 v7, null, v7, v9, vcc_lo
	v_and_b32_e32 v8, 0xffff, v20
	flat_load_dwordx2 v[6:7], v[6:7]
	s_waitcnt vmcnt(0) lgkmcnt(0)
	v_mad_u64_u32 v[28:29], null, 0xa8, v8, v[6:7]
	flat_load_dwordx4 v[6:9], v[28:29] offset:96
	s_waitcnt vmcnt(0) lgkmcnt(0)
	v_cmp_eq_u64_e32 vcc_lo, 0, v[6:7]
	v_cndmask_b32_e32 v100, v17, v100, vcc_lo
	v_and_b32_e32 v17, 16, v100
	v_cmpx_ne_u32_e32 0, v17
	s_cbranch_execz .LBB4_36
; %bb.35:
	s_clause 0x2
	flat_load_dwordx2 v[32:33], v[28:29] offset:48
	flat_load_dwordx2 v[36:37], v[28:29] offset:120
	;; [unrolled: 1-line block ×3, first 2 shown]
.LBB4_36:
	s_or_b32 exec_lo, exec_lo, s5
	v_add_co_u32 v8, vcc_lo, v8, 3
	v_and_b32_e32 v17, 8, v100
	v_add_co_ci_u32_e64 v65, null, 0, v9, vcc_lo
	v_and_b32_e32 v64, -4, v8
	s_mov_b32 s5, exec_lo
	v_cmpx_ne_u32_e32 0, v17
	s_cbranch_execz .LBB4_40
; %bb.37:
	v_and_b32_e32 v8, 0x800, v100
	s_mov_b32 s6, exec_lo
	v_cmpx_eq_u32_e32 0, v8
	s_cbranch_execz .LBB4_39
; %bb.38:
	s_trap 2
	ds_write_b64 v0, v[28:29]
.LBB4_39:
	s_or_b32 exec_lo, exec_lo, s6
	s_waitcnt vmcnt(2) lgkmcnt(2)
	flat_load_dwordx2 v[32:33], v[28:29] offset:56
	s_waitcnt vmcnt(0) lgkmcnt(0)
	flat_load_dwordx2 v[48:49], v[32:33] glc dlc
	s_clause 0x1
	flat_load_dword v101, v[28:29] offset:72
	flat_load_dwordx2 v[34:35], v[28:29] offset:16
.LBB4_40:
	s_or_b32 exec_lo, exec_lo, s5
.LBB4_41:
	s_or_b32 exec_lo, exec_lo, s4
	v_cmp_eq_u32_e64 s4, 0, v0
	s_and_saveexec_b32 s5, s4
	s_cbranch_execz .LBB4_43
; %bb.42:
	s_waitcnt lgkmcnt(0)
	flat_load_dwordx2 v[8:9], v[2:3] offset:32
	ds_write2_b64 v0, v[12:13], v[10:11] offset1:1
	s_trap 2
	s_waitcnt vmcnt(0) lgkmcnt(1)
	ds_write_b64 v0, v[8:9]
	ds_write_b64 v0, v[15:16]
.LBB4_43:
	s_or_b32 exec_lo, exec_lo, s5
	v_mov_b32_e32 v38, 0
	v_mov_b32_e32 v39, 0
	s_mov_b32 s26, exec_lo
	v_cmpx_lt_i64_e32 0, v[4:5]
	s_cbranch_execnz .LBB4_44
; %bb.5939:
	s_getpc_b64 s[34:35]
.Lpost_getpc6:
	s_add_u32 s34, s34, (.LBB4_5900-.Lpost_getpc6)&4294967295
	s_addc_u32 s35, s35, (.LBB4_5900-.Lpost_getpc6)>>32
	s_setpc_b64 s[34:35]
.LBB4_44:
	flat_load_dword v3, v[2:3] offset:4
	s_ashr_i32 s28, s25, 31
	s_waitcnt lgkmcnt(1)
	v_and_b32_e32 v8, 31, v31
	v_ashrrev_i32_e32 v9, 31, v0
	s_add_u32 s40, s25, -1
	s_addc_u32 s41, s28, -1
	s_add_i32 s42, s25, s25
	s_not_b32 s11, s25
	s_cmp_gt_i32 s25, 0
	v_lshrrev_b32_e32 v103, 5, v1
	s_cselect_b32 s13, s11, -1
	v_cmp_eq_u32_e64 s11, 0, v8
	v_lshrrev_b32_e32 v8, 27, v9
	v_and_b32_e32 v112, 0x1fe0, v1
	v_lshlrev_b32_e32 v43, 9, v103
	s_ashr_i32 s14, s12, 31
	s_add_i32 s43, s13, s42
	v_add_nc_u32_e32 v8, v0, v8
	v_subrev_nc_u32_e32 v45, 32, v112
	s_lshr_b32 s13, s14, 25
	v_add_nc_u32_e32 v46, 0xfffffe00, v43
	s_add_i32 s12, s12, s13
	v_and_b32_e32 v9, 0xffffffe0, v8
	v_ashrrev_i32_e32 v56, 5, v8
	v_and_b32_e32 v54, 0x3ffffe00, v14
	s_ashr_i32 s44, s43, 31
	s_ashr_i32 s45, s12, 7
	v_sub_nc_u32_e32 v58, v0, v9
	v_lshlrev_b32_e32 v8, 11, v56
	v_lshlrev_b32_e32 v9, 10, v56
	v_ashrrev_i32_e32 v47, 31, v45
	s_cmp_gt_i32 s25, 2
	v_mov_b32_e32 v2, 0
	v_lshl_add_u32 v61, v58, 4, v8
	s_cselect_b32 s46, -1, 0
	s_add_i32 s16, s25, 1
	v_ashrrev_i32_e32 v57, 31, v46
	v_add_co_u32 v59, s12, v45, 32
	v_sub_nc_u32_e32 v72, v61, v9
	v_mad_i64_i32 v[52:53], null, v54, s25, 0
	v_cmp_ge_i32_e32 vcc_lo, v0, v1
	v_add_co_ci_u32_e64 v60, null, 0, v47, s12
	v_add_co_u32 v62, s12, 0x200, v46
	v_mov_b32_e32 v50, 0
	s_waitcnt vmcnt(2)
	v_cmp_eq_u64_e64 s7, 0, v[36:37]
	v_cmp_ne_u64_e64 s10, 0, v[36:37]
	v_mov_b32_e32 v38, 0
	v_ashrrev_i32_e32 v102, 31, v101
	v_cmp_eq_u32_e64 s5, 32, v1
	v_cmp_ne_u32_e64 s6, 32, v1
	s_waitcnt vmcnt(1)
	v_cmp_ne_u32_sdwa s29, v1, v30 src0_sel:DWORD src1_sel:WORD_0
	v_mov_b32_e32 v51, 0
	v_mov_b32_e32 v113, 1
	;; [unrolled: 1-line block ×12, first 2 shown]
	v_lshlrev_b32_e32 v42, 11, v103
	v_lshlrev_b32_e32 v44, 10, v103
	v_add_co_ci_u32_e64 v63, null, 0, v57, s12
	v_cmp_gt_i32_e64 s12, 1, v58
	v_cmp_lt_i32_e64 s14, v58, v19
	v_cmp_le_i32_e64 s15, v58, v19
	v_ashrrev_i32_e32 v73, 31, v61
	v_ashrrev_i32_e32 v74, 31, v72
	s_mov_b32 s27, 0
	s_trap 2
	s_waitcnt vmcnt(0) lgkmcnt(0)
	v_and_b32_e32 v3, 1, v3
	v_cmp_eq_u32_e64 s13, 1, v3
	s_xor_b32 s47, s13, -1
	s_cmp_ge_i32 s16, s25
	s_cselect_b32 s17, s25, 0
	s_add_i32 s56, s25, -2
	s_sub_i32 s58, s16, s17
	s_xor_b32 s57, vcc_lo, -1
	s_ashr_i32 s20, s28, 31
	s_ashr_i32 s59, s58, 31
	s_sub_i32 s60, 0, s25
	s_branch .LBB4_47
.LBB4_45:                               ;   in Loop: Header=BB4_47 Depth=1
	s_or_b32 exec_lo, exec_lo, s18
.LBB4_46:                               ;   in Loop: Header=BB4_47 Depth=1
	s_or_b32 exec_lo, exec_lo, s17
	v_add_co_u32 v50, vcc_lo, v50, v52
	v_add_co_ci_u32_e64 v51, null, v51, v53, vcc_lo
	v_cmp_ge_i64_e32 vcc_lo, v[50:51], v[4:5]
	s_or_b32 s27, vcc_lo, s27
	s_andn2_b32 exec_lo, exec_lo, s27
	s_cbranch_execnz .LBB4_47
; %bb.5941:
	s_getpc_b64 s[34:35]
.Lpost_getpc7:
	s_add_u32 s34, s34, (.LBB4_5899-.Lpost_getpc7)&4294967295
	s_addc_u32 s35, s35, (.LBB4_5899-.Lpost_getpc7)>>32
	s_setpc_b64 s[34:35]
.LBB4_47:                               ; =>This Loop Header: Depth=1
                                        ;     Child Loop BB4_57 Depth 2
                                        ;       Child Loop BB4_65 Depth 3
                                        ;       Child Loop BB4_89 Depth 3
	;; [unrolled: 1-line block ×9, first 2 shown]
                                        ;     Child Loop BB4_199 Depth 2
                                        ;       Child Loop BB4_205 Depth 3
                                        ;       Child Loop BB4_229 Depth 3
                                        ;       Child Loop BB4_252 Depth 3
                                        ;     Child Loop BB4_271 Depth 2
                                        ;       Child Loop BB4_274 Depth 3
                                        ;         Child Loop BB4_282 Depth 4
                                        ;         Child Loop BB4_310 Depth 4
	;; [unrolled: 1-line block ×9, first 2 shown]
                                        ;       Child Loop BB4_1980 Depth 3
                                        ;         Child Loop BB4_1986 Depth 4
                                        ;         Child Loop BB4_2014 Depth 4
                                        ;         Child Loop BB4_2033 Depth 4
                                        ;     Child Loop BB4_2055 Depth 2
                                        ;       Child Loop BB4_2063 Depth 3
                                        ;       Child Loop BB4_2091 Depth 3
	;; [unrolled: 1-line block ×5, first 2 shown]
                                        ;         Child Loop BB4_3231 Depth 4
                                        ;       Child Loop BB4_3307 Depth 3
                                        ;       Child Loop BB4_3693 Depth 3
                                        ;         Child Loop BB4_3714 Depth 4
                                        ;       Child Loop BB4_3733 Depth 3
                                        ;       Child Loop BB4_4506 Depth 3
	;; [unrolled: 1-line block ×6, first 2 shown]
                                        ;     Child Loop BB4_5356 Depth 2
                                        ;       Child Loop BB4_5362 Depth 3
                                        ;       Child Loop BB4_5390 Depth 3
	;; [unrolled: 1-line block ×3, first 2 shown]
                                        ;     Child Loop BB4_5431 Depth 2
                                        ;       Child Loop BB4_5434 Depth 3
                                        ;         Child Loop BB4_5442 Depth 4
                                        ;         Child Loop BB4_5470 Depth 4
	;; [unrolled: 1-line block ×5, first 2 shown]
                                        ;           Child Loop BB4_5522 Depth 5
                                        ;         Child Loop BB4_5531 Depth 4
                                        ;         Child Loop BB4_5536 Depth 4
                                        ;           Child Loop BB4_5537 Depth 5
                                        ;         Child Loop BB4_5549 Depth 4
                                        ;         Child Loop BB4_5554 Depth 4
	;; [unrolled: 1-line block ×6, first 2 shown]
                                        ;       Child Loop BB4_5615 Depth 3
                                        ;         Child Loop BB4_5621 Depth 4
                                        ;         Child Loop BB4_5649 Depth 4
	;; [unrolled: 1-line block ×3, first 2 shown]
                                        ;     Child Loop BB4_5693 Depth 2
                                        ;       Child Loop BB4_5701 Depth 3
                                        ;       Child Loop BB4_5725 Depth 3
                                        ;       Child Loop BB4_5744 Depth 3
                                        ;       Child Loop BB4_5770 Depth 3
                                        ;       Child Loop BB4_5775 Depth 3
                                        ;       Child Loop BB4_5783 Depth 3
                                        ;       Child Loop BB4_5788 Depth 3
                                        ;       Child Loop BB4_5797 Depth 3
                                        ;       Child Loop BB4_5816 Depth 3
                                        ;     Child Loop BB4_5833 Depth 2
                                        ;       Child Loop BB4_5839 Depth 3
                                        ;       Child Loop BB4_5863 Depth 3
	;; [unrolled: 1-line block ×3, first 2 shown]
	v_sub_co_u32 v66, vcc_lo, v4, v50
	v_sub_co_ci_u32_e64 v67, null, v5, v51, vcc_lo
	s_mov_b32 s17, exec_lo
	v_cmpx_lt_i64_e64 v[66:67], v[52:53]
	s_cbranch_execz .LBB4_53
; %bb.48:                               ;   in Loop: Header=BB4_47 Depth=1
	v_add_co_u32 v10, vcc_lo, s40, v66
	v_add_co_ci_u32_e64 v11, null, s41, v67, vcc_lo
                                        ; implicit-def: $vgpr8_vgpr9
	s_mov_b32 s16, exec_lo
	v_or_b32_e32 v3, s28, v11
	v_cmpx_ne_u64_e32 0, v[2:3]
	s_xor_b32 s22, exec_lo, s16
	s_cbranch_execz .LBB4_50
; %bb.49:                               ;   in Loop: Header=BB4_47 Depth=1
	s_add_u32 s18, s25, s20
	s_mov_b32 s21, s20
	s_addc_u32 s19, s28, s20
	v_ashrrev_i32_e32 v14, 31, v11
	s_xor_b64 s[18:19], s[18:19], s[20:21]
	v_cvt_f32_u32_e32 v3, s18
	v_cvt_f32_u32_e32 v8, s19
	s_sub_u32 s16, 0, s18
	s_subb_u32 s61, 0, s19
	v_add_co_u32 v9, vcc_lo, v10, v14
	v_fmac_f32_e32 v3, 0x4f800000, v8
	v_xor_b32_e32 v15, v9, v14
	v_rcp_f32_e32 v3, v3
	v_mul_f32_e32 v3, 0x5f7ffffc, v3
	v_mul_f32_e32 v8, 0x2f800000, v3
	v_trunc_f32_e32 v8, v8
	v_fmac_f32_e32 v3, 0xcf800000, v8
	v_cvt_u32_f32_e32 v8, v8
	v_cvt_u32_f32_e32 v3, v3
	v_readfirstlane_b32 s21, v8
	v_readfirstlane_b32 s23, v3
	s_mul_i32 s62, s16, s21
	v_add_co_ci_u32_e64 v3, null, v11, v14, vcc_lo
	s_mul_hi_u32 s72, s16, s23
	s_mul_i32 s63, s61, s23
	s_add_i32 s62, s72, s62
	s_mul_i32 s73, s16, s23
	s_add_i32 s62, s62, s63
	s_mul_hi_u32 s72, s23, s73
	s_mul_i32 s75, s23, s62
	s_mul_hi_u32 s74, s21, s73
	s_mul_i32 s63, s21, s73
	s_mul_hi_u32 s73, s23, s62
	s_add_u32 s72, s72, s75
	s_addc_u32 s73, 0, s73
	s_mul_hi_u32 s76, s21, s62
	s_add_u32 s63, s72, s63
	s_mul_i32 s62, s21, s62
	s_addc_u32 s63, s73, s74
	s_addc_u32 s72, s76, 0
	s_add_u32 s62, s63, s62
	s_addc_u32 s63, 0, s72
	s_add_u32 s23, s23, s62
	s_cselect_b32 s62, -1, 0
	s_mul_hi_u32 s72, s16, s23
	s_cmp_lg_u32 s62, 0
	s_mul_i32 s62, s16, s23
	s_addc_u32 s21, s21, s63
	s_mul_i32 s61, s61, s23
	s_mul_i32 s16, s16, s21
	s_mul_hi_u32 s63, s23, s62
	s_add_i32 s16, s72, s16
	s_mul_hi_u32 s72, s21, s62
	s_add_i32 s16, s16, s61
	s_mul_i32 s61, s21, s62
	s_mul_i32 s74, s23, s16
	s_mul_hi_u32 s73, s23, s16
	s_add_u32 s63, s63, s74
	s_addc_u32 s73, 0, s73
	s_mul_hi_u32 s62, s21, s16
	s_add_u32 s61, s63, s61
	s_mul_i32 s16, s21, s16
	s_addc_u32 s61, s73, s72
	s_addc_u32 s62, s62, 0
	s_add_u32 s16, s61, s16
	s_addc_u32 s61, 0, s62
	s_add_u32 s16, s23, s16
	s_cselect_b32 s23, -1, 0
	v_xor_b32_e32 v3, v3, v14
	s_cmp_lg_u32 s23, 0
	v_mul_hi_u32 v16, v15, s16
	s_addc_u32 s21, s21, s61
	v_mad_u64_u32 v[8:9], null, v15, s21, 0
	v_mad_u64_u32 v[10:11], null, v3, s16, 0
	v_mad_u64_u32 v[12:13], null, v3, s21, 0
	v_add_co_u32 v8, vcc_lo, v16, v8
	v_add_co_ci_u32_e64 v9, null, 0, v9, vcc_lo
	v_add_co_u32 v8, vcc_lo, v8, v10
	v_add_co_ci_u32_e32 v8, vcc_lo, v9, v11, vcc_lo
	v_add_co_ci_u32_e32 v9, vcc_lo, 0, v13, vcc_lo
	v_add_co_u32 v10, vcc_lo, v8, v12
	v_add_co_ci_u32_e64 v11, null, 0, v9, vcc_lo
	v_mul_lo_u32 v12, s19, v10
	v_mad_u64_u32 v[8:9], null, s18, v10, 0
	v_mul_lo_u32 v13, s18, v11
	v_sub_co_u32 v8, vcc_lo, v15, v8
	v_add3_u32 v9, v9, v13, v12
	v_add_co_u32 v13, s16, v10, 2
	v_add_co_ci_u32_e64 v15, null, 0, v11, s16
	v_sub_nc_u32_e32 v12, v3, v9
	v_sub_co_u32 v16, s16, v8, s18
	v_sub_co_ci_u32_e64 v3, null, v3, v9, vcc_lo
	v_subrev_co_ci_u32_e64 v12, null, s19, v12, vcc_lo
	v_cmp_le_u32_e32 vcc_lo, s18, v16
	v_subrev_co_ci_u32_e64 v12, null, 0, v12, s16
	v_cndmask_b32_e64 v9, 0, -1, vcc_lo
	v_cmp_le_u32_e32 vcc_lo, s19, v12
	v_cndmask_b32_e64 v16, 0, -1, vcc_lo
	v_cmp_le_u32_e32 vcc_lo, s18, v8
	;; [unrolled: 2-line block ×3, first 2 shown]
	v_cndmask_b32_e64 v17, 0, -1, vcc_lo
	v_cmp_eq_u32_e32 vcc_lo, s19, v12
	v_cndmask_b32_e32 v9, v16, v9, vcc_lo
	v_add_co_u32 v12, vcc_lo, v10, 1
	v_add_co_ci_u32_e64 v16, null, 0, v11, vcc_lo
	v_cmp_eq_u32_e32 vcc_lo, s19, v3
	v_cndmask_b32_e32 v3, v17, v8, vcc_lo
	v_cmp_ne_u32_e32 vcc_lo, 0, v9
	v_xor_b32_e32 v9, s20, v14
	v_cmp_ne_u32_e64 s16, 0, v3
	v_cndmask_b32_e32 v3, v12, v13, vcc_lo
	v_cndmask_b32_e32 v8, v16, v15, vcc_lo
	v_cndmask_b32_e64 v3, v10, v3, s16
	v_cndmask_b32_e64 v8, v11, v8, s16
	v_xor_b32_e32 v3, v3, v9
	v_xor_b32_e32 v10, v8, v9
	v_sub_co_u32 v8, vcc_lo, v3, v9
	v_sub_co_ci_u32_e64 v9, null, v10, v9, vcc_lo
                                        ; implicit-def: $vgpr10
.LBB4_50:                               ;   in Loop: Header=BB4_47 Depth=1
	s_andn2_saveexec_b32 s16, s22
	s_cbranch_execz .LBB4_52
; %bb.51:                               ;   in Loop: Header=BB4_47 Depth=1
	v_cvt_f32_u32_e32 v3, s25
	v_rcp_iflag_f32_e32 v3, v3
	v_mul_f32_e32 v3, 0x4f7ffffe, v3
	v_cvt_u32_f32_e32 v3, v3
	v_mul_lo_u32 v8, s60, v3
	v_mul_hi_u32 v8, v3, v8
	v_add_nc_u32_e32 v3, v3, v8
	v_mul_hi_u32 v3, v10, v3
	v_mul_lo_u32 v8, v3, s25
	v_add_nc_u32_e32 v9, 1, v3
	v_sub_nc_u32_e32 v8, v10, v8
	v_subrev_nc_u32_e32 v10, s25, v8
	v_cmp_le_u32_e32 vcc_lo, s25, v8
	v_cndmask_b32_e32 v8, v8, v10, vcc_lo
	v_cndmask_b32_e32 v3, v3, v9, vcc_lo
	v_cmp_le_u32_e32 vcc_lo, s25, v8
	v_add_nc_u32_e32 v9, 1, v3
	v_cndmask_b32_e32 v8, v3, v9, vcc_lo
	v_mov_b32_e32 v9, v2
.LBB4_52:                               ;   in Loop: Header=BB4_47 Depth=1
	s_or_b32 exec_lo, exec_lo, s16
	v_add_co_u32 v3, vcc_lo, v8, 15
	v_add_co_ci_u32_e64 v55, null, 0, v9, vcc_lo
	v_and_b32_e32 v54, -16, v3
.LBB4_53:                               ;   in Loop: Header=BB4_47 Depth=1
	s_or_b32 exec_lo, exec_lo, s17
	v_mul_lo_u32 v3, v55, s43
	v_mul_lo_u32 v8, v54, s44
	v_mad_u64_u32 v[10:11], null, v54, s43, 0
	v_mov_b32_e32 v21, 0
	v_add3_u32 v11, v11, v8, v3
	v_sub_co_u32 v8, vcc_lo, v66, v10
	v_sub_co_ci_u32_e64 v9, null, v67, v11, vcc_lo
	v_cmp_lt_i64_e32 vcc_lo, v[54:55], v[8:9]
	v_cndmask_b32_e32 v8, v8, v54, vcc_lo
	v_add_co_u32 v75, vcc_lo, v50, v24
	v_add_co_ci_u32_e64 v76, null, v51, v25, vcc_lo
	v_max_i32_e32 v20, 0, v8
	v_cmp_lt_i32_e32 vcc_lo, 0, v8
	v_add_nc_u32_e32 v3, 31, v20
	s_and_b32 s16, s57, vcc_lo
	v_lshrrev_b32_e32 v3, 1, v3
	v_and_b32_e32 v9, 0x3ffffff0, v3
	v_mov_b32_e32 v3, 0
	v_max_i32_e32 v8, s45, v9
	s_and_saveexec_b32 s18, s16
	s_cbranch_execz .LBB4_195
; %bb.54:                               ;   in Loop: Header=BB4_47 Depth=1
	v_mov_b32_e32 v21, 0
	s_mov_b32 s22, 1
	s_mov_b32 s21, -1
	s_mov_b32 s19, 0
	s_branch .LBB4_57
.LBB4_55:                               ;   in Loop: Header=BB4_57 Depth=2
	s_or_b32 exec_lo, exec_lo, s17
	v_add_co_u32 v64, vcc_lo, v64, 2
	v_add_co_ci_u32_e64 v65, null, 0, v65, vcc_lo
	s_waitcnt vmcnt(0) lgkmcnt(0)
	s_waitcnt_vscnt null, 0x0
	flat_store_dwordx2 v[32:33], v[64:65]
.LBB4_56:                               ;   in Loop: Header=BB4_57 Depth=2
	s_or_b32 exec_lo, exec_lo, s16
	v_add_nc_u32_e32 v21, v8, v21
	s_xor_b32 s16, s21, -1
	v_mov_b32_e32 v3, s22
	s_mov_b32 s21, 0
	s_mov_b32 s22, 2
	v_cmp_ge_i32_e32 vcc_lo, v21, v20
	s_or_b32 s16, s16, vcc_lo
	s_and_b32 s16, exec_lo, s16
	s_or_b32 s19, s16, s19
	s_andn2_b32 exec_lo, exec_lo, s19
	s_cbranch_execz .LBB4_194
.LBB4_57:                               ;   Parent Loop BB4_47 Depth=1
                                        ; =>  This Loop Header: Depth=2
                                        ;       Child Loop BB4_65 Depth 3
                                        ;       Child Loop BB4_89 Depth 3
	;; [unrolled: 1-line block ×9, first 2 shown]
	s_and_saveexec_b32 s16, s4
	s_cbranch_execz .LBB4_59
; %bb.58:                               ;   in Loop: Header=BB4_57 Depth=2
	s_trap 2
	ds_read_b64 v[12:13], v0
	s_waitcnt lgkmcnt(0)
	v_add_co_u32 v3, vcc_lo, v12, v75
	v_add_co_ci_u32_e64 v9, null, v13, v76, vcc_lo
	v_ashrrev_i32_e32 v13, 31, v21
	v_add_co_u32 v3, vcc_lo, v3, v10
	v_add_co_ci_u32_e64 v9, null, v9, v11, vcc_lo
	v_add_co_u32 v12, vcc_lo, v3, v21
	v_add_co_ci_u32_e64 v13, null, v9, v13, vcc_lo
	v_mov_b32_e32 v3, v2
	ds_write_b64 v0, v[12:13]
	ds_write_b64 v0, v[2:3]
.LBB4_59:                               ;   in Loop: Header=BB4_57 Depth=2
	s_or_b32 exec_lo, exec_lo, s16
	v_sub_nc_u32_e32 v3, v20, v21
	v_and_b32_e32 v9, 8, v100
	s_mov_b32 s17, exec_lo
	v_min_i32_e32 v8, v8, v3
	v_cmpx_ne_u32_e32 0, v9
	s_cbranch_execz .LBB4_81
; %bb.60:                               ;   in Loop: Header=BB4_57 Depth=2
	s_waitcnt vmcnt(0) lgkmcnt(1)
	v_add_co_u32 v14, vcc_lo, v48, 8
	v_add_co_ci_u32_e64 v15, null, 0, v49, vcc_lo
	v_add_co_u32 v12, vcc_lo, v64, 2
	v_add_co_ci_u32_e64 v13, null, 0, v65, vcc_lo
	s_mov_b32 s23, exec_lo
	v_cmpx_lt_u64_e64 v[14:15], v[12:13]
	s_cbranch_execz .LBB4_72
; %bb.61:                               ;   in Loop: Header=BB4_57 Depth=2
	v_and_b32_e32 v3, 64, v100
	s_mov_b32 s61, 0
	s_mov_b32 s73, 0
                                        ; implicit-def: $sgpr62
                                        ; implicit-def: $sgpr63
                                        ; implicit-def: $sgpr72
	v_cmp_eq_u32_e32 vcc_lo, 0, v3
	s_branch .LBB4_65
.LBB4_62:                               ;   in Loop: Header=BB4_65 Depth=3
	s_waitcnt vmcnt(0) lgkmcnt(0)
	v_add_co_u32 v14, s16, v48, 8
	v_add_co_ci_u32_e64 v15, null, 0, v49, s16
	s_or_b32 s76, s76, exec_lo
	v_cmp_ge_u64_e64 s16, v[14:15], v[12:13]
	s_orn2_b32 s75, s16, exec_lo
.LBB4_63:                               ;   in Loop: Header=BB4_65 Depth=3
	s_or_b32 exec_lo, exec_lo, s78
	s_andn2_b32 s16, s72, exec_lo
	s_and_b32 s72, s76, exec_lo
	s_andn2_b32 s63, s63, exec_lo
	s_and_b32 s75, s75, exec_lo
	s_or_b32 s72, s16, s72
	s_or_b32 s63, s63, s75
.LBB4_64:                               ;   in Loop: Header=BB4_65 Depth=3
	s_or_b32 exec_lo, exec_lo, s74
	s_and_b32 s16, exec_lo, s63
	s_or_b32 s61, s16, s61
	s_andn2_b32 s16, s62, exec_lo
	s_and_b32 s62, s72, exec_lo
	s_or_b32 s62, s16, s62
	s_andn2_b32 exec_lo, exec_lo, s61
	s_cbranch_execz .LBB4_69
.LBB4_65:                               ;   Parent Loop BB4_47 Depth=1
                                        ;     Parent Loop BB4_57 Depth=2
                                        ; =>    This Inner Loop Header: Depth=3
	s_sleep 1
	s_waitcnt vmcnt(0) lgkmcnt(0)
	flat_load_dwordx2 v[48:49], v[32:33] glc dlc
	s_or_b32 s72, s72, exec_lo
	s_or_b32 s63, s63, exec_lo
                                        ; implicit-def: $vgpr3
	s_and_saveexec_b32 s74, vcc_lo
	s_cbranch_execz .LBB4_64
; %bb.66:                               ;   in Loop: Header=BB4_65 Depth=3
	s_cmpk_lt_i32 s73, 0x270f
	s_mov_b32 s75, -1
	s_cselect_b32 s77, -1, 0
	s_cmpk_gt_i32 s73, 0x270e
	s_cbranch_scc0 .LBB4_68
; %bb.67:                               ;   in Loop: Header=BB4_65 Depth=3
	s_trap 2
	ds_read_b64 v[14:15], v0
	s_andn2_b32 s73, s77, exec_lo
	s_mov_b32 s76, 0
	s_waitcnt vmcnt(0) lgkmcnt(0)
	s_waitcnt_vscnt null, 0x0
	flat_load_dword v3, v[14:15] glc dlc
	s_waitcnt vmcnt(0) lgkmcnt(0)
	buffer_gl1_inv
	buffer_gl0_inv
	v_cmp_eq_u32_e64 s16, 0, v3
	s_and_b32 s16, s16, exec_lo
	s_or_b32 s77, s73, s16
	s_mov_b32 s73, 0
	s_and_saveexec_b32 s78, s77
	s_cbranch_execz .LBB4_63
	s_branch .LBB4_62
.LBB4_68:                               ;   in Loop: Header=BB4_65 Depth=3
	s_add_i32 s73, s73, 1
	s_mov_b32 s76, -1
                                        ; implicit-def: $vgpr3
	s_and_saveexec_b32 s78, s77
	s_cbranch_execz .LBB4_63
	s_branch .LBB4_62
.LBB4_69:                               ;   in Loop: Header=BB4_57 Depth=2
	s_or_b32 exec_lo, exec_lo, s61
	s_xor_b32 s16, s62, -1
	s_and_saveexec_b32 s61, s16
	s_xor_b32 s16, exec_lo, s61
	s_cbranch_execz .LBB4_71
; %bb.70:                               ;   in Loop: Header=BB4_57 Depth=2
	v_or_b32_e32 v100, 64, v100
	s_waitcnt vmcnt(0) lgkmcnt(0)
	s_waitcnt_vscnt null, 0x0
	ds_write_b32 v0, v3
	s_trap 2
.LBB4_71:                               ;   in Loop: Header=BB4_57 Depth=2
	s_or_b32 exec_lo, exec_lo, s16
.LBB4_72:                               ;   in Loop: Header=BB4_57 Depth=2
	s_or_b32 exec_lo, exec_lo, s23
	v_and_b32_e32 v3, 0x100, v100
	s_mov_b32 s16, -1
	;;#ASMSTART
	s_wakeup
	;;#ASMEND
                                        ; implicit-def: $vgpr14_vgpr15
	v_cmp_ne_u32_e32 vcc_lo, 0, v3
	v_and_b32_e32 v3, 7, v64
	s_and_saveexec_b32 s23, vcc_lo
	s_cbranch_execz .LBB4_76
; %bb.73:                               ;   in Loop: Header=BB4_57 Depth=2
	v_mad_u64_u32 v[16:17], null, v3, 24, v[6:7]
	v_ashrrev_i32_e32 v9, 31, v8
	flat_load_dword v14, v[16:17]
	flat_store_dwordx2 v[16:17], v[8:9] offset:8
	s_waitcnt vmcnt(0) lgkmcnt(1)
	v_cmp_eq_u32_e64 s16, 1, v14
	v_cmp_ne_u32_e32 vcc_lo, 1, v14
                                        ; implicit-def: $vgpr14_vgpr15
	s_and_saveexec_b32 s61, s16
	s_cbranch_execz .LBB4_75
; %bb.74:                               ;   in Loop: Header=BB4_57 Depth=2
	flat_load_dword v14, v[16:17] offset:4 glc dlc
	s_waitcnt vmcnt(0) lgkmcnt(0)
	v_ashrrev_i32_e32 v15, 31, v14
.LBB4_75:                               ;   in Loop: Header=BB4_57 Depth=2
	s_or_b32 exec_lo, exec_lo, s61
	s_orn2_b32 s16, vcc_lo, exec_lo
.LBB4_76:                               ;   in Loop: Header=BB4_57 Depth=2
	s_or_b32 exec_lo, exec_lo, s23
	s_and_saveexec_b32 s23, s16
; %bb.77:                               ;   in Loop: Header=BB4_57 Depth=2
	v_mad_i64_i32 v[14:15], null, v3, v101, 0
; %bb.78:                               ;   in Loop: Header=BB4_57 Depth=2
	s_or_b32 exec_lo, exec_lo, s23
	v_add_co_u32 v14, vcc_lo, v34, v14
	v_and_b32_e32 v3, 0x2000, v100
	v_add_co_ci_u32_e64 v15, null, v35, v15, vcc_lo
	s_mov_b32 s16, exec_lo
	ds_write_b64 v0, v[14:15] offset:784
	v_cmpx_ne_u32_e32 0, v3
	s_cbranch_execz .LBB4_80
; %bb.79:                               ;   in Loop: Header=BB4_57 Depth=2
	ds_read_b64 v[14:15], v0 offset:872
	s_waitcnt lgkmcnt(0)
	v_add_co_u32 v14, vcc_lo, v14, 1
	v_add_co_ci_u32_e64 v15, null, 0, v15, vcc_lo
	ds_write_b64 v0, v[14:15] offset:872
.LBB4_80:                               ;   in Loop: Header=BB4_57 Depth=2
	s_or_b32 exec_lo, exec_lo, s16
	v_mov_b32_e32 v65, v13
	v_mov_b32_e32 v64, v12
.LBB4_81:                               ;   in Loop: Header=BB4_57 Depth=2
	s_or_b32 exec_lo, exec_lo, s17
	s_and_saveexec_b32 s16, s6
	s_cbranch_execz .LBB4_100
; %bb.82:                               ;   in Loop: Header=BB4_57 Depth=2
	s_and_saveexec_b32 s17, s29
	s_xor_b32 s17, exec_lo, s17
	s_cbranch_execz .LBB4_97
; %bb.83:                               ;   in Loop: Header=BB4_57 Depth=2
	s_and_saveexec_b32 s23, s11
	s_cbranch_execz .LBB4_96
; %bb.84:                               ;   in Loop: Header=BB4_57 Depth=2
	s_mov_b32 s62, exec_lo
	s_mov_b32 s61, exec_lo
	v_mbcnt_lo_u32_b32 v3, s62, 0
	s_waitcnt vmcnt(0) lgkmcnt(0)
	s_waitcnt_vscnt null, 0x0
	buffer_gl1_inv
	buffer_gl0_inv
	v_cmpx_eq_u32_e32 0, v3
	s_cbranch_execz .LBB4_86
; %bb.85:                               ;   in Loop: Header=BB4_57 Depth=2
	s_bcnt1_i32_b32 s62, s62
	v_mov_b32_e32 v13, v2
	v_mov_b32_e32 v12, s62
	ds_add_u64 v0, v[12:13]
	s_trap 2
.LBB4_86:                               ;   in Loop: Header=BB4_57 Depth=2
	s_or_b32 exec_lo, exec_lo, s61
	s_trap 2
	ds_read_b64 v[12:13], v0
	s_waitcnt lgkmcnt(0)
	buffer_gl0_inv
	v_add_co_u32 v38, vcc_lo, v38, v103
	v_add_co_ci_u32_e64 v39, null, 0, v39, vcc_lo
	s_mov_b32 s61, exec_lo
	v_cmpx_lt_u64_e64 v[12:13], v[38:39]
	s_cbranch_execz .LBB4_95
; %bb.87:                               ;   in Loop: Header=BB4_57 Depth=2
	s_mov_b32 s62, 0
	s_mov_b32 s73, 0
                                        ; implicit-def: $sgpr63
                                        ; implicit-def: $sgpr72
	s_inst_prefetch 0x1
	s_branch .LBB4_89
	.p2align	6
.LBB4_88:                               ;   in Loop: Header=BB4_89 Depth=3
	s_or_b32 exec_lo, exec_lo, s75
	s_and_b32 s74, exec_lo, s76
	s_or_b32 s62, s74, s62
	s_andn2_b32 s63, s63, exec_lo
	s_and_b32 s74, s72, exec_lo
	s_or_b32 s63, s63, s74
	s_andn2_b32 exec_lo, exec_lo, s62
	s_cbranch_execz .LBB4_93
.LBB4_89:                               ;   Parent Loop BB4_47 Depth=1
                                        ;     Parent Loop BB4_57 Depth=2
                                        ; =>    This Inner Loop Header: Depth=3
	s_add_i32 s73, s73, 1
	s_cmpk_lg_i32 s73, 0x2710
	s_cselect_b32 s74, -1, 0
	s_and_b32 vcc_lo, exec_lo, s74
	s_cbranch_vccz .LBB4_91
; %bb.90:                               ;   in Loop: Header=BB4_89 Depth=3
	s_mov_b32 s76, -1
	s_or_b32 s72, s72, exec_lo
	s_and_saveexec_b32 s75, s74
	s_cbranch_execz .LBB4_88
	s_branch .LBB4_92
	.p2align	6
.LBB4_91:                               ;   in Loop: Header=BB4_89 Depth=3
	s_trap 2
	ds_read_b64 v[12:13], v0
	s_andn2_b32 s74, s74, exec_lo
	s_mov_b32 s73, 0
	s_waitcnt lgkmcnt(0)
	flat_load_dword v3, v[12:13] glc dlc
	s_waitcnt vmcnt(0) lgkmcnt(0)
	buffer_gl1_inv
	buffer_gl0_inv
	v_cmp_eq_u32_e32 vcc_lo, 0, v3
	s_and_b32 s75, vcc_lo, exec_lo
	s_or_b32 s74, s74, s75
	s_mov_b32 s76, -1
	s_or_b32 s72, s72, exec_lo
	s_and_saveexec_b32 s75, s74
	s_cbranch_execz .LBB4_88
.LBB4_92:                               ;   in Loop: Header=BB4_89 Depth=3
	s_sleep 1
	s_trap 2
	ds_read_b64 v[12:13], v0
	s_waitcnt lgkmcnt(0)
	buffer_gl0_inv
	s_andn2_b32 s72, s72, exec_lo
	v_cmp_ge_u64_e32 vcc_lo, v[12:13], v[38:39]
	s_orn2_b32 s76, vcc_lo, exec_lo
	s_branch .LBB4_88
.LBB4_93:                               ;   in Loop: Header=BB4_57 Depth=2
	s_inst_prefetch 0x2
	s_or_b32 exec_lo, exec_lo, s62
	s_and_saveexec_b32 s62, s63
	s_xor_b32 s62, exec_lo, s62
	s_cbranch_execz .LBB4_95
; %bb.94:                               ;   in Loop: Header=BB4_57 Depth=2
	ds_write_b32 v0, v113
	s_trap 2
.LBB4_95:                               ;   in Loop: Header=BB4_57 Depth=2
	s_or_b32 exec_lo, exec_lo, s61
	;;#ASMSTART
	s_wakeup
	;;#ASMEND
.LBB4_96:                               ;   in Loop: Header=BB4_57 Depth=2
	s_or_b32 exec_lo, exec_lo, s23
.LBB4_97:                               ;   in Loop: Header=BB4_57 Depth=2
	s_andn2_saveexec_b32 s17, s17
	s_cbranch_execz .LBB4_99
; %bb.98:                               ;   in Loop: Header=BB4_57 Depth=2
	s_waitcnt vmcnt(0) lgkmcnt(0)
	s_waitcnt_vscnt null, 0x0
	buffer_gl1_inv
	buffer_gl0_inv
	s_barrier
.LBB4_99:                               ;   in Loop: Header=BB4_57 Depth=2
	s_or_b32 exec_lo, exec_lo, s17
.LBB4_100:                              ;   in Loop: Header=BB4_57 Depth=2
	s_or_b32 exec_lo, exec_lo, s16
	s_trap 2
	ds_read_b32 v3, v0
	v_and_b32_e32 v9, 0x4000, v100
	s_xor_b32 s16, s5, -1
	v_cmp_ne_u32_e32 vcc_lo, 0, v9
	s_and_b32 s17, s16, vcc_lo
	s_and_saveexec_b32 s16, s17
	s_cbranch_execz .LBB4_119
; %bb.101:                              ;   in Loop: Header=BB4_57 Depth=2
	s_and_saveexec_b32 s17, s29
	s_xor_b32 s17, exec_lo, s17
	s_cbranch_execz .LBB4_116
; %bb.102:                              ;   in Loop: Header=BB4_57 Depth=2
	s_and_saveexec_b32 s23, s11
	s_cbranch_execz .LBB4_115
; %bb.103:                              ;   in Loop: Header=BB4_57 Depth=2
	s_mov_b32 s62, exec_lo
	s_mov_b32 s61, exec_lo
	v_mbcnt_lo_u32_b32 v9, s62, 0
	s_waitcnt vmcnt(0) lgkmcnt(0)
	s_waitcnt_vscnt null, 0x0
	buffer_gl1_inv
	buffer_gl0_inv
	v_cmpx_eq_u32_e32 0, v9
	s_cbranch_execz .LBB4_105
; %bb.104:                              ;   in Loop: Header=BB4_57 Depth=2
	s_bcnt1_i32_b32 s62, s62
	v_mov_b32_e32 v13, v2
	v_mov_b32_e32 v12, s62
	ds_add_u64 v0, v[12:13]
	s_trap 2
.LBB4_105:                              ;   in Loop: Header=BB4_57 Depth=2
	s_or_b32 exec_lo, exec_lo, s61
	s_trap 2
	ds_read_b64 v[12:13], v0
	s_waitcnt lgkmcnt(0)
	buffer_gl0_inv
	v_add_co_u32 v38, vcc_lo, v38, v103
	v_add_co_ci_u32_e64 v39, null, 0, v39, vcc_lo
	s_mov_b32 s61, exec_lo
	v_cmpx_lt_u64_e64 v[12:13], v[38:39]
	s_cbranch_execz .LBB4_114
; %bb.106:                              ;   in Loop: Header=BB4_57 Depth=2
	s_mov_b32 s62, 0
	s_mov_b32 s73, 0
                                        ; implicit-def: $sgpr63
                                        ; implicit-def: $sgpr72
	s_inst_prefetch 0x1
	s_branch .LBB4_108
	.p2align	6
.LBB4_107:                              ;   in Loop: Header=BB4_108 Depth=3
	s_or_b32 exec_lo, exec_lo, s75
	s_and_b32 s74, exec_lo, s76
	s_or_b32 s62, s74, s62
	s_andn2_b32 s63, s63, exec_lo
	s_and_b32 s74, s72, exec_lo
	s_or_b32 s63, s63, s74
	s_andn2_b32 exec_lo, exec_lo, s62
	s_cbranch_execz .LBB4_112
.LBB4_108:                              ;   Parent Loop BB4_47 Depth=1
                                        ;     Parent Loop BB4_57 Depth=2
                                        ; =>    This Inner Loop Header: Depth=3
	s_add_i32 s73, s73, 1
	s_cmpk_lg_i32 s73, 0x2710
	s_cselect_b32 s74, -1, 0
	s_and_b32 vcc_lo, exec_lo, s74
	s_cbranch_vccz .LBB4_110
; %bb.109:                              ;   in Loop: Header=BB4_108 Depth=3
	s_mov_b32 s76, -1
	s_or_b32 s72, s72, exec_lo
	s_and_saveexec_b32 s75, s74
	s_cbranch_execz .LBB4_107
	s_branch .LBB4_111
	.p2align	6
.LBB4_110:                              ;   in Loop: Header=BB4_108 Depth=3
	s_trap 2
	ds_read_b64 v[12:13], v0
	s_andn2_b32 s74, s74, exec_lo
	s_mov_b32 s73, 0
	s_waitcnt lgkmcnt(0)
	flat_load_dword v9, v[12:13] glc dlc
	s_waitcnt vmcnt(0) lgkmcnt(0)
	buffer_gl1_inv
	buffer_gl0_inv
	v_cmp_eq_u32_e32 vcc_lo, 0, v9
	s_and_b32 s75, vcc_lo, exec_lo
	s_or_b32 s74, s74, s75
	s_mov_b32 s76, -1
	s_or_b32 s72, s72, exec_lo
	s_and_saveexec_b32 s75, s74
	s_cbranch_execz .LBB4_107
.LBB4_111:                              ;   in Loop: Header=BB4_108 Depth=3
	s_sleep 1
	s_trap 2
	ds_read_b64 v[12:13], v0
	s_waitcnt lgkmcnt(0)
	buffer_gl0_inv
	s_andn2_b32 s72, s72, exec_lo
	v_cmp_ge_u64_e32 vcc_lo, v[12:13], v[38:39]
	s_orn2_b32 s76, vcc_lo, exec_lo
	s_branch .LBB4_107
.LBB4_112:                              ;   in Loop: Header=BB4_57 Depth=2
	s_inst_prefetch 0x2
	s_or_b32 exec_lo, exec_lo, s62
	s_and_saveexec_b32 s62, s63
	s_xor_b32 s62, exec_lo, s62
	s_cbranch_execz .LBB4_114
; %bb.113:                              ;   in Loop: Header=BB4_57 Depth=2
	ds_write_b32 v0, v113
	s_trap 2
.LBB4_114:                              ;   in Loop: Header=BB4_57 Depth=2
	s_or_b32 exec_lo, exec_lo, s61
	;;#ASMSTART
	s_wakeup
	;;#ASMEND
.LBB4_115:                              ;   in Loop: Header=BB4_57 Depth=2
	s_or_b32 exec_lo, exec_lo, s23
.LBB4_116:                              ;   in Loop: Header=BB4_57 Depth=2
	s_andn2_saveexec_b32 s17, s17
	s_cbranch_execz .LBB4_118
; %bb.117:                              ;   in Loop: Header=BB4_57 Depth=2
	s_waitcnt vmcnt(0) lgkmcnt(0)
	s_waitcnt_vscnt null, 0x0
	buffer_gl1_inv
	buffer_gl0_inv
	s_barrier
.LBB4_118:                              ;   in Loop: Header=BB4_57 Depth=2
	s_or_b32 exec_lo, exec_lo, s17
.LBB4_119:                              ;   in Loop: Header=BB4_57 Depth=2
	s_or_b32 exec_lo, exec_lo, s16
	s_trap 2
	ds_read_b64 v[12:13], v0
	s_waitcnt lgkmcnt(0)
	v_cmp_eq_u64_e32 vcc_lo, 0, v[12:13]
	s_cbranch_vccnz .LBB4_127
; %bb.120:                              ;   in Loop: Header=BB4_57 Depth=2
	s_trap 2
	ds_read_b64 v[14:15], v0
	s_waitcnt lgkmcnt(0)
	v_cmp_eq_u64_e32 vcc_lo, 0, v[14:15]
	s_cbranch_vccnz .LBB4_127
; %bb.121:                              ;   in Loop: Header=BB4_57 Depth=2
	s_mov_b32 s16, -1
	s_and_saveexec_b32 s17, s12
	s_cbranch_execz .LBB4_123
; %bb.122:                              ;   in Loop: Header=BB4_57 Depth=2
	ds_read_b32 v9, v0 offset:720
	s_waitcnt lgkmcnt(0)
	v_and_b32_e32 v9, 15, v9
	v_cmp_eq_u32_e32 vcc_lo, 0, v9
	s_orn2_b32 s16, vcc_lo, exec_lo
.LBB4_123:                              ;   in Loop: Header=BB4_57 Depth=2
	s_or_b32 exec_lo, exec_lo, s17
	s_and_saveexec_b32 s17, s14
	s_cbranch_execz .LBB4_125
; %bb.124:                              ;   in Loop: Header=BB4_57 Depth=2
	ds_read_b32 v9, v0 offset:784
	s_waitcnt lgkmcnt(0)
	v_and_b32_e32 v9, 15, v9
	v_cmp_eq_u32_e32 vcc_lo, 0, v9
	s_and_b32 s23, s16, vcc_lo
	s_andn2_b32 s16, s16, exec_lo
	s_and_b32 s23, s23, exec_lo
	s_or_b32 s16, s16, s23
.LBB4_125:                              ;   in Loop: Header=BB4_57 Depth=2
	s_or_b32 exec_lo, exec_lo, s17
	v_cmp_eq_u32_e32 vcc_lo, 0, v3
	s_xor_b32 s16, s16, -1
	v_mov_b32_e32 v17, v0
	v_cndmask_b32_e64 v9, 0, 1, s16
	v_mov_b32_e32 v69, v56
	v_cndmask_b32_e32 v3, 0, v8, vcc_lo
	s_mov_b32 s16, -1
	v_cmp_ne_u32_e32 vcc_lo, 0, v9
	v_mov_b32_e32 v9, 0
	v_mov_b32_e32 v16, v3
	s_cbranch_vccz .LBB4_132
; %bb.126:                              ;   in Loop: Header=BB4_57 Depth=2
	s_and_saveexec_b32 s17, s16
	s_cbranch_execnz .LBB4_145
	s_branch .LBB4_153
.LBB4_127:                              ;   in Loop: Header=BB4_57 Depth=2
	s_mov_b32 s16, 0
	s_and_saveexec_b32 s17, s6
	s_cbranch_execnz .LBB4_154
.LBB4_128:                              ;   in Loop: Header=BB4_57 Depth=2
	s_or_b32 exec_lo, exec_lo, s17
                                        ; implicit-def: $vgpr3
	s_and_saveexec_b32 s17, s13
	s_xor_b32 s17, exec_lo, s17
	s_cbranch_execz .LBB4_172
.LBB4_129:                              ;   in Loop: Header=BB4_57 Depth=2
	v_and_b32_e32 v3, 16, v100
	v_cmp_ne_u32_e32 vcc_lo, 0, v3
	v_and_b32_e32 v3, 16, v100
	s_and_b32 s23, vcc_lo, s16
	s_and_saveexec_b32 s16, s23
	s_cbranch_execz .LBB4_131
; %bb.130:                              ;   in Loop: Header=BB4_57 Depth=2
	v_mov_b32_e32 v3, 1
	s_waitcnt vmcnt(0) lgkmcnt(0)
	s_waitcnt_vscnt null, 0x0
	buffer_gl1_inv
	buffer_gl0_inv
.LBB4_131:                              ;   in Loop: Header=BB4_57 Depth=2
	s_or_b32 exec_lo, exec_lo, s16
	s_andn2_saveexec_b32 s16, s17
	s_cbranch_execz .LBB4_191
	s_branch .LBB4_173
.LBB4_132:                              ;   in Loop: Header=BB4_57 Depth=2
	v_ashrrev_i32_e32 v9, 31, v3
	s_mov_b32 s17, exec_lo
	v_lshrrev_b32_e32 v9, 21, v9
	v_add_nc_u32_e32 v9, v3, v9
	v_ashrrev_i32_e32 v9, 11, v9
	v_sub_nc_u32_e32 v22, v9, v56
	v_cmpx_lt_i32_e32 0, v22
	s_cbranch_execz .LBB4_136
; %bb.133:                              ;   in Loop: Header=BB4_57 Depth=2
	v_mov_b32_e32 v17, v15
	v_mov_b32_e32 v19, v13
	;; [unrolled: 1-line block ×4, first 2 shown]
	s_mov_b32 s23, 0
	s_inst_prefetch 0x1
	.p2align	6
.LBB4_134:                              ;   Parent Loop BB4_47 Depth=1
                                        ;     Parent Loop BB4_57 Depth=2
                                        ; =>    This Inner Loop Header: Depth=3
	v_add_co_u32 v96, vcc_lo, v61, v18
	v_add_co_ci_u32_e64 v97, null, v73, v19, vcc_lo
	v_sub_nc_u32_e32 v22, v22, v103
	v_add_co_u32 v77, vcc_lo, v61, v16
	s_clause 0x3
	global_load_dwordx4 v[68:71], v[96:97], off slc
	global_load_dwordx4 v[80:83], v[96:97], off offset:512 slc
	global_load_dwordx4 v[84:87], v[96:97], off offset:1024 slc
	;; [unrolled: 1-line block ×3, first 2 shown]
	v_add_co_ci_u32_e64 v78, null, v73, v17, vcc_lo
	v_add_co_u32 v18, vcc_lo, v18, v42
	v_add_co_ci_u32_e64 v19, null, 0, v19, vcc_lo
	v_add_co_u32 v16, vcc_lo, v16, v42
	v_cmp_gt_i32_e64 s16, 1, v22
	v_add_co_ci_u32_e64 v17, null, 0, v17, vcc_lo
	s_waitcnt vmcnt(3)
	global_store_dwordx4 v[77:78], v[68:71], off glc slc
	s_waitcnt vmcnt(2)
	global_store_dwordx4 v[77:78], v[80:83], off offset:512 glc slc
	s_waitcnt vmcnt(1)
	global_store_dwordx4 v[77:78], v[84:87], off offset:1024 glc slc
	;; [unrolled: 2-line block ×3, first 2 shown]
	s_or_b32 s23, s16, s23
	s_andn2_b32 exec_lo, exec_lo, s23
	s_cbranch_execnz .LBB4_134
; %bb.135:                              ;   in Loop: Header=BB4_57 Depth=2
	s_inst_prefetch 0x2
	s_or_b32 exec_lo, exec_lo, s23
.LBB4_136:                              ;   in Loop: Header=BB4_57 Depth=2
	s_or_b32 exec_lo, exec_lo, s17
	v_lshlrev_b32_e32 v18, 11, v9
	v_mov_b32_e32 v9, 0
	s_mov_b32 s16, 0
	s_mov_b32 s23, exec_lo
                                        ; implicit-def: $vgpr16
                                        ; implicit-def: $vgpr17
                                        ; implicit-def: $vgpr69
	v_cmpx_ne_u32_e64 v3, v18
	s_cbranch_execz .LBB4_144
; %bb.137:                              ;   in Loop: Header=BB4_57 Depth=2
	v_lshlrev_b32_e32 v9, 5, v22
	v_sub_nc_u32_e32 v17, v3, v18
	s_mov_b32 s61, exec_lo
	v_sub_nc_u32_e32 v9, v58, v9
	v_ashrrev_i32_e32 v19, 31, v17
	v_ashrrev_i32_e32 v16, 31, v9
	v_lshrrev_b32_e32 v19, 23, v19
	v_lshrrev_b32_e32 v16, 27, v16
	v_add_nc_u32_e32 v68, v17, v19
	v_add_nc_u32_e32 v16, v9, v16
	v_and_b32_e32 v19, 0xfffffe00, v68
	v_ashrrev_i32_e32 v68, 9, v68
	v_and_b32_e32 v22, 0xffffffe0, v16
	v_sub_nc_u32_e32 v23, v17, v19
	v_ashrrev_i32_e32 v69, 5, v16
	v_sub_nc_u32_e32 v22, v9, v22
	v_cmp_lt_i32_e32 vcc_lo, 15, v23
	v_lshlrev_b32_e32 v9, 4, v22
	v_add_co_ci_u32_e64 v68, null, 0, v68, vcc_lo
	v_lshl_add_u32 v16, v69, 9, v9
	v_sub_nc_u32_e32 v68, v68, v69
	v_sub_nc_u32_e32 v9, v17, v16
	v_cmpx_lt_i32_e32 15, v9
	s_cbranch_execz .LBB4_141
; %bb.138:                              ;   in Loop: Header=BB4_57 Depth=2
	v_add_nc_u32_e32 v16, v16, v18
	s_mov_b32 s62, 0
	v_ashrrev_i32_e32 v17, 31, v16
	.p2align	6
.LBB4_139:                              ;   Parent Loop BB4_47 Depth=1
                                        ;     Parent Loop BB4_57 Depth=2
                                        ; =>    This Inner Loop Header: Depth=3
	v_add_co_u32 v69, s16, v12, v16
	v_add_co_ci_u32_e64 v70, null, v13, v17, s16
	v_sub_nc_u32_e32 v9, v9, v43
	v_sub_nc_u32_e32 v68, v68, v103
	global_load_dwordx4 v[80:83], v[69:70], off slc
	v_add_co_u32 v69, s16, v14, v16
	v_add_co_ci_u32_e64 v70, null, v15, v17, s16
	v_cmp_gt_i32_e64 s16, 16, v9
	v_add_co_u32 v16, s17, v16, v43
	v_add_co_ci_u32_e64 v17, null, 0, v17, s17
	s_or_b32 s62, s16, s62
	s_waitcnt vmcnt(0)
	global_store_dwordx4 v[69:70], v[80:83], off glc slc
	s_andn2_b32 exec_lo, exec_lo, s62
	s_cbranch_execnz .LBB4_139
; %bb.140:                              ;   in Loop: Header=BB4_57 Depth=2
	s_or_b32 exec_lo, exec_lo, s62
.LBB4_141:                              ;   in Loop: Header=BB4_57 Depth=2
	s_or_b32 exec_lo, exec_lo, s61
	v_and_b32_e32 v70, 15, v3
	v_mov_b32_e32 v9, 0
	s_mov_b32 s17, 0
	s_mov_b32 s61, exec_lo
                                        ; implicit-def: $vgpr17
                                        ; implicit-def: $vgpr69
	v_cndmask_b32_e32 v16, v23, v70, vcc_lo
	v_cmpx_ne_u32_e32 0, v16
	s_cbranch_execz .LBB4_143
; %bb.142:                              ;   in Loop: Header=BB4_57 Depth=2
	v_cmp_lt_i32_e64 s16, 0, v68
	s_mov_b32 s17, exec_lo
	v_cndmask_b32_e64 v9, 0, v103, s16
	v_sub_nc_u32_e32 v9, v9, v68
	v_lshl_add_u32 v17, v9, 5, v22
	v_sub_nc_u32_e32 v22, v23, v70
	v_ashrrev_i32_e32 v9, 31, v17
	v_cndmask_b32_e32 v22, 0, v22, vcc_lo
	v_lshrrev_b32_e32 v9, 27, v9
	v_add_nc_u32_e32 v23, v17, v9
	v_add3_u32 v9, v19, v18, v22
	v_ashrrev_i32_e32 v69, 5, v23
.LBB4_143:                              ;   in Loop: Header=BB4_57 Depth=2
	s_or_b32 exec_lo, exec_lo, s61
	s_and_b32 s16, s17, exec_lo
.LBB4_144:                              ;   in Loop: Header=BB4_57 Depth=2
	s_or_b32 exec_lo, exec_lo, s23
	s_and_saveexec_b32 s17, s16
	s_cbranch_execz .LBB4_153
.LBB4_145:                              ;   in Loop: Header=BB4_57 Depth=2
	v_ashrrev_i32_e32 v18, 31, v16
	v_ashrrev_i32_e32 v19, 31, v17
	s_mov_b32 s16, exec_lo
	v_lshrrev_b32_e32 v18, 23, v18
	v_lshrrev_b32_e32 v19, 27, v19
	v_add_nc_u32_e32 v18, v16, v18
	v_ashrrev_i32_e32 v22, 9, v18
	v_sub_nc_u32_e32 v18, v22, v69
	v_cmpx_lt_i32_e32 0, v18
	s_cbranch_execz .LBB4_149
; %bb.146:                              ;   in Loop: Header=BB4_57 Depth=2
	v_add_nc_u32_e32 v23, v17, v19
	v_lshlrev_b32_e32 v68, 9, v69
	s_mov_b32 s23, 0
	v_and_b32_e32 v23, 0xffffffe0, v23
	v_sub_nc_u32_e32 v23, v17, v23
	v_add3_u32 v23, v9, v23, v68
	v_ashrrev_i32_e32 v68, 31, v23
.LBB4_147:                              ;   Parent Loop BB4_47 Depth=1
                                        ;     Parent Loop BB4_57 Depth=2
                                        ; =>    This Inner Loop Header: Depth=3
	v_add_co_u32 v69, vcc_lo, v23, v12
	v_add_co_ci_u32_e64 v70, null, v68, v13, vcc_lo
	v_sub_nc_u32_e32 v18, v18, v103
	s_clause 0xf
	flat_load_ubyte v71, v[69:70] slc
	flat_load_ubyte v80, v[69:70] offset:32 slc
	flat_load_ubyte v81, v[69:70] offset:64 slc
	flat_load_ubyte v82, v[69:70] offset:96 slc
	flat_load_ubyte v83, v[69:70] offset:128 slc
	flat_load_ubyte v84, v[69:70] offset:160 slc
	flat_load_ubyte v85, v[69:70] offset:192 slc
	flat_load_ubyte v86, v[69:70] offset:224 slc
	flat_load_ubyte v87, v[69:70] offset:256 slc
	flat_load_ubyte v96, v[69:70] offset:288 slc
	flat_load_ubyte v97, v[69:70] offset:320 slc
	flat_load_ubyte v98, v[69:70] offset:352 slc
	flat_load_ubyte v99, v[69:70] offset:384 slc
	flat_load_ubyte v77, v[69:70] offset:416 slc
	flat_load_ubyte v78, v[69:70] offset:448 slc
	flat_load_ubyte v79, v[69:70] offset:480 slc
	v_add_co_u32 v69, vcc_lo, v23, v14
	v_add_co_ci_u32_e64 v70, null, v68, v15, vcc_lo
	v_add_co_u32 v12, vcc_lo, v12, v43
	v_add_co_ci_u32_e64 v13, null, 0, v13, vcc_lo
	;; [unrolled: 2-line block ×3, first 2 shown]
	v_cmp_gt_i32_e32 vcc_lo, 1, v18
	s_waitcnt vmcnt(15) lgkmcnt(15)
	flat_store_byte v[69:70], v71 glc slc
	s_waitcnt vmcnt(14) lgkmcnt(15)
	flat_store_byte v[69:70], v80 offset:32 glc slc
	s_waitcnt vmcnt(13) lgkmcnt(15)
	flat_store_byte v[69:70], v81 offset:64 glc slc
	;; [unrolled: 2-line block ×15, first 2 shown]
	s_or_b32 s23, vcc_lo, s23
	s_andn2_b32 exec_lo, exec_lo, s23
	s_cbranch_execnz .LBB4_147
; %bb.148:                              ;   in Loop: Header=BB4_57 Depth=2
	s_or_b32 exec_lo, exec_lo, s23
.LBB4_149:                              ;   in Loop: Header=BB4_57 Depth=2
	s_or_b32 exec_lo, exec_lo, s16
	v_lshlrev_b32_e32 v12, 9, v22
	v_cmp_ne_u32_e32 vcc_lo, v16, v12
	s_and_b32 exec_lo, exec_lo, vcc_lo
	s_cbranch_execz .LBB4_153
; %bb.150:                              ;   in Loop: Header=BB4_57 Depth=2
	v_add_nc_u32_e32 v13, v17, v19
	v_lshlrev_b32_e32 v14, 5, v18
	v_and_b32_e32 v13, 0xffffffe0, v13
	v_sub_nc_u32_e32 v13, v17, v13
	v_sub_nc_u32_e32 v13, v13, v14
	v_add_nc_u32_e32 v15, v12, v13
	v_sub_nc_u32_e32 v14, v16, v15
	v_cmp_lt_i32_e32 vcc_lo, 0, v14
	s_and_b32 exec_lo, exec_lo, vcc_lo
	s_cbranch_execz .LBB4_153
; %bb.151:                              ;   in Loop: Header=BB4_57 Depth=2
	s_trap 2
	ds_read_b64 v[12:13], v0
	v_add_nc_u32_e32 v9, v15, v9
	s_mov_b32 s23, 0
	v_ashrrev_i32_e32 v15, 31, v9
	.p2align	6
.LBB4_152:                              ;   Parent Loop BB4_47 Depth=1
                                        ;     Parent Loop BB4_57 Depth=2
                                        ; =>    This Inner Loop Header: Depth=3
	s_waitcnt lgkmcnt(0)
	v_add_co_u32 v16, vcc_lo, v12, v9
	v_add_co_ci_u32_e64 v17, null, v13, v15, vcc_lo
	v_sub_nc_u32_e32 v14, v14, v112
	v_add_co_u32 v9, s16, v9, v112
	flat_load_ubyte v18, v[16:17] slc
	v_add_co_ci_u32_e64 v15, null, 0, v15, s16
	v_cmp_gt_i32_e32 vcc_lo, 1, v14
	s_or_b32 s23, vcc_lo, s23
	s_waitcnt vmcnt(0) lgkmcnt(0)
	flat_store_byte v[16:17], v18 glc slc
	s_andn2_b32 exec_lo, exec_lo, s23
	s_cbranch_execnz .LBB4_152
.LBB4_153:                              ;   in Loop: Header=BB4_57 Depth=2
	s_or_b32 exec_lo, exec_lo, s17
	v_cmp_lt_i32_e64 s16, 0, v3
	s_and_saveexec_b32 s17, s6
	s_cbranch_execz .LBB4_128
.LBB4_154:                              ;   in Loop: Header=BB4_57 Depth=2
	s_and_saveexec_b32 s23, s29
	s_xor_b32 s23, exec_lo, s23
	s_cbranch_execz .LBB4_169
; %bb.155:                              ;   in Loop: Header=BB4_57 Depth=2
	s_and_saveexec_b32 s61, s11
	s_cbranch_execz .LBB4_168
; %bb.156:                              ;   in Loop: Header=BB4_57 Depth=2
	s_mov_b32 s63, exec_lo
	s_mov_b32 s62, exec_lo
	v_mbcnt_lo_u32_b32 v3, s63, 0
	s_waitcnt vmcnt(0) lgkmcnt(0)
	s_waitcnt_vscnt null, 0x0
	buffer_gl1_inv
	buffer_gl0_inv
	v_cmpx_eq_u32_e32 0, v3
	s_cbranch_execz .LBB4_158
; %bb.157:                              ;   in Loop: Header=BB4_57 Depth=2
	s_bcnt1_i32_b32 s63, s63
	v_mov_b32_e32 v13, v2
	v_mov_b32_e32 v12, s63
	ds_add_u64 v0, v[12:13]
	s_trap 2
.LBB4_158:                              ;   in Loop: Header=BB4_57 Depth=2
	s_or_b32 exec_lo, exec_lo, s62
	s_trap 2
	ds_read_b64 v[12:13], v0
	s_waitcnt lgkmcnt(0)
	buffer_gl0_inv
	v_add_co_u32 v38, vcc_lo, v38, v103
	v_add_co_ci_u32_e64 v39, null, 0, v39, vcc_lo
	s_mov_b32 s62, exec_lo
	v_cmpx_lt_u64_e64 v[12:13], v[38:39]
	s_cbranch_execz .LBB4_167
; %bb.159:                              ;   in Loop: Header=BB4_57 Depth=2
	s_mov_b32 s63, 0
	s_mov_b32 s74, 0
                                        ; implicit-def: $sgpr72
                                        ; implicit-def: $sgpr73
	s_inst_prefetch 0x1
	s_branch .LBB4_161
	.p2align	6
.LBB4_160:                              ;   in Loop: Header=BB4_161 Depth=3
	s_or_b32 exec_lo, exec_lo, s76
	s_and_b32 s75, exec_lo, s77
	s_or_b32 s63, s75, s63
	s_andn2_b32 s72, s72, exec_lo
	s_and_b32 s75, s73, exec_lo
	s_or_b32 s72, s72, s75
	s_andn2_b32 exec_lo, exec_lo, s63
	s_cbranch_execz .LBB4_165
.LBB4_161:                              ;   Parent Loop BB4_47 Depth=1
                                        ;     Parent Loop BB4_57 Depth=2
                                        ; =>    This Inner Loop Header: Depth=3
	s_add_i32 s74, s74, 1
	s_cmpk_lg_i32 s74, 0x2710
	s_cselect_b32 s75, -1, 0
	s_and_b32 vcc_lo, exec_lo, s75
	s_cbranch_vccz .LBB4_163
; %bb.162:                              ;   in Loop: Header=BB4_161 Depth=3
	s_mov_b32 s77, -1
	s_or_b32 s73, s73, exec_lo
	s_and_saveexec_b32 s76, s75
	s_cbranch_execz .LBB4_160
	s_branch .LBB4_164
	.p2align	6
.LBB4_163:                              ;   in Loop: Header=BB4_161 Depth=3
	s_trap 2
	ds_read_b64 v[12:13], v0
	s_andn2_b32 s75, s75, exec_lo
	s_mov_b32 s74, 0
	s_waitcnt lgkmcnt(0)
	flat_load_dword v3, v[12:13] glc dlc
	s_waitcnt vmcnt(0) lgkmcnt(0)
	buffer_gl1_inv
	buffer_gl0_inv
	v_cmp_eq_u32_e32 vcc_lo, 0, v3
	s_and_b32 s76, vcc_lo, exec_lo
	s_or_b32 s75, s75, s76
	s_mov_b32 s77, -1
	s_or_b32 s73, s73, exec_lo
	s_and_saveexec_b32 s76, s75
	s_cbranch_execz .LBB4_160
.LBB4_164:                              ;   in Loop: Header=BB4_161 Depth=3
	s_sleep 1
	s_trap 2
	ds_read_b64 v[12:13], v0
	s_waitcnt lgkmcnt(0)
	buffer_gl0_inv
	s_andn2_b32 s73, s73, exec_lo
	v_cmp_ge_u64_e32 vcc_lo, v[12:13], v[38:39]
	s_orn2_b32 s77, vcc_lo, exec_lo
	s_branch .LBB4_160
.LBB4_165:                              ;   in Loop: Header=BB4_57 Depth=2
	s_inst_prefetch 0x2
	s_or_b32 exec_lo, exec_lo, s63
	s_and_saveexec_b32 s63, s72
	s_xor_b32 s63, exec_lo, s63
	s_cbranch_execz .LBB4_167
; %bb.166:                              ;   in Loop: Header=BB4_57 Depth=2
	ds_write_b32 v0, v113
	s_trap 2
.LBB4_167:                              ;   in Loop: Header=BB4_57 Depth=2
	s_or_b32 exec_lo, exec_lo, s62
	;;#ASMSTART
	s_wakeup
	;;#ASMEND
.LBB4_168:                              ;   in Loop: Header=BB4_57 Depth=2
	s_or_b32 exec_lo, exec_lo, s61
.LBB4_169:                              ;   in Loop: Header=BB4_57 Depth=2
	s_andn2_saveexec_b32 s23, s23
	s_cbranch_execz .LBB4_171
; %bb.170:                              ;   in Loop: Header=BB4_57 Depth=2
	s_waitcnt vmcnt(0) lgkmcnt(0)
	s_waitcnt_vscnt null, 0x0
	buffer_gl1_inv
	buffer_gl0_inv
	s_barrier
.LBB4_171:                              ;   in Loop: Header=BB4_57 Depth=2
	s_or_b32 exec_lo, exec_lo, s23
	s_or_b32 exec_lo, exec_lo, s17
                                        ; implicit-def: $vgpr3
	s_and_saveexec_b32 s17, s13
	s_xor_b32 s17, exec_lo, s17
	s_cbranch_execnz .LBB4_129
.LBB4_172:                              ;   in Loop: Header=BB4_57 Depth=2
	s_andn2_saveexec_b32 s16, s17
	s_cbranch_execz .LBB4_191
.LBB4_173:                              ;   in Loop: Header=BB4_57 Depth=2
	s_and_saveexec_b32 s17, s29
	s_xor_b32 s17, exec_lo, s17
	s_cbranch_execz .LBB4_188
; %bb.174:                              ;   in Loop: Header=BB4_57 Depth=2
	s_and_saveexec_b32 s23, s11
	s_cbranch_execz .LBB4_187
; %bb.175:                              ;   in Loop: Header=BB4_57 Depth=2
	s_mov_b32 s62, exec_lo
	s_mov_b32 s61, exec_lo
	v_mbcnt_lo_u32_b32 v3, s62, 0
	;;#ASMSTART
	s_waitcnt lgkmcnt(0) vmcnt(0)
	;;#ASMEND
	v_cmpx_eq_u32_e32 0, v3
	s_cbranch_execz .LBB4_177
; %bb.176:                              ;   in Loop: Header=BB4_57 Depth=2
	s_bcnt1_i32_b32 s62, s62
	v_mov_b32_e32 v13, v2
	v_mov_b32_e32 v12, s62
	s_waitcnt vmcnt(0) lgkmcnt(0)
	s_waitcnt_vscnt null, 0x0
	ds_add_u64 v0, v[12:13]
	s_trap 2
.LBB4_177:                              ;   in Loop: Header=BB4_57 Depth=2
	s_or_b32 exec_lo, exec_lo, s61
	s_trap 2
	ds_read_b64 v[12:13], v0
	s_waitcnt vmcnt(0) lgkmcnt(0)
	buffer_gl0_inv
	v_add_co_u32 v38, vcc_lo, v38, v103
	v_add_co_ci_u32_e64 v39, null, 0, v39, vcc_lo
	s_mov_b32 s61, exec_lo
	v_cmpx_lt_u64_e64 v[12:13], v[38:39]
	s_cbranch_execz .LBB4_186
; %bb.178:                              ;   in Loop: Header=BB4_57 Depth=2
	s_mov_b32 s62, 0
	s_mov_b32 s73, 0
                                        ; implicit-def: $sgpr63
                                        ; implicit-def: $sgpr72
	s_inst_prefetch 0x1
	s_branch .LBB4_180
	.p2align	6
.LBB4_179:                              ;   in Loop: Header=BB4_180 Depth=3
	s_or_b32 exec_lo, exec_lo, s75
	s_and_b32 s74, exec_lo, s76
	s_or_b32 s62, s74, s62
	s_andn2_b32 s63, s63, exec_lo
	s_and_b32 s74, s72, exec_lo
	s_or_b32 s63, s63, s74
	s_andn2_b32 exec_lo, exec_lo, s62
	s_cbranch_execz .LBB4_184
.LBB4_180:                              ;   Parent Loop BB4_47 Depth=1
                                        ;     Parent Loop BB4_57 Depth=2
                                        ; =>    This Inner Loop Header: Depth=3
	s_add_i32 s73, s73, 1
	s_cmpk_lg_i32 s73, 0x2710
	s_cselect_b32 s74, -1, 0
	s_and_b32 vcc_lo, exec_lo, s74
	s_cbranch_vccz .LBB4_182
; %bb.181:                              ;   in Loop: Header=BB4_180 Depth=3
	s_mov_b32 s76, -1
	s_or_b32 s72, s72, exec_lo
	s_and_saveexec_b32 s75, s74
	s_cbranch_execz .LBB4_179
	s_branch .LBB4_183
	.p2align	6
.LBB4_182:                              ;   in Loop: Header=BB4_180 Depth=3
	s_trap 2
	ds_read_b64 v[12:13], v0
	s_andn2_b32 s74, s74, exec_lo
	s_mov_b32 s73, 0
	s_waitcnt lgkmcnt(0)
	s_waitcnt_vscnt null, 0x0
	flat_load_dword v3, v[12:13] glc dlc
	s_waitcnt vmcnt(0) lgkmcnt(0)
	buffer_gl1_inv
	buffer_gl0_inv
	v_cmp_eq_u32_e32 vcc_lo, 0, v3
	s_and_b32 s75, vcc_lo, exec_lo
	s_or_b32 s74, s74, s75
	s_mov_b32 s76, -1
	s_or_b32 s72, s72, exec_lo
	s_and_saveexec_b32 s75, s74
	s_cbranch_execz .LBB4_179
.LBB4_183:                              ;   in Loop: Header=BB4_180 Depth=3
	s_sleep 1
	s_trap 2
	ds_read_b64 v[12:13], v0
	s_waitcnt lgkmcnt(0)
	buffer_gl0_inv
	s_andn2_b32 s72, s72, exec_lo
	v_cmp_ge_u64_e32 vcc_lo, v[12:13], v[38:39]
	s_orn2_b32 s76, vcc_lo, exec_lo
	s_branch .LBB4_179
.LBB4_184:                              ;   in Loop: Header=BB4_57 Depth=2
	s_inst_prefetch 0x2
	s_or_b32 exec_lo, exec_lo, s62
	s_and_saveexec_b32 s62, s63
	s_xor_b32 s62, exec_lo, s62
	s_cbranch_execz .LBB4_186
; %bb.185:                              ;   in Loop: Header=BB4_57 Depth=2
	ds_write_b32 v0, v113
	s_trap 2
.LBB4_186:                              ;   in Loop: Header=BB4_57 Depth=2
	s_or_b32 exec_lo, exec_lo, s61
	;;#ASMSTART
	s_wakeup
	;;#ASMEND
.LBB4_187:                              ;   in Loop: Header=BB4_57 Depth=2
	s_or_b32 exec_lo, exec_lo, s23
.LBB4_188:                              ;   in Loop: Header=BB4_57 Depth=2
	s_andn2_saveexec_b32 s17, s17
	s_cbranch_execz .LBB4_190
; %bb.189:                              ;   in Loop: Header=BB4_57 Depth=2
	;;#ASMSTART
	s_waitcnt lgkmcnt(0) vmcnt(0)
	;;#ASMEND
	s_barrier
.LBB4_190:                              ;   in Loop: Header=BB4_57 Depth=2
	s_or_b32 exec_lo, exec_lo, s17
	v_and_b32_e32 v3, 16, v100
.LBB4_191:                              ;   in Loop: Header=BB4_57 Depth=2
	s_or_b32 exec_lo, exec_lo, s16
	s_mov_b32 s16, exec_lo
	v_cmpx_ne_u32_e32 0, v3
	s_cbranch_execz .LBB4_56
; %bb.192:                              ;   in Loop: Header=BB4_57 Depth=2
	s_and_saveexec_b32 s17, s10
	s_cbranch_execz .LBB4_55
; %bb.193:                              ;   in Loop: Header=BB4_57 Depth=2
	s_waitcnt vmcnt(0) lgkmcnt(0)
	s_waitcnt_vscnt null, 0x0
	flat_store_dword v[36:37], v113
	s_branch .LBB4_55
.LBB4_194:                              ;   in Loop: Header=BB4_47 Depth=1
	s_or_b32 exec_lo, exec_lo, s19
.LBB4_195:                              ;   in Loop: Header=BB4_47 Depth=1
	s_or_b32 exec_lo, exec_lo, s18
	s_mov_b32 s17, exec_lo
	v_cmpx_gt_i32_e32 2, v3
	s_cbranch_execz .LBB4_267
; %bb.196:                              ;   in Loop: Header=BB4_47 Depth=1
	v_cmp_eq_u32_e64 s19, 0, v3
	s_mov_b32 s18, 0
	s_branch .LBB4_199
.LBB4_197:                              ;   in Loop: Header=BB4_199 Depth=2
	s_or_b32 exec_lo, exec_lo, s19
	v_add_co_u32 v64, vcc_lo, v64, 2
	v_add_co_ci_u32_e64 v65, null, 0, v65, vcc_lo
	s_waitcnt vmcnt(0) lgkmcnt(0)
	s_waitcnt_vscnt null, 0x0
	flat_store_dwordx2 v[32:33], v[64:65]
.LBB4_198:                              ;   in Loop: Header=BB4_199 Depth=2
	s_or_b32 exec_lo, exec_lo, s16
	v_add_nc_u32_e32 v21, v8, v21
	s_mov_b32 s19, 0
	s_andn2_b32 exec_lo, exec_lo, s18
	s_cbranch_execz .LBB4_266
.LBB4_199:                              ;   Parent Loop BB4_47 Depth=1
                                        ; =>  This Loop Header: Depth=2
                                        ;       Child Loop BB4_205 Depth 3
                                        ;       Child Loop BB4_229 Depth 3
	;; [unrolled: 1-line block ×3, first 2 shown]
	v_sub_nc_u32_e32 v3, v20, v21
	v_and_b32_e32 v9, 8, v100
	s_mov_b32 s21, exec_lo
	v_min_i32_e32 v8, v8, v3
	v_cmpx_ne_u32_e32 0, v9
	s_cbranch_execz .LBB4_221
; %bb.200:                              ;   in Loop: Header=BB4_199 Depth=2
	s_waitcnt vmcnt(0) lgkmcnt(1)
	v_add_co_u32 v12, vcc_lo, v48, 8
	v_add_co_ci_u32_e64 v13, null, 0, v49, vcc_lo
	v_add_co_u32 v10, vcc_lo, v64, 2
	v_add_co_ci_u32_e64 v11, null, 0, v65, vcc_lo
	s_mov_b32 s22, exec_lo
	v_cmpx_lt_u64_e64 v[12:13], v[10:11]
	s_cbranch_execz .LBB4_212
; %bb.201:                              ;   in Loop: Header=BB4_199 Depth=2
	v_and_b32_e32 v3, 64, v100
	s_mov_b32 s23, 0
	s_mov_b32 s72, 0
                                        ; implicit-def: $sgpr61
                                        ; implicit-def: $sgpr62
                                        ; implicit-def: $sgpr63
	v_cmp_eq_u32_e32 vcc_lo, 0, v3
	s_branch .LBB4_205
.LBB4_202:                              ;   in Loop: Header=BB4_205 Depth=3
	s_waitcnt vmcnt(0) lgkmcnt(0)
	v_add_co_u32 v12, s16, v48, 8
	v_add_co_ci_u32_e64 v13, null, 0, v49, s16
	s_or_b32 s75, s75, exec_lo
	v_cmp_ge_u64_e64 s16, v[12:13], v[10:11]
	s_orn2_b32 s74, s16, exec_lo
.LBB4_203:                              ;   in Loop: Header=BB4_205 Depth=3
	s_or_b32 exec_lo, exec_lo, s77
	s_andn2_b32 s16, s63, exec_lo
	s_and_b32 s63, s75, exec_lo
	s_andn2_b32 s62, s62, exec_lo
	s_and_b32 s74, s74, exec_lo
	s_or_b32 s63, s16, s63
	s_or_b32 s62, s62, s74
.LBB4_204:                              ;   in Loop: Header=BB4_205 Depth=3
	s_or_b32 exec_lo, exec_lo, s73
	s_and_b32 s16, exec_lo, s62
	s_or_b32 s23, s16, s23
	s_andn2_b32 s16, s61, exec_lo
	s_and_b32 s61, s63, exec_lo
	s_or_b32 s61, s16, s61
	s_andn2_b32 exec_lo, exec_lo, s23
	s_cbranch_execz .LBB4_209
.LBB4_205:                              ;   Parent Loop BB4_47 Depth=1
                                        ;     Parent Loop BB4_199 Depth=2
                                        ; =>    This Inner Loop Header: Depth=3
	s_sleep 1
	s_waitcnt vmcnt(0) lgkmcnt(0)
	flat_load_dwordx2 v[48:49], v[32:33] glc dlc
	s_or_b32 s63, s63, exec_lo
	s_or_b32 s62, s62, exec_lo
                                        ; implicit-def: $vgpr3
	s_and_saveexec_b32 s73, vcc_lo
	s_cbranch_execz .LBB4_204
; %bb.206:                              ;   in Loop: Header=BB4_205 Depth=3
	s_cmpk_lt_i32 s72, 0x270f
	s_mov_b32 s74, -1
	s_cselect_b32 s76, -1, 0
	s_cmpk_gt_i32 s72, 0x270e
	s_cbranch_scc0 .LBB4_208
; %bb.207:                              ;   in Loop: Header=BB4_205 Depth=3
	s_trap 2
	ds_read_b64 v[12:13], v0
	s_andn2_b32 s72, s76, exec_lo
	s_mov_b32 s75, 0
	s_waitcnt vmcnt(0) lgkmcnt(0)
	s_waitcnt_vscnt null, 0x0
	flat_load_dword v3, v[12:13] glc dlc
	s_waitcnt vmcnt(0) lgkmcnt(0)
	buffer_gl1_inv
	buffer_gl0_inv
	v_cmp_eq_u32_e64 s16, 0, v3
	s_and_b32 s16, s16, exec_lo
	s_or_b32 s76, s72, s16
	s_mov_b32 s72, 0
	s_and_saveexec_b32 s77, s76
	s_cbranch_execz .LBB4_203
	s_branch .LBB4_202
.LBB4_208:                              ;   in Loop: Header=BB4_205 Depth=3
	s_add_i32 s72, s72, 1
	s_mov_b32 s75, -1
                                        ; implicit-def: $vgpr3
	s_and_saveexec_b32 s77, s76
	s_cbranch_execz .LBB4_203
	s_branch .LBB4_202
.LBB4_209:                              ;   in Loop: Header=BB4_199 Depth=2
	s_or_b32 exec_lo, exec_lo, s23
	s_xor_b32 s16, s61, -1
	s_and_saveexec_b32 s23, s16
	s_xor_b32 s16, exec_lo, s23
	s_cbranch_execz .LBB4_211
; %bb.210:                              ;   in Loop: Header=BB4_199 Depth=2
	v_or_b32_e32 v100, 64, v100
	s_waitcnt vmcnt(0) lgkmcnt(0)
	s_waitcnt_vscnt null, 0x0
	ds_write_b32 v0, v3
	s_trap 2
.LBB4_211:                              ;   in Loop: Header=BB4_199 Depth=2
	s_or_b32 exec_lo, exec_lo, s16
.LBB4_212:                              ;   in Loop: Header=BB4_199 Depth=2
	s_or_b32 exec_lo, exec_lo, s22
	v_and_b32_e32 v3, 0x100, v100
	s_mov_b32 s16, -1
	;;#ASMSTART
	s_wakeup
	;;#ASMEND
                                        ; implicit-def: $vgpr12_vgpr13
	v_cmp_ne_u32_e32 vcc_lo, 0, v3
	v_and_b32_e32 v3, 7, v64
	s_and_saveexec_b32 s22, vcc_lo
	s_cbranch_execz .LBB4_216
; %bb.213:                              ;   in Loop: Header=BB4_199 Depth=2
	v_mad_u64_u32 v[14:15], null, v3, 24, v[6:7]
	v_ashrrev_i32_e32 v9, 31, v8
	flat_load_dword v12, v[14:15]
	flat_store_dwordx2 v[14:15], v[8:9] offset:8
	s_waitcnt vmcnt(0) lgkmcnt(1)
	v_cmp_eq_u32_e64 s16, 1, v12
	v_cmp_ne_u32_e32 vcc_lo, 1, v12
                                        ; implicit-def: $vgpr12_vgpr13
	s_and_saveexec_b32 s23, s16
	s_cbranch_execz .LBB4_215
; %bb.214:                              ;   in Loop: Header=BB4_199 Depth=2
	flat_load_dword v12, v[14:15] offset:4 glc dlc
	s_waitcnt vmcnt(0) lgkmcnt(0)
	v_ashrrev_i32_e32 v13, 31, v12
.LBB4_215:                              ;   in Loop: Header=BB4_199 Depth=2
	s_or_b32 exec_lo, exec_lo, s23
	s_orn2_b32 s16, vcc_lo, exec_lo
.LBB4_216:                              ;   in Loop: Header=BB4_199 Depth=2
	s_or_b32 exec_lo, exec_lo, s22
	s_and_saveexec_b32 s22, s16
; %bb.217:                              ;   in Loop: Header=BB4_199 Depth=2
	v_mad_i64_i32 v[12:13], null, v3, v101, 0
; %bb.218:                              ;   in Loop: Header=BB4_199 Depth=2
	s_or_b32 exec_lo, exec_lo, s22
	v_add_co_u32 v12, vcc_lo, v34, v12
	v_and_b32_e32 v3, 0x2000, v100
	v_add_co_ci_u32_e64 v13, null, v35, v13, vcc_lo
	s_mov_b32 s16, exec_lo
	ds_write_b64 v0, v[12:13] offset:784
	v_cmpx_ne_u32_e32 0, v3
	s_cbranch_execz .LBB4_220
; %bb.219:                              ;   in Loop: Header=BB4_199 Depth=2
	ds_read_b64 v[12:13], v0 offset:872
	s_waitcnt lgkmcnt(0)
	v_add_co_u32 v12, vcc_lo, v12, 1
	v_add_co_ci_u32_e64 v13, null, 0, v13, vcc_lo
	ds_write_b64 v0, v[12:13] offset:872
.LBB4_220:                              ;   in Loop: Header=BB4_199 Depth=2
	s_or_b32 exec_lo, exec_lo, s16
	v_mov_b32_e32 v65, v11
	v_mov_b32_e32 v64, v10
.LBB4_221:                              ;   in Loop: Header=BB4_199 Depth=2
	s_or_b32 exec_lo, exec_lo, s21
	s_xor_b32 s16, s19, -1
	s_and_b32 s16, exec_lo, s16
	s_or_b32 s18, s16, s18
	s_and_saveexec_b32 s16, s6
	s_cbranch_execz .LBB4_240
; %bb.222:                              ;   in Loop: Header=BB4_199 Depth=2
	s_and_saveexec_b32 s19, s29
	s_xor_b32 s19, exec_lo, s19
	s_cbranch_execz .LBB4_237
; %bb.223:                              ;   in Loop: Header=BB4_199 Depth=2
	s_and_saveexec_b32 s21, s11
	s_cbranch_execz .LBB4_236
; %bb.224:                              ;   in Loop: Header=BB4_199 Depth=2
	s_mov_b32 s23, exec_lo
	s_mov_b32 s22, exec_lo
	v_mbcnt_lo_u32_b32 v3, s23, 0
	s_waitcnt vmcnt(0) lgkmcnt(0)
	s_waitcnt_vscnt null, 0x0
	buffer_gl1_inv
	buffer_gl0_inv
	v_cmpx_eq_u32_e32 0, v3
	s_cbranch_execz .LBB4_226
; %bb.225:                              ;   in Loop: Header=BB4_199 Depth=2
	s_bcnt1_i32_b32 s23, s23
	v_mov_b32_e32 v10, v2
	v_mov_b32_e32 v9, s23
	ds_add_u64 v0, v[9:10]
	s_trap 2
.LBB4_226:                              ;   in Loop: Header=BB4_199 Depth=2
	s_or_b32 exec_lo, exec_lo, s22
	s_trap 2
	ds_read_b64 v[9:10], v0
	s_waitcnt lgkmcnt(0)
	buffer_gl0_inv
	v_add_co_u32 v38, vcc_lo, v38, v103
	v_add_co_ci_u32_e64 v39, null, 0, v39, vcc_lo
	s_mov_b32 s22, exec_lo
	v_cmpx_lt_u64_e64 v[9:10], v[38:39]
	s_cbranch_execz .LBB4_235
; %bb.227:                              ;   in Loop: Header=BB4_199 Depth=2
	s_mov_b32 s23, 0
	s_mov_b32 s63, 0
                                        ; implicit-def: $sgpr61
                                        ; implicit-def: $sgpr62
	s_inst_prefetch 0x1
	s_branch .LBB4_229
	.p2align	6
.LBB4_228:                              ;   in Loop: Header=BB4_229 Depth=3
	s_or_b32 exec_lo, exec_lo, s73
	s_and_b32 s72, exec_lo, s74
	s_or_b32 s23, s72, s23
	s_andn2_b32 s61, s61, exec_lo
	s_and_b32 s72, s62, exec_lo
	s_or_b32 s61, s61, s72
	s_andn2_b32 exec_lo, exec_lo, s23
	s_cbranch_execz .LBB4_233
.LBB4_229:                              ;   Parent Loop BB4_47 Depth=1
                                        ;     Parent Loop BB4_199 Depth=2
                                        ; =>    This Inner Loop Header: Depth=3
	s_add_i32 s63, s63, 1
	s_cmpk_lg_i32 s63, 0x2710
	s_cselect_b32 s72, -1, 0
	s_and_b32 vcc_lo, exec_lo, s72
	s_cbranch_vccz .LBB4_231
; %bb.230:                              ;   in Loop: Header=BB4_229 Depth=3
	s_mov_b32 s74, -1
	s_or_b32 s62, s62, exec_lo
	s_and_saveexec_b32 s73, s72
	s_cbranch_execz .LBB4_228
	s_branch .LBB4_232
	.p2align	6
.LBB4_231:                              ;   in Loop: Header=BB4_229 Depth=3
	s_trap 2
	ds_read_b64 v[9:10], v0
	s_andn2_b32 s72, s72, exec_lo
	s_mov_b32 s63, 0
	s_waitcnt lgkmcnt(0)
	flat_load_dword v3, v[9:10] glc dlc
	s_waitcnt vmcnt(0) lgkmcnt(0)
	buffer_gl1_inv
	buffer_gl0_inv
	v_cmp_eq_u32_e32 vcc_lo, 0, v3
	s_and_b32 s73, vcc_lo, exec_lo
	s_or_b32 s72, s72, s73
	s_mov_b32 s74, -1
	s_or_b32 s62, s62, exec_lo
	s_and_saveexec_b32 s73, s72
	s_cbranch_execz .LBB4_228
.LBB4_232:                              ;   in Loop: Header=BB4_229 Depth=3
	s_sleep 1
	s_trap 2
	ds_read_b64 v[9:10], v0
	s_waitcnt lgkmcnt(0)
	buffer_gl0_inv
	s_andn2_b32 s62, s62, exec_lo
	v_cmp_ge_u64_e32 vcc_lo, v[9:10], v[38:39]
	s_orn2_b32 s74, vcc_lo, exec_lo
	s_branch .LBB4_228
.LBB4_233:                              ;   in Loop: Header=BB4_199 Depth=2
	s_inst_prefetch 0x2
	s_or_b32 exec_lo, exec_lo, s23
	s_and_saveexec_b32 s23, s61
	s_xor_b32 s23, exec_lo, s23
	s_cbranch_execz .LBB4_235
; %bb.234:                              ;   in Loop: Header=BB4_199 Depth=2
	ds_write_b32 v0, v113
	s_trap 2
.LBB4_235:                              ;   in Loop: Header=BB4_199 Depth=2
	s_or_b32 exec_lo, exec_lo, s22
	;;#ASMSTART
	s_wakeup
	;;#ASMEND
.LBB4_236:                              ;   in Loop: Header=BB4_199 Depth=2
	s_or_b32 exec_lo, exec_lo, s21
.LBB4_237:                              ;   in Loop: Header=BB4_199 Depth=2
	s_andn2_saveexec_b32 s19, s19
	s_cbranch_execz .LBB4_239
; %bb.238:                              ;   in Loop: Header=BB4_199 Depth=2
	s_waitcnt vmcnt(0) lgkmcnt(0)
	s_waitcnt_vscnt null, 0x0
	buffer_gl1_inv
	buffer_gl0_inv
	s_barrier
.LBB4_239:                              ;   in Loop: Header=BB4_199 Depth=2
	s_or_b32 exec_lo, exec_lo, s19
.LBB4_240:                              ;   in Loop: Header=BB4_199 Depth=2
	s_or_b32 exec_lo, exec_lo, s16
                                        ; implicit-def: $vgpr3
	s_and_saveexec_b32 s16, s13
	s_xor_b32 s19, exec_lo, s16
	s_cbranch_execz .LBB4_244
; %bb.241:                              ;   in Loop: Header=BB4_199 Depth=2
	s_trap 2
	ds_read_b32 v3, v0
	v_cmp_lt_i32_e32 vcc_lo, 0, v8
	s_waitcnt lgkmcnt(0)
	v_readfirstlane_b32 s16, v3
	v_and_b32_e32 v3, 16, v100
	s_cmp_eq_u32 s16, 0
	v_cmp_ne_u32_e64 s16, 0, v3
	s_cselect_b32 s21, -1, 0
	v_and_b32_e32 v3, 16, v100
	s_and_b32 s21, vcc_lo, s21
	s_and_b32 s21, s16, s21
	s_and_saveexec_b32 s16, s21
	s_cbranch_execz .LBB4_243
; %bb.242:                              ;   in Loop: Header=BB4_199 Depth=2
	v_mov_b32_e32 v3, 1
	s_waitcnt vmcnt(0)
	s_waitcnt_vscnt null, 0x0
	buffer_gl1_inv
	buffer_gl0_inv
.LBB4_243:                              ;   in Loop: Header=BB4_199 Depth=2
	s_or_b32 exec_lo, exec_lo, s16
	s_andn2_saveexec_b32 s16, s19
	s_cbranch_execz .LBB4_263
	s_branch .LBB4_245
.LBB4_244:                              ;   in Loop: Header=BB4_199 Depth=2
	s_andn2_saveexec_b32 s16, s19
	s_cbranch_execz .LBB4_263
.LBB4_245:                              ;   in Loop: Header=BB4_199 Depth=2
	s_and_saveexec_b32 s19, s29
	s_xor_b32 s19, exec_lo, s19
	s_cbranch_execz .LBB4_260
; %bb.246:                              ;   in Loop: Header=BB4_199 Depth=2
	s_and_saveexec_b32 s21, s11
	s_cbranch_execz .LBB4_259
; %bb.247:                              ;   in Loop: Header=BB4_199 Depth=2
	s_mov_b32 s23, exec_lo
	s_mov_b32 s22, exec_lo
	v_mbcnt_lo_u32_b32 v3, s23, 0
	;;#ASMSTART
	s_waitcnt lgkmcnt(0) vmcnt(0)
	;;#ASMEND
	v_cmpx_eq_u32_e32 0, v3
	s_cbranch_execz .LBB4_249
; %bb.248:                              ;   in Loop: Header=BB4_199 Depth=2
	s_bcnt1_i32_b32 s23, s23
	v_mov_b32_e32 v10, v2
	v_mov_b32_e32 v9, s23
	s_waitcnt vmcnt(0) lgkmcnt(0)
	s_waitcnt_vscnt null, 0x0
	ds_add_u64 v0, v[9:10]
	s_trap 2
.LBB4_249:                              ;   in Loop: Header=BB4_199 Depth=2
	s_or_b32 exec_lo, exec_lo, s22
	s_trap 2
	ds_read_b64 v[9:10], v0
	s_waitcnt vmcnt(0) lgkmcnt(0)
	buffer_gl0_inv
	v_add_co_u32 v38, vcc_lo, v38, v103
	v_add_co_ci_u32_e64 v39, null, 0, v39, vcc_lo
	s_mov_b32 s22, exec_lo
	v_cmpx_lt_u64_e64 v[9:10], v[38:39]
	s_cbranch_execz .LBB4_258
; %bb.250:                              ;   in Loop: Header=BB4_199 Depth=2
	s_mov_b32 s23, 0
	s_mov_b32 s63, 0
                                        ; implicit-def: $sgpr61
                                        ; implicit-def: $sgpr62
	s_inst_prefetch 0x1
	s_branch .LBB4_252
	.p2align	6
.LBB4_251:                              ;   in Loop: Header=BB4_252 Depth=3
	s_or_b32 exec_lo, exec_lo, s73
	s_and_b32 s72, exec_lo, s74
	s_or_b32 s23, s72, s23
	s_andn2_b32 s61, s61, exec_lo
	s_and_b32 s72, s62, exec_lo
	s_or_b32 s61, s61, s72
	s_andn2_b32 exec_lo, exec_lo, s23
	s_cbranch_execz .LBB4_256
.LBB4_252:                              ;   Parent Loop BB4_47 Depth=1
                                        ;     Parent Loop BB4_199 Depth=2
                                        ; =>    This Inner Loop Header: Depth=3
	s_add_i32 s63, s63, 1
	s_cmpk_lg_i32 s63, 0x2710
	s_cselect_b32 s72, -1, 0
	s_and_b32 vcc_lo, exec_lo, s72
	s_cbranch_vccz .LBB4_254
; %bb.253:                              ;   in Loop: Header=BB4_252 Depth=3
	s_mov_b32 s74, -1
	s_or_b32 s62, s62, exec_lo
	s_and_saveexec_b32 s73, s72
	s_cbranch_execz .LBB4_251
	s_branch .LBB4_255
	.p2align	6
.LBB4_254:                              ;   in Loop: Header=BB4_252 Depth=3
	s_trap 2
	ds_read_b64 v[9:10], v0
	s_andn2_b32 s72, s72, exec_lo
	s_mov_b32 s63, 0
	s_waitcnt lgkmcnt(0)
	s_waitcnt_vscnt null, 0x0
	flat_load_dword v3, v[9:10] glc dlc
	s_waitcnt vmcnt(0) lgkmcnt(0)
	buffer_gl1_inv
	buffer_gl0_inv
	v_cmp_eq_u32_e32 vcc_lo, 0, v3
	s_and_b32 s73, vcc_lo, exec_lo
	s_or_b32 s72, s72, s73
	s_mov_b32 s74, -1
	s_or_b32 s62, s62, exec_lo
	s_and_saveexec_b32 s73, s72
	s_cbranch_execz .LBB4_251
.LBB4_255:                              ;   in Loop: Header=BB4_252 Depth=3
	s_sleep 1
	s_trap 2
	ds_read_b64 v[9:10], v0
	s_waitcnt lgkmcnt(0)
	buffer_gl0_inv
	s_andn2_b32 s62, s62, exec_lo
	v_cmp_ge_u64_e32 vcc_lo, v[9:10], v[38:39]
	s_orn2_b32 s74, vcc_lo, exec_lo
	s_branch .LBB4_251
.LBB4_256:                              ;   in Loop: Header=BB4_199 Depth=2
	s_inst_prefetch 0x2
	s_or_b32 exec_lo, exec_lo, s23
	s_and_saveexec_b32 s23, s61
	s_xor_b32 s23, exec_lo, s23
	s_cbranch_execz .LBB4_258
; %bb.257:                              ;   in Loop: Header=BB4_199 Depth=2
	ds_write_b32 v0, v113
	s_trap 2
.LBB4_258:                              ;   in Loop: Header=BB4_199 Depth=2
	s_or_b32 exec_lo, exec_lo, s22
	;;#ASMSTART
	s_wakeup
	;;#ASMEND
.LBB4_259:                              ;   in Loop: Header=BB4_199 Depth=2
	s_or_b32 exec_lo, exec_lo, s21
.LBB4_260:                              ;   in Loop: Header=BB4_199 Depth=2
	s_andn2_saveexec_b32 s19, s19
	s_cbranch_execz .LBB4_262
; %bb.261:                              ;   in Loop: Header=BB4_199 Depth=2
	;;#ASMSTART
	s_waitcnt lgkmcnt(0) vmcnt(0)
	;;#ASMEND
	s_barrier
.LBB4_262:                              ;   in Loop: Header=BB4_199 Depth=2
	s_or_b32 exec_lo, exec_lo, s19
	v_and_b32_e32 v3, 16, v100
.LBB4_263:                              ;   in Loop: Header=BB4_199 Depth=2
	s_or_b32 exec_lo, exec_lo, s16
	s_mov_b32 s16, exec_lo
	v_cmpx_ne_u32_e32 0, v3
	s_cbranch_execz .LBB4_198
; %bb.264:                              ;   in Loop: Header=BB4_199 Depth=2
	s_and_saveexec_b32 s19, s10
	s_cbranch_execz .LBB4_197
; %bb.265:                              ;   in Loop: Header=BB4_199 Depth=2
	s_waitcnt vmcnt(0) lgkmcnt(0)
	s_waitcnt_vscnt null, 0x0
	flat_store_dword v[36:37], v113
	s_branch .LBB4_197
.LBB4_266:                              ;   in Loop: Header=BB4_47 Depth=1
	s_or_b32 exec_lo, exec_lo, s18
.LBB4_267:                              ;   in Loop: Header=BB4_47 Depth=1
	s_or_b32 exec_lo, exec_lo, s17
	s_andn2_b32 vcc_lo, exec_lo, s46
	s_cbranch_vccnz .LBB4_2052
; %bb.268:                              ;   in Loop: Header=BB4_47 Depth=1
	s_mov_b32 s18, 2
	s_branch .LBB4_271
.LBB4_269:                              ;   in Loop: Header=BB4_271 Depth=2
	s_or_b32 exec_lo, exec_lo, s19
.LBB4_270:                              ;   in Loop: Header=BB4_271 Depth=2
	s_or_b32 exec_lo, exec_lo, s17
	s_add_i32 s18, s18, 1
	s_cmp_eq_u32 s18, s25
	s_cbranch_scc1 .LBB4_2052
.LBB4_271:                              ;   Parent Loop BB4_47 Depth=1
                                        ; =>  This Loop Header: Depth=2
                                        ;       Child Loop BB4_274 Depth 3
                                        ;         Child Loop BB4_282 Depth 4
                                        ;         Child Loop BB4_310 Depth 4
	;; [unrolled: 1-line block ×9, first 2 shown]
                                        ;       Child Loop BB4_1980 Depth 3
                                        ;         Child Loop BB4_1986 Depth 4
                                        ;         Child Loop BB4_2014 Depth 4
	;; [unrolled: 1-line block ×3, first 2 shown]
	s_sub_i32 s16, s42, s18
	v_mov_b32_e32 v99, 0
	s_cmp_ge_i32 s16, s25
	s_mov_b32 s21, 0
	s_cselect_b32 s17, s25, 0
	s_sub_i32 s16, s16, s17
	s_ashr_i32 s17, s16, 31
	v_mul_lo_u32 v3, v55, s16
	v_mad_u64_u32 v[70:71], null, v54, s16, 0
	v_mul_lo_u32 v8, v54, s17
	v_add3_u32 v71, v71, v8, v3
	v_sub_co_u32 v8, vcc_lo, v66, v70
	v_sub_co_ci_u32_e64 v9, null, v67, v71, vcc_lo
	v_cmp_lt_i64_e32 vcc_lo, v[54:55], v[8:9]
	v_cndmask_b32_e32 v8, v8, v54, vcc_lo
	v_max_i32_e32 v98, 0, v8
	v_cmp_lt_i32_e32 vcc_lo, 0, v8
	v_add_nc_u32_e32 v3, 31, v98
	s_and_b32 s16, s57, vcc_lo
	v_lshrrev_b32_e32 v3, 1, v3
	v_and_b32_e32 v9, 0x3ffffff0, v3
	v_mov_b32_e32 v3, 0
	v_max_i32_e32 v68, s45, v9
	s_and_saveexec_b32 s19, s16
	s_cbranch_execz .LBB4_1977
; %bb.272:                              ;   in Loop: Header=BB4_271 Depth=2
	v_mov_b32_e32 v99, 0
	s_mov_b32 s23, 1
	s_mov_b32 s22, -1
	s_branch .LBB4_274
.LBB4_273:                              ;   in Loop: Header=BB4_274 Depth=3
	s_or_b32 exec_lo, exec_lo, s16
	v_add_nc_u32_e32 v99, v68, v99
	s_xor_b32 s16, s22, -1
	v_mov_b32_e32 v3, s23
	s_mov_b32 s22, 0
	s_mov_b32 s23, 2
	v_cmp_ge_i32_e32 vcc_lo, v99, v98
	s_or_b32 s16, s16, vcc_lo
	s_and_b32 s16, exec_lo, s16
	s_or_b32 s21, s16, s21
	s_andn2_b32 exec_lo, exec_lo, s21
	s_cbranch_execz .LBB4_1976
.LBB4_274:                              ;   Parent Loop BB4_47 Depth=1
                                        ;     Parent Loop BB4_271 Depth=2
                                        ; =>    This Loop Header: Depth=3
                                        ;         Child Loop BB4_282 Depth 4
                                        ;         Child Loop BB4_310 Depth 4
	;; [unrolled: 1-line block ×9, first 2 shown]
	s_and_saveexec_b32 s16, s4
	s_cbranch_execz .LBB4_276
; %bb.275:                              ;   in Loop: Header=BB4_274 Depth=3
	s_trap 2
	ds_read_b64 v[8:9], v0
	s_waitcnt lgkmcnt(0)
	v_add_co_u32 v3, vcc_lo, v8, v75
	v_add_co_ci_u32_e64 v8, null, v9, v76, vcc_lo
	v_ashrrev_i32_e32 v9, 31, v99
	v_add_co_u32 v3, vcc_lo, v3, v70
	v_add_co_ci_u32_e64 v10, null, v8, v71, vcc_lo
	v_add_co_u32 v8, vcc_lo, v3, v99
	v_add_co_ci_u32_e64 v9, null, v10, v9, vcc_lo
	v_mov_b32_e32 v3, v2
	ds_write_b64 v0, v[8:9]
	ds_write_b64 v0, v[2:3]
.LBB4_276:                              ;   in Loop: Header=BB4_274 Depth=3
	s_or_b32 exec_lo, exec_lo, s16
	v_sub_nc_u32_e32 v3, v98, v99
	v_and_b32_e32 v8, 12, v100
	s_mov_b32 s17, exec_lo
	v_min_i32_e32 v68, v68, v3
	v_cmpx_ne_u32_e32 0, v8
	s_cbranch_execz .LBB4_302
; %bb.277:                              ;   in Loop: Header=BB4_274 Depth=3
	v_and_b32_e32 v3, 8, v100
	s_mov_b32 s61, exec_lo
	s_waitcnt vmcnt(0) lgkmcnt(1)
	v_add_co_u32 v10, vcc_lo, v48, v3
	v_add_co_ci_u32_e64 v11, null, 0, v49, vcc_lo
	v_add_co_u32 v8, vcc_lo, v64, 2
	v_add_co_ci_u32_e64 v9, null, 0, v65, vcc_lo
	v_cmpx_lt_u64_e64 v[10:11], v[8:9]
	s_cbranch_execz .LBB4_289
; %bb.278:                              ;   in Loop: Header=BB4_274 Depth=3
	v_and_b32_e32 v10, 64, v100
	s_mov_b32 s62, 0
	s_mov_b32 s74, 0
                                        ; implicit-def: $sgpr63
                                        ; implicit-def: $sgpr72
                                        ; implicit-def: $sgpr73
	v_cmp_eq_u32_e32 vcc_lo, 0, v10
	s_branch .LBB4_282
.LBB4_279:                              ;   in Loop: Header=BB4_282 Depth=4
	s_waitcnt vmcnt(0) lgkmcnt(0)
	v_add_co_u32 v11, s16, v48, v3
	v_add_co_ci_u32_e64 v12, null, 0, v49, s16
	s_or_b32 s77, s77, exec_lo
	v_cmp_ge_u64_e64 s16, v[11:12], v[8:9]
	s_orn2_b32 s76, s16, exec_lo
.LBB4_280:                              ;   in Loop: Header=BB4_282 Depth=4
	s_or_b32 exec_lo, exec_lo, s79
	s_andn2_b32 s16, s73, exec_lo
	s_and_b32 s73, s77, exec_lo
	s_andn2_b32 s72, s72, exec_lo
	s_and_b32 s76, s76, exec_lo
	s_or_b32 s73, s16, s73
	s_or_b32 s72, s72, s76
.LBB4_281:                              ;   in Loop: Header=BB4_282 Depth=4
	s_or_b32 exec_lo, exec_lo, s75
	s_and_b32 s16, exec_lo, s72
	s_or_b32 s62, s16, s62
	s_andn2_b32 s16, s63, exec_lo
	s_and_b32 s63, s73, exec_lo
	s_or_b32 s63, s16, s63
	s_andn2_b32 exec_lo, exec_lo, s62
	s_cbranch_execz .LBB4_286
.LBB4_282:                              ;   Parent Loop BB4_47 Depth=1
                                        ;     Parent Loop BB4_271 Depth=2
                                        ;       Parent Loop BB4_274 Depth=3
                                        ; =>      This Inner Loop Header: Depth=4
	s_sleep 1
	s_waitcnt vmcnt(0) lgkmcnt(0)
	flat_load_dwordx2 v[48:49], v[32:33] glc dlc
	s_or_b32 s73, s73, exec_lo
	s_or_b32 s72, s72, exec_lo
                                        ; implicit-def: $vgpr10
	s_and_saveexec_b32 s75, vcc_lo
	s_cbranch_execz .LBB4_281
; %bb.283:                              ;   in Loop: Header=BB4_282 Depth=4
	s_cmpk_lt_i32 s74, 0x270f
	s_mov_b32 s76, -1
	s_cselect_b32 s78, -1, 0
	s_cmpk_gt_i32 s74, 0x270e
	s_cbranch_scc0 .LBB4_285
; %bb.284:                              ;   in Loop: Header=BB4_282 Depth=4
	s_trap 2
	ds_read_b64 v[10:11], v0
	s_andn2_b32 s74, s78, exec_lo
	s_mov_b32 s77, 0
	s_waitcnt vmcnt(0) lgkmcnt(0)
	s_waitcnt_vscnt null, 0x0
	flat_load_dword v10, v[10:11] glc dlc
	s_waitcnt vmcnt(0) lgkmcnt(0)
	buffer_gl1_inv
	buffer_gl0_inv
	v_cmp_eq_u32_e64 s16, 0, v10
	s_and_b32 s16, s16, exec_lo
	s_or_b32 s78, s74, s16
	s_mov_b32 s74, 0
	s_and_saveexec_b32 s79, s78
	s_cbranch_execz .LBB4_280
	s_branch .LBB4_279
.LBB4_285:                              ;   in Loop: Header=BB4_282 Depth=4
	s_add_i32 s74, s74, 1
	s_mov_b32 s77, -1
                                        ; implicit-def: $vgpr10
	s_and_saveexec_b32 s79, s78
	s_cbranch_execz .LBB4_280
	s_branch .LBB4_279
.LBB4_286:                              ;   in Loop: Header=BB4_274 Depth=3
	s_or_b32 exec_lo, exec_lo, s62
	s_xor_b32 s16, s63, -1
	s_and_saveexec_b32 s62, s16
	s_xor_b32 s16, exec_lo, s62
	s_cbranch_execz .LBB4_288
; %bb.287:                              ;   in Loop: Header=BB4_274 Depth=3
	v_or_b32_e32 v100, 64, v100
	s_waitcnt vmcnt(0) lgkmcnt(0)
	s_waitcnt_vscnt null, 0x0
	ds_write_b32 v0, v10
	s_trap 2
.LBB4_288:                              ;   in Loop: Header=BB4_274 Depth=3
	s_or_b32 exec_lo, exec_lo, s16
.LBB4_289:                              ;   in Loop: Header=BB4_274 Depth=3
	s_or_b32 exec_lo, exec_lo, s61
	v_and_b32_e32 v10, 0x108, v100
	;;#ASMSTART
	s_wakeup
	;;#ASMEND
	v_cmp_ne_u32_e32 vcc_lo, 0x108, v10
                                        ; implicit-def: $vgpr10_vgpr11
	s_and_saveexec_b32 s16, vcc_lo
	s_xor_b32 s16, exec_lo, s16
; %bb.290:                              ;   in Loop: Header=BB4_274 Depth=3
	v_and_b32_e32 v10, 7, v64
	v_mov_b32_e32 v11, v2
                                        ; implicit-def: $vgpr64_vgpr65
; %bb.291:                              ;   in Loop: Header=BB4_274 Depth=3
	s_andn2_saveexec_b32 s16, s16
	s_cbranch_execz .LBB4_293
; %bb.292:                              ;   in Loop: Header=BB4_274 Depth=3
	v_and_b32_e32 v10, 7, v64
	v_ashrrev_i32_e32 v69, 31, v68
	v_mov_b32_e32 v11, v2
	v_mad_u64_u32 v[12:13], null, v10, 24, v[6:7]
	flat_store_dwordx2 v[12:13], v[68:69] offset:8
.LBB4_293:                              ;   in Loop: Header=BB4_274 Depth=3
	s_or_b32 exec_lo, exec_lo, s16
	v_and_b32_e32 v12, 0x100, v100
	s_mov_b32 s16, -1
	v_cmp_ne_u32_e32 vcc_lo, 0, v12
                                        ; implicit-def: $vgpr12_vgpr13
	s_and_saveexec_b32 s61, vcc_lo
	s_cbranch_execz .LBB4_297
; %bb.294:                              ;   in Loop: Header=BB4_274 Depth=3
	v_mad_u64_u32 v[14:15], null, v10, 24, v[6:7]
	v_mov_b32_e32 v12, v15
	v_mad_u64_u32 v[12:13], null, v11, 24, v[12:13]
	v_mov_b32_e32 v15, v12
	flat_load_dword v12, v[14:15]
	s_waitcnt vmcnt(0) lgkmcnt(0)
	v_cmp_eq_u32_e64 s16, 1, v12
	v_cmp_ne_u32_e32 vcc_lo, 1, v12
                                        ; implicit-def: $vgpr12_vgpr13
	s_and_saveexec_b32 s62, s16
	s_cbranch_execz .LBB4_296
; %bb.295:                              ;   in Loop: Header=BB4_274 Depth=3
	flat_load_dword v12, v[14:15] offset:4 glc dlc
	s_waitcnt vmcnt(0) lgkmcnt(0)
	v_ashrrev_i32_e32 v13, 31, v12
.LBB4_296:                              ;   in Loop: Header=BB4_274 Depth=3
	s_or_b32 exec_lo, exec_lo, s62
	s_orn2_b32 s16, vcc_lo, exec_lo
.LBB4_297:                              ;   in Loop: Header=BB4_274 Depth=3
	s_or_b32 exec_lo, exec_lo, s61
	s_and_saveexec_b32 s61, s16
; %bb.298:                              ;   in Loop: Header=BB4_274 Depth=3
	v_mul_lo_u32 v11, v11, v101
	v_mul_lo_u32 v14, v10, v102
	v_mad_u64_u32 v[12:13], null, v10, v101, 0
	v_add3_u32 v13, v13, v14, v11
; %bb.299:                              ;   in Loop: Header=BB4_274 Depth=3
	s_or_b32 exec_lo, exec_lo, s61
	v_cmp_eq_u32_e32 vcc_lo, 0, v3
	v_and_b32_e32 v14, 0x2000, v100
	s_mov_b32 s16, exec_lo
	v_cndmask_b32_e32 v3, 0xc8, v114, vcc_lo
	v_add_co_u32 v10, vcc_lo, v34, v12
	v_add_co_ci_u32_e64 v11, null, v35, v13, vcc_lo
	v_add_nc_u32_e32 v3, v0, v3
	ds_write_b64 v3, v[10:11] offset:584
	v_cmpx_ne_u32_e32 0, v14
	s_cbranch_execz .LBB4_301
; %bb.300:                              ;   in Loop: Header=BB4_274 Depth=3
	ds_read_b64 v[10:11], v0 offset:872
	s_waitcnt lgkmcnt(0)
	v_add_co_u32 v10, vcc_lo, v10, 1
	v_add_co_ci_u32_e64 v11, null, 0, v11, vcc_lo
	ds_write_b64 v0, v[10:11] offset:872
.LBB4_301:                              ;   in Loop: Header=BB4_274 Depth=3
	s_or_b32 exec_lo, exec_lo, s16
	v_mov_b32_e32 v65, v9
	v_mov_b32_e32 v64, v8
.LBB4_302:                              ;   in Loop: Header=BB4_274 Depth=3
	s_or_b32 exec_lo, exec_lo, s17
	s_and_saveexec_b32 s16, s6
	s_cbranch_execz .LBB4_321
; %bb.303:                              ;   in Loop: Header=BB4_274 Depth=3
	s_and_saveexec_b32 s17, s29
	s_xor_b32 s17, exec_lo, s17
	s_cbranch_execz .LBB4_318
; %bb.304:                              ;   in Loop: Header=BB4_274 Depth=3
	s_and_saveexec_b32 s61, s11
	s_cbranch_execz .LBB4_317
; %bb.305:                              ;   in Loop: Header=BB4_274 Depth=3
	s_mov_b32 s63, exec_lo
	s_mov_b32 s62, exec_lo
	v_mbcnt_lo_u32_b32 v3, s63, 0
	s_waitcnt vmcnt(0) lgkmcnt(0)
	s_waitcnt_vscnt null, 0x0
	buffer_gl1_inv
	buffer_gl0_inv
	v_cmpx_eq_u32_e32 0, v3
	s_cbranch_execz .LBB4_307
; %bb.306:                              ;   in Loop: Header=BB4_274 Depth=3
	s_bcnt1_i32_b32 s63, s63
	v_mov_b32_e32 v9, v2
	v_mov_b32_e32 v8, s63
	ds_add_u64 v0, v[8:9]
	s_trap 2
.LBB4_307:                              ;   in Loop: Header=BB4_274 Depth=3
	s_or_b32 exec_lo, exec_lo, s62
	s_trap 2
	ds_read_b64 v[8:9], v0
	s_waitcnt lgkmcnt(0)
	buffer_gl0_inv
	v_add_co_u32 v38, vcc_lo, v38, v103
	v_add_co_ci_u32_e64 v39, null, 0, v39, vcc_lo
	s_mov_b32 s62, exec_lo
	v_cmpx_lt_u64_e64 v[8:9], v[38:39]
	s_cbranch_execz .LBB4_316
; %bb.308:                              ;   in Loop: Header=BB4_274 Depth=3
	s_mov_b32 s63, 0
	s_mov_b32 s74, 0
                                        ; implicit-def: $sgpr72
                                        ; implicit-def: $sgpr73
	s_inst_prefetch 0x1
	s_branch .LBB4_310
	.p2align	6
.LBB4_309:                              ;   in Loop: Header=BB4_310 Depth=4
	s_or_b32 exec_lo, exec_lo, s76
	s_and_b32 s75, exec_lo, s77
	s_or_b32 s63, s75, s63
	s_andn2_b32 s72, s72, exec_lo
	s_and_b32 s75, s73, exec_lo
	s_or_b32 s72, s72, s75
	s_andn2_b32 exec_lo, exec_lo, s63
	s_cbranch_execz .LBB4_314
.LBB4_310:                              ;   Parent Loop BB4_47 Depth=1
                                        ;     Parent Loop BB4_271 Depth=2
                                        ;       Parent Loop BB4_274 Depth=3
                                        ; =>      This Inner Loop Header: Depth=4
	s_add_i32 s74, s74, 1
	s_cmpk_lg_i32 s74, 0x2710
	s_cselect_b32 s75, -1, 0
	s_and_b32 vcc_lo, exec_lo, s75
	s_cbranch_vccz .LBB4_312
; %bb.311:                              ;   in Loop: Header=BB4_310 Depth=4
	s_mov_b32 s77, -1
	s_or_b32 s73, s73, exec_lo
	s_and_saveexec_b32 s76, s75
	s_cbranch_execz .LBB4_309
	s_branch .LBB4_313
	.p2align	6
.LBB4_312:                              ;   in Loop: Header=BB4_310 Depth=4
	s_trap 2
	ds_read_b64 v[8:9], v0
	s_andn2_b32 s75, s75, exec_lo
	s_mov_b32 s74, 0
	s_waitcnt lgkmcnt(0)
	flat_load_dword v3, v[8:9] glc dlc
	s_waitcnt vmcnt(0) lgkmcnt(0)
	buffer_gl1_inv
	buffer_gl0_inv
	v_cmp_eq_u32_e32 vcc_lo, 0, v3
	s_and_b32 s76, vcc_lo, exec_lo
	s_or_b32 s75, s75, s76
	s_mov_b32 s77, -1
	s_or_b32 s73, s73, exec_lo
	s_and_saveexec_b32 s76, s75
	s_cbranch_execz .LBB4_309
.LBB4_313:                              ;   in Loop: Header=BB4_310 Depth=4
	s_sleep 1
	s_trap 2
	ds_read_b64 v[8:9], v0
	s_waitcnt lgkmcnt(0)
	buffer_gl0_inv
	s_andn2_b32 s73, s73, exec_lo
	v_cmp_ge_u64_e32 vcc_lo, v[8:9], v[38:39]
	s_orn2_b32 s77, vcc_lo, exec_lo
	s_branch .LBB4_309
.LBB4_314:                              ;   in Loop: Header=BB4_274 Depth=3
	s_inst_prefetch 0x2
	s_or_b32 exec_lo, exec_lo, s63
	s_and_saveexec_b32 s63, s72
	s_xor_b32 s63, exec_lo, s63
	s_cbranch_execz .LBB4_316
; %bb.315:                              ;   in Loop: Header=BB4_274 Depth=3
	ds_write_b32 v0, v113
	s_trap 2
.LBB4_316:                              ;   in Loop: Header=BB4_274 Depth=3
	s_or_b32 exec_lo, exec_lo, s62
	;;#ASMSTART
	s_wakeup
	;;#ASMEND
.LBB4_317:                              ;   in Loop: Header=BB4_274 Depth=3
	s_or_b32 exec_lo, exec_lo, s61
.LBB4_318:                              ;   in Loop: Header=BB4_274 Depth=3
	s_andn2_saveexec_b32 s17, s17
	s_cbranch_execz .LBB4_320
; %bb.319:                              ;   in Loop: Header=BB4_274 Depth=3
	s_waitcnt vmcnt(0) lgkmcnt(0)
	s_waitcnt_vscnt null, 0x0
	buffer_gl1_inv
	buffer_gl0_inv
	s_barrier
.LBB4_320:                              ;   in Loop: Header=BB4_274 Depth=3
	s_or_b32 exec_lo, exec_lo, s17
.LBB4_321:                              ;   in Loop: Header=BB4_274 Depth=3
	s_or_b32 exec_lo, exec_lo, s16
	s_trap 2
	ds_read_b32 v3, v0
	v_and_b32_e32 v8, 0x4000, v100
	s_xor_b32 s16, s5, -1
	v_cmp_ne_u32_e32 vcc_lo, 0, v8
	s_and_b32 s17, s16, vcc_lo
	s_and_saveexec_b32 s16, s17
	s_cbranch_execz .LBB4_340
; %bb.322:                              ;   in Loop: Header=BB4_274 Depth=3
	s_and_saveexec_b32 s17, s29
	s_xor_b32 s17, exec_lo, s17
	s_cbranch_execz .LBB4_337
; %bb.323:                              ;   in Loop: Header=BB4_274 Depth=3
	s_and_saveexec_b32 s61, s11
	s_cbranch_execz .LBB4_336
; %bb.324:                              ;   in Loop: Header=BB4_274 Depth=3
	s_mov_b32 s63, exec_lo
	s_mov_b32 s62, exec_lo
	v_mbcnt_lo_u32_b32 v8, s63, 0
	s_waitcnt vmcnt(0) lgkmcnt(0)
	s_waitcnt_vscnt null, 0x0
	buffer_gl1_inv
	buffer_gl0_inv
	v_cmpx_eq_u32_e32 0, v8
	s_cbranch_execz .LBB4_326
; %bb.325:                              ;   in Loop: Header=BB4_274 Depth=3
	s_bcnt1_i32_b32 s63, s63
	v_mov_b32_e32 v9, v2
	v_mov_b32_e32 v8, s63
	ds_add_u64 v0, v[8:9]
	s_trap 2
.LBB4_326:                              ;   in Loop: Header=BB4_274 Depth=3
	s_or_b32 exec_lo, exec_lo, s62
	s_trap 2
	ds_read_b64 v[8:9], v0
	s_waitcnt lgkmcnt(0)
	buffer_gl0_inv
	v_add_co_u32 v38, vcc_lo, v38, v103
	v_add_co_ci_u32_e64 v39, null, 0, v39, vcc_lo
	s_mov_b32 s62, exec_lo
	v_cmpx_lt_u64_e64 v[8:9], v[38:39]
	s_cbranch_execz .LBB4_335
; %bb.327:                              ;   in Loop: Header=BB4_274 Depth=3
	s_mov_b32 s63, 0
	s_mov_b32 s74, 0
                                        ; implicit-def: $sgpr72
                                        ; implicit-def: $sgpr73
	s_inst_prefetch 0x1
	s_branch .LBB4_329
	.p2align	6
.LBB4_328:                              ;   in Loop: Header=BB4_329 Depth=4
	s_or_b32 exec_lo, exec_lo, s76
	s_and_b32 s75, exec_lo, s77
	s_or_b32 s63, s75, s63
	s_andn2_b32 s72, s72, exec_lo
	s_and_b32 s75, s73, exec_lo
	s_or_b32 s72, s72, s75
	s_andn2_b32 exec_lo, exec_lo, s63
	s_cbranch_execz .LBB4_333
.LBB4_329:                              ;   Parent Loop BB4_47 Depth=1
                                        ;     Parent Loop BB4_271 Depth=2
                                        ;       Parent Loop BB4_274 Depth=3
                                        ; =>      This Inner Loop Header: Depth=4
	s_add_i32 s74, s74, 1
	s_cmpk_lg_i32 s74, 0x2710
	s_cselect_b32 s75, -1, 0
	s_and_b32 vcc_lo, exec_lo, s75
	s_cbranch_vccz .LBB4_331
; %bb.330:                              ;   in Loop: Header=BB4_329 Depth=4
	s_mov_b32 s77, -1
	s_or_b32 s73, s73, exec_lo
	s_and_saveexec_b32 s76, s75
	s_cbranch_execz .LBB4_328
	s_branch .LBB4_332
	.p2align	6
.LBB4_331:                              ;   in Loop: Header=BB4_329 Depth=4
	s_trap 2
	ds_read_b64 v[8:9], v0
	s_andn2_b32 s75, s75, exec_lo
	s_mov_b32 s74, 0
	s_waitcnt lgkmcnt(0)
	flat_load_dword v8, v[8:9] glc dlc
	s_waitcnt vmcnt(0) lgkmcnt(0)
	buffer_gl1_inv
	buffer_gl0_inv
	v_cmp_eq_u32_e32 vcc_lo, 0, v8
	s_and_b32 s76, vcc_lo, exec_lo
	s_or_b32 s75, s75, s76
	s_mov_b32 s77, -1
	s_or_b32 s73, s73, exec_lo
	s_and_saveexec_b32 s76, s75
	s_cbranch_execz .LBB4_328
.LBB4_332:                              ;   in Loop: Header=BB4_329 Depth=4
	s_sleep 1
	s_trap 2
	ds_read_b64 v[8:9], v0
	s_waitcnt lgkmcnt(0)
	buffer_gl0_inv
	s_andn2_b32 s73, s73, exec_lo
	v_cmp_ge_u64_e32 vcc_lo, v[8:9], v[38:39]
	s_orn2_b32 s77, vcc_lo, exec_lo
	s_branch .LBB4_328
.LBB4_333:                              ;   in Loop: Header=BB4_274 Depth=3
	s_inst_prefetch 0x2
	s_or_b32 exec_lo, exec_lo, s63
	s_and_saveexec_b32 s63, s72
	s_xor_b32 s63, exec_lo, s63
	s_cbranch_execz .LBB4_335
; %bb.334:                              ;   in Loop: Header=BB4_274 Depth=3
	ds_write_b32 v0, v113
	s_trap 2
.LBB4_335:                              ;   in Loop: Header=BB4_274 Depth=3
	s_or_b32 exec_lo, exec_lo, s62
	;;#ASMSTART
	s_wakeup
	;;#ASMEND
.LBB4_336:                              ;   in Loop: Header=BB4_274 Depth=3
	s_or_b32 exec_lo, exec_lo, s61
.LBB4_337:                              ;   in Loop: Header=BB4_274 Depth=3
	s_andn2_saveexec_b32 s17, s17
	s_cbranch_execz .LBB4_339
; %bb.338:                              ;   in Loop: Header=BB4_274 Depth=3
	s_waitcnt vmcnt(0) lgkmcnt(0)
	s_waitcnt_vscnt null, 0x0
	buffer_gl1_inv
	buffer_gl0_inv
	s_barrier
.LBB4_339:                              ;   in Loop: Header=BB4_274 Depth=3
	s_or_b32 exec_lo, exec_lo, s17
.LBB4_340:                              ;   in Loop: Header=BB4_274 Depth=3
	s_or_b32 exec_lo, exec_lo, s16
	s_trap 2
	ds_read_b64 v[80:81], v0
	s_waitcnt lgkmcnt(0)
	v_cmp_eq_u64_e32 vcc_lo, 0, v[80:81]
	s_cbranch_vccnz .LBB4_348
; %bb.341:                              ;   in Loop: Header=BB4_274 Depth=3
	s_trap 2
	ds_read_b64 v[82:83], v0
	s_waitcnt lgkmcnt(0)
	v_cmp_eq_u64_e32 vcc_lo, 0, v[82:83]
	s_cbranch_vccnz .LBB4_348
; %bb.342:                              ;   in Loop: Header=BB4_274 Depth=3
	s_mov_b32 s16, -1
	s_and_saveexec_b32 s17, s15
	s_cbranch_execz .LBB4_344
; %bb.343:                              ;   in Loop: Header=BB4_274 Depth=3
	ds_read_b32 v8, v0 offset:720
	s_waitcnt lgkmcnt(0)
	v_and_b32_e32 v8, 15, v8
	v_cmp_eq_u32_e32 vcc_lo, 0, v8
	s_orn2_b32 s16, vcc_lo, exec_lo
.LBB4_344:                              ;   in Loop: Header=BB4_274 Depth=3
	s_or_b32 exec_lo, exec_lo, s17
	s_and_saveexec_b32 s17, s14
	s_cbranch_execz .LBB4_346
; %bb.345:                              ;   in Loop: Header=BB4_274 Depth=3
	ds_read_b32 v8, v0 offset:784
	s_waitcnt lgkmcnt(0)
	v_and_b32_e32 v8, 15, v8
	v_cmp_eq_u32_e32 vcc_lo, 0, v8
	s_and_b32 s61, s16, vcc_lo
	s_andn2_b32 s16, s16, exec_lo
	s_and_b32 s61, s61, exec_lo
	s_or_b32 s16, s16, s61
.LBB4_346:                              ;   in Loop: Header=BB4_274 Depth=3
	s_or_b32 exec_lo, exec_lo, s17
	v_cmp_eq_u32_e32 vcc_lo, 0, v3
	s_xor_b32 s16, s16, -1
	v_mov_b32_e32 v14, 0
	v_cndmask_b32_e64 v8, 0, 1, s16
	v_mov_b32_e32 v16, v0
	v_cndmask_b32_e32 v3, 0, v68, vcc_lo
	s_mov_b32 s16, -1
	v_cmp_ne_u32_e32 vcc_lo, 0, v8
	v_mov_b32_e32 v8, v56
	v_mov_b32_e32 v15, v3
	s_cbranch_vccz .LBB4_353
; %bb.347:                              ;   in Loop: Header=BB4_274 Depth=3
	s_and_saveexec_b32 s17, s16
	s_cbranch_execnz .LBB4_1518
	s_branch .LBB4_1934
.LBB4_348:                              ;   in Loop: Header=BB4_274 Depth=3
	s_mov_b32 s16, 0
	s_and_saveexec_b32 s17, s6
	s_cbranch_execnz .LBB4_1935
.LBB4_349:                              ;   in Loop: Header=BB4_274 Depth=3
	s_or_b32 exec_lo, exec_lo, s17
                                        ; implicit-def: $vgpr3
	s_and_saveexec_b32 s17, s13
	s_xor_b32 s17, exec_lo, s17
	s_cbranch_execz .LBB4_1953
.LBB4_350:                              ;   in Loop: Header=BB4_274 Depth=3
	v_and_b32_e32 v3, 16, v100
	v_cmp_ne_u32_e32 vcc_lo, 0, v3
	v_and_b32_e32 v3, 16, v100
	s_and_b32 s61, vcc_lo, s16
	s_and_saveexec_b32 s16, s61
	s_cbranch_execz .LBB4_352
; %bb.351:                              ;   in Loop: Header=BB4_274 Depth=3
	v_mov_b32_e32 v3, 1
	s_waitcnt vmcnt(0) lgkmcnt(0)
	s_waitcnt_vscnt null, 0x0
	buffer_gl1_inv
	buffer_gl0_inv
.LBB4_352:                              ;   in Loop: Header=BB4_274 Depth=3
	s_or_b32 exec_lo, exec_lo, s16
	s_andn2_saveexec_b32 s16, s17
	s_cbranch_execz .LBB4_1972
	s_branch .LBB4_1954
.LBB4_353:                              ;   in Loop: Header=BB4_274 Depth=3
	v_ashrrev_i32_e32 v8, 31, v3
	s_mov_b32 s17, exec_lo
	v_lshrrev_b32_e32 v8, 22, v8
	v_add_nc_u32_e32 v8, v3, v8
	v_ashrrev_i32_e32 v77, 10, v8
	v_sub_nc_u32_e32 v69, v77, v56
	v_cmpx_lt_i32_e32 0, v69
	s_cbranch_execz .LBB4_1125
; %bb.354:                              ;   in Loop: Header=BB4_274 Depth=3
	s_trap 2
	ds_read_b64 v[8:9], v0
	v_add_co_u32 v84, vcc_lo, v80, v72
	v_add_co_ci_u32_e64 v85, null, v81, v74, vcc_lo
	s_mov_b32 s61, 0
	s_waitcnt lgkmcnt(0)
	v_add_co_u32 v86, vcc_lo, v8, v72
	v_add_co_ci_u32_e64 v87, null, v9, v74, vcc_lo
	v_add_co_u32 v96, vcc_lo, v82, v72
	v_add_co_ci_u32_e64 v97, null, v83, v74, vcc_lo
	s_branch .LBB4_358
.LBB4_355:                              ;   in Loop: Header=BB4_358 Depth=4
	s_or_b32 exec_lo, exec_lo, s16
	v_lshrrev_b32_e32 v26, 21, v111
	v_min_i32_e32 v27, 31, v15
	v_cmp_gt_i32_e32 vcc_lo, 32, v15
	v_and_b32_sdwa v11, v11, v116 dst_sel:DWORD dst_unused:UNUSED_PAD src0_sel:BYTE_3 src1_sel:DWORD
	v_lshlrev_b32_e32 v27, 2, v27
	v_cndmask_b32_e32 v26, 3, v26, vcc_lo
	v_and_b32_e32 v27, 0xfc, v27
	v_and_b32_e32 v111, 3, v26
	v_or_b32_e32 v15, v15, v26
	v_or3_b32 v11, v11, v27, v111
	v_cmp_ne_u32_e32 vcc_lo, 0, v15
	v_lshlrev_b32_e32 v11, 8, v11
	v_cndmask_b32_e32 v15, 0, v11, vcc_lo
.LBB4_356:                              ;   in Loop: Header=BB4_358 Depth=4
	s_or_b32 exec_lo, exec_lo, s63
.LBB4_357:                              ;   in Loop: Header=BB4_358 Depth=4
	s_or_b32 exec_lo, exec_lo, s62
	v_or_b32_sdwa v11, v17, v90 dst_sel:WORD_1 dst_unused:UNUSED_PAD src0_sel:DWORD src1_sel:DWORD
	v_or_b32_sdwa v16, v16, v88 dst_sel:WORD_1 dst_unused:UNUSED_PAD src0_sel:DWORD src1_sel:DWORD
	v_or_b32_sdwa v18, v18, v92 dst_sel:WORD_1 dst_unused:UNUSED_PAD src0_sel:DWORD src1_sel:DWORD
	v_or_b32_sdwa v9, v9, v106 dst_sel:WORD_1 dst_unused:UNUSED_PAD src0_sel:DWORD src1_sel:DWORD
	v_or_b32_sdwa v8, v8, v104 dst_sel:WORD_1 dst_unused:UNUSED_PAD src0_sel:DWORD src1_sel:DWORD
	v_or3_b32 v17, v89, v20, v11
	v_or_b32_sdwa v11, v19, v94 dst_sel:WORD_1 dst_unused:UNUSED_PAD src0_sel:DWORD src1_sel:DWORD
	v_or_b32_sdwa v10, v10, v108 dst_sel:WORD_1 dst_unused:UNUSED_PAD src0_sel:DWORD src1_sel:DWORD
	;; [unrolled: 1-line block ×3, first 2 shown]
	v_or3_b32 v16, v79, v78, v16
	v_or3_b32 v18, v91, v21, v18
	;; [unrolled: 1-line block ×3, first 2 shown]
	v_sub_nc_u32_e32 v69, v69, v103
	v_or3_b32 v9, v105, v12, v9
	v_or3_b32 v8, v95, v23, v8
	;; [unrolled: 1-line block ×4, first 2 shown]
	v_add_co_u32 v84, vcc_lo, v84, v44
	v_add_co_ci_u32_e64 v85, null, 0, v85, vcc_lo
	v_add_co_u32 v86, vcc_lo, v86, v44
	global_store_dwordx4 v[96:97], v[16:19], off glc slc
	global_store_dwordx4 v[96:97], v[8:11], off offset:512 glc slc
	v_add_co_ci_u32_e64 v87, null, 0, v87, vcc_lo
	v_cmp_gt_i32_e32 vcc_lo, 1, v69
	v_add_co_u32 v96, s16, v96, v44
	v_add_co_ci_u32_e64 v97, null, 0, v97, s16
	s_or_b32 s61, vcc_lo, s61
	s_andn2_b32 exec_lo, exec_lo, s61
	s_cbranch_execz .LBB4_1124
.LBB4_358:                              ;   Parent Loop BB4_47 Depth=1
                                        ;     Parent Loop BB4_271 Depth=2
                                        ;       Parent Loop BB4_274 Depth=3
                                        ; =>      This Inner Loop Header: Depth=4
	s_clause 0x1
	global_load_dwordx4 v[20:23], v[84:85], off slc
	global_load_dwordx4 v[12:15], v[84:85], off offset:512 slc
	s_clause 0x1
	global_load_dwordx4 v[16:19], v[86:87], off slc
	global_load_dwordx4 v[8:11], v[86:87], off offset:512 slc
	s_mov_b32 s16, 0
	s_waitcnt vmcnt(3)
	v_cmp_gt_i16_sdwa s62, v20, v115 src0_sel:BYTE_0 src1_sel:DWORD
	s_and_saveexec_b32 s63, s62
	s_xor_b32 s62, exec_lo, s63
	s_cbranch_execz .LBB4_996
; %bb.359:                              ;   in Loop: Header=BB4_358 Depth=4
	v_cmp_eq_u16_sdwa s72, v20, v116 src0_sel:BYTE_0 src1_sel:DWORD
	s_mov_b32 s16, -1
	s_and_saveexec_b32 s63, s72
; %bb.360:                              ;   in Loop: Header=BB4_358 Depth=4
	s_xor_b32 s16, exec_lo, -1
; %bb.361:                              ;   in Loop: Header=BB4_358 Depth=4
	s_or_b32 exec_lo, exec_lo, s63
	s_and_b32 s16, s16, exec_lo
	s_or_saveexec_b32 s62, s62
	v_mov_b32_e32 v78, 0x7f800001
	s_xor_b32 exec_lo, exec_lo, s62
	s_cbranch_execnz .LBB4_997
.LBB4_362:                              ;   in Loop: Header=BB4_358 Depth=4
	s_or_b32 exec_lo, exec_lo, s62
	s_and_saveexec_b32 s62, s16
	s_cbranch_execz .LBB4_364
.LBB4_363:                              ;   in Loop: Header=BB4_358 Depth=4
	v_and_b32_e32 v26, 3, v20
	v_bfe_u32 v79, v20, 2, 5
	v_lshlrev_b32_e32 v88, 24, v20
	v_ffbh_u32_e32 v27, v26
	v_cmp_eq_u32_e32 vcc_lo, 0, v79
	v_min_u32_e32 v27, 32, v27
	v_subrev_nc_u32_e32 v78, 29, v27
	v_sub_nc_u32_e32 v27, 30, v27
	v_lshlrev_b32_e32 v78, v78, v20
	v_cndmask_b32_e32 v27, v79, v27, vcc_lo
	v_and_b32_e32 v78, 3, v78
	v_lshl_add_u32 v27, v27, 23, 0x37800000
	v_cndmask_b32_e32 v26, v26, v78, vcc_lo
	v_and_b32_e32 v78, 0x80000000, v88
	v_lshlrev_b32_e32 v26, 21, v26
	v_or3_b32 v78, v78, v27, v26
.LBB4_364:                              ;   in Loop: Header=BB4_358 Depth=4
	s_or_b32 exec_lo, exec_lo, s62
	s_waitcnt vmcnt(1)
	v_cmp_gt_i16_sdwa s62, v16, v115 src0_sel:BYTE_0 src1_sel:DWORD
	s_mov_b32 s16, 0
	s_and_saveexec_b32 s63, s62
	s_xor_b32 s62, exec_lo, s63
	s_cbranch_execz .LBB4_998
; %bb.365:                              ;   in Loop: Header=BB4_358 Depth=4
	v_cmp_eq_u16_sdwa s72, v16, v116 src0_sel:BYTE_0 src1_sel:DWORD
	s_mov_b32 s16, -1
	s_and_saveexec_b32 s63, s72
; %bb.366:                              ;   in Loop: Header=BB4_358 Depth=4
	s_xor_b32 s16, exec_lo, -1
; %bb.367:                              ;   in Loop: Header=BB4_358 Depth=4
	s_or_b32 exec_lo, exec_lo, s63
	s_and_b32 s16, s16, exec_lo
	s_or_saveexec_b32 s62, s62
	v_mov_b32_e32 v79, 0x7f800001
	s_xor_b32 exec_lo, exec_lo, s62
	s_cbranch_execnz .LBB4_999
.LBB4_368:                              ;   in Loop: Header=BB4_358 Depth=4
	s_or_b32 exec_lo, exec_lo, s62
	s_and_saveexec_b32 s62, s16
	s_cbranch_execz .LBB4_370
.LBB4_369:                              ;   in Loop: Header=BB4_358 Depth=4
	v_and_b32_e32 v26, 3, v16
	v_bfe_u32 v88, v16, 2, 5
	v_lshlrev_b32_e32 v89, 24, v16
	v_ffbh_u32_e32 v27, v26
	v_cmp_eq_u32_e32 vcc_lo, 0, v88
	v_min_u32_e32 v27, 32, v27
	v_subrev_nc_u32_e32 v79, 29, v27
	v_sub_nc_u32_e32 v27, 30, v27
	v_lshlrev_b32_e32 v79, v79, v16
	v_cndmask_b32_e32 v27, v88, v27, vcc_lo
	v_and_b32_e32 v79, 3, v79
	v_lshl_add_u32 v27, v27, 23, 0x37800000
	v_cndmask_b32_e32 v26, v26, v79, vcc_lo
	v_and_b32_e32 v79, 0x80000000, v89
	v_lshlrev_b32_e32 v26, 21, v26
	v_or3_b32 v79, v79, v27, v26
.LBB4_370:                              ;   in Loop: Header=BB4_358 Depth=4
	s_or_b32 exec_lo, exec_lo, s62
	v_mul_f32_e32 v79, v78, v79
	v_mov_b32_e32 v78, 0x80
	s_mov_b32 s62, exec_lo
	v_and_b32_e32 v26, 0x7f800000, v79
	v_cmpx_ne_u32_e32 0x7f800000, v26
	s_cbranch_execz .LBB4_378
; %bb.371:                              ;   in Loop: Header=BB4_358 Depth=4
	v_mov_b32_e32 v78, 0
	s_mov_b32 s63, exec_lo
	v_cmpx_ne_u32_e32 0, v79
	s_cbranch_execz .LBB4_377
; %bb.372:                              ;   in Loop: Header=BB4_358 Depth=4
	v_bfe_u32 v26, v79, 23, 8
	v_and_b32_e32 v27, 0x7fffff, v79
	v_sub_nc_u32_e32 v78, 0x70, v26
	v_cmp_gt_u32_e32 vcc_lo, 0x71, v26
	v_or_b32_e32 v88, 0x800000, v27
	v_cndmask_b32_e32 v78, 0, v78, vcc_lo
	v_cmp_eq_u32_e32 vcc_lo, 0, v26
	v_add_nc_u32_e32 v26, 0xffffff91, v26
	v_cndmask_b32_e64 v78, v78, 0x6f, vcc_lo
	v_cndmask_b32_e32 v27, v88, v27, vcc_lo
	v_cndmask_b32_e64 v26, v26, 0xffffff92, vcc_lo
	v_lshl_add_u32 v89, 0x200000, v78, -1
	v_lshrrev_b32_e32 v88, v78, v27
	v_lshlrev_b32_e64 v91, v78, 0x100000
	v_and_b32_e32 v27, v89, v27
	v_bfe_u32 v90, v88, 21, 1
	v_cmp_eq_u32_e64 s16, v27, v91
	v_add_nc_u32_e32 v89, -1, v90
	v_lshrrev_b32_e32 v90, 23, v88
	v_cndmask_b32_e64 v27, 0, v89, s16
	v_add_nc_u32_e32 v89, v78, v26
	v_xor_b32_e32 v90, 1, v90
	s_mov_b32 s16, exec_lo
                                        ; implicit-def: $vgpr78
	v_add_nc_u32_e32 v27, v27, v88
	v_and_b32_e32 v26, 0x1fffff, v27
	v_add_nc_u32_e32 v88, v26, v88
	v_cmpx_ne_u32_e64 v89, v90
	s_xor_b32 s16, exec_lo, s16
; %bb.373:                              ;   in Loop: Header=BB4_358 Depth=4
	v_cmp_lt_u32_e32 vcc_lo, 0xffffff, v88
	v_sub_nc_u32_e32 v26, v89, v90
	v_cndmask_b32_e64 v27, 0, 1, vcc_lo
	v_add_co_ci_u32_e64 v78, null, 0, v26, vcc_lo
	v_lshrrev_b32_e32 v88, v27, v88
; %bb.374:                              ;   in Loop: Header=BB4_358 Depth=4
	s_andn2_saveexec_b32 s16, s16
; %bb.375:                              ;   in Loop: Header=BB4_358 Depth=4
	v_bfe_u32 v78, v88, 23, 1
; %bb.376:                              ;   in Loop: Header=BB4_358 Depth=4
	s_or_b32 exec_lo, exec_lo, s16
	v_lshrrev_b32_e32 v26, 21, v88
	v_min_i32_e32 v27, 31, v78
	v_cmp_gt_i32_e32 vcc_lo, 32, v78
	v_and_b32_sdwa v79, v79, v116 dst_sel:DWORD dst_unused:UNUSED_PAD src0_sel:BYTE_3 src1_sel:DWORD
	v_lshlrev_b32_e32 v27, 2, v27
	v_cndmask_b32_e32 v26, 3, v26, vcc_lo
	v_and_b32_e32 v27, 0xfc, v27
	v_and_b32_e32 v88, 3, v26
	v_or_b32_e32 v26, v78, v26
	v_or3_b32 v27, v27, v79, v88
	v_cmp_ne_u32_e32 vcc_lo, 0, v26
	v_cndmask_b32_e32 v78, 0, v27, vcc_lo
.LBB4_377:                              ;   in Loop: Header=BB4_358 Depth=4
	s_or_b32 exec_lo, exec_lo, s63
.LBB4_378:                              ;   in Loop: Header=BB4_358 Depth=4
	s_or_b32 exec_lo, exec_lo, s62
	v_cmp_gt_i16_sdwa s62, v20, v115 src0_sel:BYTE_1 src1_sel:DWORD
	s_mov_b32 s16, 0
	s_and_saveexec_b32 s63, s62
	s_xor_b32 s62, exec_lo, s63
	s_cbranch_execz .LBB4_1000
; %bb.379:                              ;   in Loop: Header=BB4_358 Depth=4
	v_cmp_eq_u16_sdwa s72, v20, v116 src0_sel:BYTE_1 src1_sel:DWORD
	s_mov_b32 s16, -1
	s_and_saveexec_b32 s63, s72
; %bb.380:                              ;   in Loop: Header=BB4_358 Depth=4
	s_xor_b32 s16, exec_lo, -1
; %bb.381:                              ;   in Loop: Header=BB4_358 Depth=4
	s_or_b32 exec_lo, exec_lo, s63
	s_and_b32 s16, s16, exec_lo
	s_or_saveexec_b32 s62, s62
	v_mov_b32_e32 v79, 0x7f800001
	s_xor_b32 exec_lo, exec_lo, s62
	s_cbranch_execnz .LBB4_1001
.LBB4_382:                              ;   in Loop: Header=BB4_358 Depth=4
	s_or_b32 exec_lo, exec_lo, s62
	s_and_saveexec_b32 s62, s16
	s_cbranch_execz .LBB4_384
.LBB4_383:                              ;   in Loop: Header=BB4_358 Depth=4
	v_and_b32_sdwa v26, v117, v20 dst_sel:DWORD dst_unused:UNUSED_PAD src0_sel:DWORD src1_sel:BYTE_1
	v_and_b32_e32 v27, 3, v26
	v_bfe_u32 v89, v26, 2, 5
	v_ffbh_u32_e32 v79, v27
	v_cmp_eq_u32_e32 vcc_lo, 0, v89
	v_min_u32_e32 v79, 32, v79
	v_subrev_nc_u32_e32 v88, 29, v79
	v_sub_nc_u32_e32 v79, 30, v79
	v_lshlrev_b32_e32 v26, v88, v26
	v_lshlrev_b32_sdwa v88, v118, v20 dst_sel:DWORD dst_unused:UNUSED_PAD src0_sel:DWORD src1_sel:BYTE_1
	v_cndmask_b32_e32 v79, v89, v79, vcc_lo
	v_and_b32_e32 v26, 3, v26
	v_lshl_add_u32 v79, v79, 23, 0x37800000
	v_cndmask_b32_e32 v26, v27, v26, vcc_lo
	v_and_b32_e32 v27, 0x80000000, v88
	v_lshlrev_b32_e32 v26, 21, v26
	v_or3_b32 v79, v27, v79, v26
.LBB4_384:                              ;   in Loop: Header=BB4_358 Depth=4
	s_or_b32 exec_lo, exec_lo, s62
	v_cmp_gt_i16_sdwa s62, v16, v115 src0_sel:BYTE_1 src1_sel:DWORD
	s_mov_b32 s16, 0
	s_and_saveexec_b32 s63, s62
	s_xor_b32 s62, exec_lo, s63
	s_cbranch_execz .LBB4_1002
; %bb.385:                              ;   in Loop: Header=BB4_358 Depth=4
	v_cmp_eq_u16_sdwa s72, v16, v116 src0_sel:BYTE_1 src1_sel:DWORD
	s_mov_b32 s16, -1
	s_and_saveexec_b32 s63, s72
; %bb.386:                              ;   in Loop: Header=BB4_358 Depth=4
	s_xor_b32 s16, exec_lo, -1
; %bb.387:                              ;   in Loop: Header=BB4_358 Depth=4
	s_or_b32 exec_lo, exec_lo, s63
	s_and_b32 s16, s16, exec_lo
	s_or_saveexec_b32 s62, s62
	v_mov_b32_e32 v88, 0x7f800001
	s_xor_b32 exec_lo, exec_lo, s62
	s_cbranch_execnz .LBB4_1003
.LBB4_388:                              ;   in Loop: Header=BB4_358 Depth=4
	s_or_b32 exec_lo, exec_lo, s62
	s_and_saveexec_b32 s62, s16
	s_cbranch_execz .LBB4_390
.LBB4_389:                              ;   in Loop: Header=BB4_358 Depth=4
	v_and_b32_sdwa v26, v117, v16 dst_sel:DWORD dst_unused:UNUSED_PAD src0_sel:DWORD src1_sel:BYTE_1
	v_and_b32_e32 v27, 3, v26
	v_bfe_u32 v90, v26, 2, 5
	v_ffbh_u32_e32 v88, v27
	v_cmp_eq_u32_e32 vcc_lo, 0, v90
	v_min_u32_e32 v88, 32, v88
	v_subrev_nc_u32_e32 v89, 29, v88
	v_sub_nc_u32_e32 v88, 30, v88
	v_lshlrev_b32_e32 v26, v89, v26
	v_lshlrev_b32_sdwa v89, v118, v16 dst_sel:DWORD dst_unused:UNUSED_PAD src0_sel:DWORD src1_sel:BYTE_1
	v_cndmask_b32_e32 v88, v90, v88, vcc_lo
	v_and_b32_e32 v26, 3, v26
	v_lshl_add_u32 v88, v88, 23, 0x37800000
	v_cndmask_b32_e32 v26, v27, v26, vcc_lo
	v_and_b32_e32 v27, 0x80000000, v89
	v_lshlrev_b32_e32 v26, 21, v26
	v_or3_b32 v88, v27, v88, v26
.LBB4_390:                              ;   in Loop: Header=BB4_358 Depth=4
	s_or_b32 exec_lo, exec_lo, s62
	v_mul_f32_e32 v88, v79, v88
	v_mov_b32_e32 v79, 0x8000
	s_mov_b32 s62, exec_lo
	v_and_b32_e32 v26, 0x7f800000, v88
	v_cmpx_ne_u32_e32 0x7f800000, v26
	s_cbranch_execz .LBB4_398
; %bb.391:                              ;   in Loop: Header=BB4_358 Depth=4
	v_mov_b32_e32 v79, 0
	s_mov_b32 s63, exec_lo
	v_cmpx_ne_u32_e32 0, v88
	s_cbranch_execz .LBB4_397
; %bb.392:                              ;   in Loop: Header=BB4_358 Depth=4
	v_bfe_u32 v26, v88, 23, 8
	v_and_b32_e32 v27, 0x7fffff, v88
	v_sub_nc_u32_e32 v79, 0x70, v26
	v_cmp_gt_u32_e32 vcc_lo, 0x71, v26
	v_or_b32_e32 v89, 0x800000, v27
	v_cndmask_b32_e32 v79, 0, v79, vcc_lo
	v_cmp_eq_u32_e32 vcc_lo, 0, v26
	v_add_nc_u32_e32 v26, 0xffffff91, v26
	v_cndmask_b32_e64 v79, v79, 0x6f, vcc_lo
	v_cndmask_b32_e32 v27, v89, v27, vcc_lo
	v_cndmask_b32_e64 v26, v26, 0xffffff92, vcc_lo
	v_lshl_add_u32 v90, 0x200000, v79, -1
	v_lshrrev_b32_e32 v89, v79, v27
	v_lshlrev_b32_e64 v92, v79, 0x100000
	v_and_b32_e32 v27, v90, v27
	v_bfe_u32 v91, v89, 21, 1
	v_cmp_eq_u32_e64 s16, v27, v92
	v_add_nc_u32_e32 v90, -1, v91
	v_lshrrev_b32_e32 v91, 23, v89
	v_cndmask_b32_e64 v27, 0, v90, s16
	v_add_nc_u32_e32 v90, v79, v26
	v_xor_b32_e32 v91, 1, v91
	s_mov_b32 s16, exec_lo
                                        ; implicit-def: $vgpr79
	v_add_nc_u32_e32 v27, v27, v89
	v_and_b32_e32 v26, 0x1fffff, v27
	v_add_nc_u32_e32 v89, v26, v89
	v_cmpx_ne_u32_e64 v90, v91
	s_xor_b32 s16, exec_lo, s16
; %bb.393:                              ;   in Loop: Header=BB4_358 Depth=4
	v_cmp_lt_u32_e32 vcc_lo, 0xffffff, v89
	v_sub_nc_u32_e32 v26, v90, v91
	v_cndmask_b32_e64 v27, 0, 1, vcc_lo
	v_add_co_ci_u32_e64 v79, null, 0, v26, vcc_lo
	v_lshrrev_b32_e32 v89, v27, v89
; %bb.394:                              ;   in Loop: Header=BB4_358 Depth=4
	s_andn2_saveexec_b32 s16, s16
; %bb.395:                              ;   in Loop: Header=BB4_358 Depth=4
	v_bfe_u32 v79, v89, 23, 1
; %bb.396:                              ;   in Loop: Header=BB4_358 Depth=4
	s_or_b32 exec_lo, exec_lo, s16
	v_lshrrev_b32_e32 v26, 21, v89
	v_min_i32_e32 v27, 31, v79
	v_cmp_gt_i32_e32 vcc_lo, 32, v79
	v_and_b32_sdwa v88, v88, v116 dst_sel:DWORD dst_unused:UNUSED_PAD src0_sel:BYTE_3 src1_sel:DWORD
	v_lshlrev_b32_e32 v27, 2, v27
	v_cndmask_b32_e32 v26, 3, v26, vcc_lo
	v_and_b32_e32 v27, 0xfc, v27
	v_and_b32_e32 v89, 3, v26
	v_or_b32_e32 v26, v79, v26
	v_or3_b32 v27, v88, v27, v89
	v_cmp_ne_u32_e32 vcc_lo, 0, v26
	v_lshlrev_b32_e32 v27, 8, v27
	v_cndmask_b32_e32 v79, 0, v27, vcc_lo
.LBB4_397:                              ;   in Loop: Header=BB4_358 Depth=4
	s_or_b32 exec_lo, exec_lo, s63
.LBB4_398:                              ;   in Loop: Header=BB4_358 Depth=4
	s_or_b32 exec_lo, exec_lo, s62
	v_and_b32_sdwa v89, v20, v119 dst_sel:DWORD dst_unused:UNUSED_PAD src0_sel:WORD_1 src1_sel:DWORD
	s_mov_b32 s16, 0
	s_mov_b32 s62, exec_lo
	v_cmpx_lt_i16_e32 0x7f, v89
	s_xor_b32 s62, exec_lo, s62
	s_cbranch_execz .LBB4_1004
; %bb.399:                              ;   in Loop: Header=BB4_358 Depth=4
	s_mov_b32 s16, -1
	s_mov_b32 s63, exec_lo
	v_cmpx_eq_u16_e32 0x80, v89
; %bb.400:                              ;   in Loop: Header=BB4_358 Depth=4
	s_xor_b32 s16, exec_lo, -1
; %bb.401:                              ;   in Loop: Header=BB4_358 Depth=4
	s_or_b32 exec_lo, exec_lo, s63
	s_and_b32 s16, s16, exec_lo
                                        ; implicit-def: $vgpr89
	s_or_saveexec_b32 s62, s62
	v_mov_b32_e32 v88, 0x7f800001
	s_xor_b32 exec_lo, exec_lo, s62
	s_cbranch_execnz .LBB4_1005
.LBB4_402:                              ;   in Loop: Header=BB4_358 Depth=4
	s_or_b32 exec_lo, exec_lo, s62
	s_and_saveexec_b32 s62, s16
	s_cbranch_execz .LBB4_404
.LBB4_403:                              ;   in Loop: Header=BB4_358 Depth=4
	v_bfe_u32 v26, v20, 16, 2
	v_bfe_u32 v89, v20, 18, 5
	v_lshlrev_b32_e32 v90, 8, v20
	v_ffbh_u32_e32 v27, v26
	v_cmp_eq_u32_e32 vcc_lo, 0, v89
	v_min_u32_e32 v27, 32, v27
	v_subrev_nc_u32_e32 v88, 29, v27
	v_sub_nc_u32_e32 v27, 30, v27
	v_lshlrev_b32_sdwa v88, v88, v20 dst_sel:DWORD dst_unused:UNUSED_PAD src0_sel:DWORD src1_sel:WORD_1
	v_cndmask_b32_e32 v27, v89, v27, vcc_lo
	v_and_b32_e32 v88, 3, v88
	v_lshl_add_u32 v27, v27, 23, 0x37800000
	v_cndmask_b32_e32 v26, v26, v88, vcc_lo
	v_and_b32_e32 v88, 0x80000000, v90
	v_lshlrev_b32_e32 v26, 21, v26
	v_or3_b32 v88, v88, v27, v26
.LBB4_404:                              ;   in Loop: Header=BB4_358 Depth=4
	s_or_b32 exec_lo, exec_lo, s62
	v_and_b32_sdwa v90, v16, v119 dst_sel:DWORD dst_unused:UNUSED_PAD src0_sel:WORD_1 src1_sel:DWORD
	s_mov_b32 s16, 0
	s_mov_b32 s62, exec_lo
	v_cmpx_lt_i16_e32 0x7f, v90
	s_xor_b32 s62, exec_lo, s62
	s_cbranch_execz .LBB4_1006
; %bb.405:                              ;   in Loop: Header=BB4_358 Depth=4
	s_mov_b32 s16, -1
	s_mov_b32 s63, exec_lo
	v_cmpx_eq_u16_e32 0x80, v90
; %bb.406:                              ;   in Loop: Header=BB4_358 Depth=4
	s_xor_b32 s16, exec_lo, -1
; %bb.407:                              ;   in Loop: Header=BB4_358 Depth=4
	s_or_b32 exec_lo, exec_lo, s63
	s_and_b32 s16, s16, exec_lo
                                        ; implicit-def: $vgpr90
	s_or_saveexec_b32 s62, s62
	v_mov_b32_e32 v89, 0x7f800001
	s_xor_b32 exec_lo, exec_lo, s62
	s_cbranch_execnz .LBB4_1007
.LBB4_408:                              ;   in Loop: Header=BB4_358 Depth=4
	s_or_b32 exec_lo, exec_lo, s62
	s_and_saveexec_b32 s62, s16
	s_cbranch_execz .LBB4_410
.LBB4_409:                              ;   in Loop: Header=BB4_358 Depth=4
	v_bfe_u32 v26, v16, 16, 2
	v_bfe_u32 v90, v16, 18, 5
	v_lshlrev_b32_e32 v91, 8, v16
	v_ffbh_u32_e32 v27, v26
	v_cmp_eq_u32_e32 vcc_lo, 0, v90
	v_min_u32_e32 v27, 32, v27
	v_subrev_nc_u32_e32 v89, 29, v27
	v_sub_nc_u32_e32 v27, 30, v27
	v_lshlrev_b32_sdwa v89, v89, v16 dst_sel:DWORD dst_unused:UNUSED_PAD src0_sel:DWORD src1_sel:WORD_1
	v_cndmask_b32_e32 v27, v90, v27, vcc_lo
	v_and_b32_e32 v89, 3, v89
	v_lshl_add_u32 v27, v27, 23, 0x37800000
	v_cndmask_b32_e32 v26, v26, v89, vcc_lo
	v_and_b32_e32 v89, 0x80000000, v91
	v_lshlrev_b32_e32 v26, 21, v26
	v_or3_b32 v89, v89, v27, v26
.LBB4_410:                              ;   in Loop: Header=BB4_358 Depth=4
	s_or_b32 exec_lo, exec_lo, s62
	v_mul_f32_e32 v89, v88, v89
	v_mov_b32_e32 v88, 0x80
	s_mov_b32 s62, exec_lo
	v_and_b32_e32 v26, 0x7f800000, v89
	v_cmpx_ne_u32_e32 0x7f800000, v26
	s_cbranch_execz .LBB4_418
; %bb.411:                              ;   in Loop: Header=BB4_358 Depth=4
	v_mov_b32_e32 v88, 0
	s_mov_b32 s63, exec_lo
	v_cmpx_ne_u32_e32 0, v89
	s_cbranch_execz .LBB4_417
; %bb.412:                              ;   in Loop: Header=BB4_358 Depth=4
	v_bfe_u32 v26, v89, 23, 8
	v_and_b32_e32 v27, 0x7fffff, v89
	v_sub_nc_u32_e32 v88, 0x70, v26
	v_cmp_gt_u32_e32 vcc_lo, 0x71, v26
	v_or_b32_e32 v90, 0x800000, v27
	v_cndmask_b32_e32 v88, 0, v88, vcc_lo
	v_cmp_eq_u32_e32 vcc_lo, 0, v26
	v_add_nc_u32_e32 v26, 0xffffff91, v26
	v_cndmask_b32_e64 v88, v88, 0x6f, vcc_lo
	v_cndmask_b32_e32 v27, v90, v27, vcc_lo
	v_cndmask_b32_e64 v26, v26, 0xffffff92, vcc_lo
	v_lshl_add_u32 v91, 0x200000, v88, -1
	v_lshrrev_b32_e32 v90, v88, v27
	v_lshlrev_b32_e64 v93, v88, 0x100000
	v_and_b32_e32 v27, v91, v27
	v_bfe_u32 v92, v90, 21, 1
	v_cmp_eq_u32_e64 s16, v27, v93
	v_add_nc_u32_e32 v91, -1, v92
	v_lshrrev_b32_e32 v92, 23, v90
	v_cndmask_b32_e64 v27, 0, v91, s16
	v_add_nc_u32_e32 v91, v88, v26
	v_xor_b32_e32 v92, 1, v92
	s_mov_b32 s16, exec_lo
                                        ; implicit-def: $vgpr88
	v_add_nc_u32_e32 v27, v27, v90
	v_and_b32_e32 v26, 0x1fffff, v27
	v_add_nc_u32_e32 v90, v26, v90
	v_cmpx_ne_u32_e64 v91, v92
	s_xor_b32 s16, exec_lo, s16
; %bb.413:                              ;   in Loop: Header=BB4_358 Depth=4
	v_cmp_lt_u32_e32 vcc_lo, 0xffffff, v90
	v_sub_nc_u32_e32 v26, v91, v92
	v_cndmask_b32_e64 v27, 0, 1, vcc_lo
	v_add_co_ci_u32_e64 v88, null, 0, v26, vcc_lo
	v_lshrrev_b32_e32 v90, v27, v90
; %bb.414:                              ;   in Loop: Header=BB4_358 Depth=4
	s_andn2_saveexec_b32 s16, s16
; %bb.415:                              ;   in Loop: Header=BB4_358 Depth=4
	v_bfe_u32 v88, v90, 23, 1
; %bb.416:                              ;   in Loop: Header=BB4_358 Depth=4
	s_or_b32 exec_lo, exec_lo, s16
	v_lshrrev_b32_e32 v26, 21, v90
	v_min_i32_e32 v27, 31, v88
	v_cmp_gt_i32_e32 vcc_lo, 32, v88
	v_and_b32_sdwa v89, v89, v116 dst_sel:DWORD dst_unused:UNUSED_PAD src0_sel:BYTE_3 src1_sel:DWORD
	v_lshlrev_b32_e32 v27, 2, v27
	v_cndmask_b32_e32 v26, 3, v26, vcc_lo
	v_and_b32_e32 v27, 0xfc, v27
	v_and_b32_e32 v90, 3, v26
	v_or_b32_e32 v26, v88, v26
	v_or3_b32 v27, v27, v89, v90
	v_cmp_ne_u32_e32 vcc_lo, 0, v26
	v_cndmask_b32_e32 v88, 0, v27, vcc_lo
.LBB4_417:                              ;   in Loop: Header=BB4_358 Depth=4
	s_or_b32 exec_lo, exec_lo, s63
.LBB4_418:                              ;   in Loop: Header=BB4_358 Depth=4
	s_or_b32 exec_lo, exec_lo, s62
	v_cmp_gt_i16_sdwa s62, v20, v115 src0_sel:BYTE_3 src1_sel:DWORD
	s_mov_b32 s16, 0
	s_and_saveexec_b32 s63, s62
	s_xor_b32 s62, exec_lo, s63
	s_cbranch_execz .LBB4_1008
; %bb.419:                              ;   in Loop: Header=BB4_358 Depth=4
	v_cmp_eq_u16_sdwa s72, v20, v116 src0_sel:BYTE_3 src1_sel:DWORD
	s_mov_b32 s16, -1
	s_and_saveexec_b32 s63, s72
; %bb.420:                              ;   in Loop: Header=BB4_358 Depth=4
	s_xor_b32 s16, exec_lo, -1
; %bb.421:                              ;   in Loop: Header=BB4_358 Depth=4
	s_or_b32 exec_lo, exec_lo, s63
	s_and_b32 s16, s16, exec_lo
	s_or_saveexec_b32 s62, s62
	v_mov_b32_e32 v89, 0x7f800001
	s_xor_b32 exec_lo, exec_lo, s62
	s_cbranch_execnz .LBB4_1009
.LBB4_422:                              ;   in Loop: Header=BB4_358 Depth=4
	s_or_b32 exec_lo, exec_lo, s62
	s_and_saveexec_b32 s62, s16
	s_cbranch_execz .LBB4_424
.LBB4_423:                              ;   in Loop: Header=BB4_358 Depth=4
	v_bfe_u32 v26, v20, 24, 2
	v_bfe_u32 v90, v20, 26, 5
	v_ffbh_u32_e32 v27, v26
	v_cmp_eq_u32_e32 vcc_lo, 0, v90
	v_min_u32_e32 v27, 32, v27
	v_subrev_nc_u32_e32 v89, 29, v27
	v_sub_nc_u32_e32 v27, 30, v27
	v_lshlrev_b32_sdwa v89, v89, v20 dst_sel:DWORD dst_unused:UNUSED_PAD src0_sel:DWORD src1_sel:BYTE_3
	v_cndmask_b32_e32 v27, v90, v27, vcc_lo
	v_and_b32_e32 v20, 0x80000000, v20
	v_and_b32_e32 v89, 3, v89
	v_lshl_add_u32 v27, v27, 23, 0x37800000
	v_cndmask_b32_e32 v26, v26, v89, vcc_lo
	v_lshlrev_b32_e32 v26, 21, v26
	v_or3_b32 v89, v20, v27, v26
.LBB4_424:                              ;   in Loop: Header=BB4_358 Depth=4
	s_or_b32 exec_lo, exec_lo, s62
	v_cmp_gt_i16_sdwa s62, v16, v115 src0_sel:BYTE_3 src1_sel:DWORD
	s_mov_b32 s16, 0
	s_and_saveexec_b32 s63, s62
	s_xor_b32 s62, exec_lo, s63
	s_cbranch_execz .LBB4_1010
; %bb.425:                              ;   in Loop: Header=BB4_358 Depth=4
	v_cmp_eq_u16_sdwa s72, v16, v116 src0_sel:BYTE_3 src1_sel:DWORD
	s_mov_b32 s16, -1
	s_and_saveexec_b32 s63, s72
; %bb.426:                              ;   in Loop: Header=BB4_358 Depth=4
	s_xor_b32 s16, exec_lo, -1
; %bb.427:                              ;   in Loop: Header=BB4_358 Depth=4
	s_or_b32 exec_lo, exec_lo, s63
	s_and_b32 s16, s16, exec_lo
	s_or_saveexec_b32 s62, s62
	v_mov_b32_e32 v20, 0x7f800001
	s_xor_b32 exec_lo, exec_lo, s62
	s_cbranch_execnz .LBB4_1011
.LBB4_428:                              ;   in Loop: Header=BB4_358 Depth=4
	s_or_b32 exec_lo, exec_lo, s62
	s_and_saveexec_b32 s62, s16
	s_cbranch_execz .LBB4_430
.LBB4_429:                              ;   in Loop: Header=BB4_358 Depth=4
	v_bfe_u32 v20, v16, 24, 2
	v_bfe_u32 v90, v16, 26, 5
	v_ffbh_u32_e32 v26, v20
	v_cmp_eq_u32_e32 vcc_lo, 0, v90
	v_min_u32_e32 v26, 32, v26
	v_subrev_nc_u32_e32 v27, 29, v26
	v_sub_nc_u32_e32 v26, 30, v26
	v_lshlrev_b32_sdwa v27, v27, v16 dst_sel:DWORD dst_unused:UNUSED_PAD src0_sel:DWORD src1_sel:BYTE_3
	v_cndmask_b32_e32 v26, v90, v26, vcc_lo
	v_and_b32_e32 v16, 0x80000000, v16
	v_and_b32_e32 v27, 3, v27
	v_lshl_add_u32 v26, v26, 23, 0x37800000
	v_cndmask_b32_e32 v20, v20, v27, vcc_lo
	v_lshlrev_b32_e32 v20, 21, v20
	v_or3_b32 v20, v16, v26, v20
.LBB4_430:                              ;   in Loop: Header=BB4_358 Depth=4
	s_or_b32 exec_lo, exec_lo, s62
	v_mul_f32_e32 v20, v89, v20
	v_and_b32_e32 v16, 0x7f800000, v20
	v_cmp_ne_u32_e32 vcc_lo, 0x7f800000, v16
	v_mov_b32_e32 v16, 0x8000
	s_and_saveexec_b32 s62, vcc_lo
	s_cbranch_execz .LBB4_438
; %bb.431:                              ;   in Loop: Header=BB4_358 Depth=4
	v_mov_b32_e32 v16, 0
	s_mov_b32 s63, exec_lo
	v_cmpx_ne_u32_e32 0, v20
	s_cbranch_execz .LBB4_437
; %bb.432:                              ;   in Loop: Header=BB4_358 Depth=4
	v_bfe_u32 v16, v20, 23, 8
	v_and_b32_e32 v26, 0x7fffff, v20
	v_sub_nc_u32_e32 v27, 0x70, v16
	v_cmp_gt_u32_e32 vcc_lo, 0x71, v16
	v_or_b32_e32 v89, 0x800000, v26
	v_cndmask_b32_e32 v27, 0, v27, vcc_lo
	v_cmp_eq_u32_e32 vcc_lo, 0, v16
	v_add_nc_u32_e32 v16, 0xffffff91, v16
	v_cndmask_b32_e64 v27, v27, 0x6f, vcc_lo
	v_cndmask_b32_e32 v26, v89, v26, vcc_lo
	v_cndmask_b32_e64 v16, v16, 0xffffff92, vcc_lo
	v_lshl_add_u32 v90, 0x200000, v27, -1
	v_lshrrev_b32_e32 v89, v27, v26
	v_lshlrev_b32_e64 v92, v27, 0x100000
	v_and_b32_e32 v26, v90, v26
	v_bfe_u32 v91, v89, 21, 1
	v_cmp_eq_u32_e64 s16, v26, v92
	v_add_nc_u32_e32 v90, -1, v91
	v_lshrrev_b32_e32 v91, 23, v89
	v_cndmask_b32_e64 v26, 0, v90, s16
	v_add_nc_u32_e32 v90, v27, v16
	v_xor_b32_e32 v91, 1, v91
	s_mov_b32 s16, exec_lo
	v_add_nc_u32_e32 v26, v26, v89
	v_and_b32_e32 v16, 0x1fffff, v26
	v_add_nc_u32_e32 v89, v16, v89
                                        ; implicit-def: $vgpr16
	v_cmpx_ne_u32_e64 v90, v91
	s_xor_b32 s16, exec_lo, s16
; %bb.433:                              ;   in Loop: Header=BB4_358 Depth=4
	v_cmp_lt_u32_e32 vcc_lo, 0xffffff, v89
	v_sub_nc_u32_e32 v16, v90, v91
	v_cndmask_b32_e64 v26, 0, 1, vcc_lo
	v_add_co_ci_u32_e64 v16, null, 0, v16, vcc_lo
	v_lshrrev_b32_e32 v89, v26, v89
; %bb.434:                              ;   in Loop: Header=BB4_358 Depth=4
	s_andn2_saveexec_b32 s16, s16
; %bb.435:                              ;   in Loop: Header=BB4_358 Depth=4
	v_bfe_u32 v16, v89, 23, 1
; %bb.436:                              ;   in Loop: Header=BB4_358 Depth=4
	s_or_b32 exec_lo, exec_lo, s16
	v_lshrrev_b32_e32 v26, 21, v89
	v_min_i32_e32 v27, 31, v16
	v_cmp_gt_i32_e32 vcc_lo, 32, v16
	v_and_b32_sdwa v20, v20, v116 dst_sel:DWORD dst_unused:UNUSED_PAD src0_sel:BYTE_3 src1_sel:DWORD
	v_lshlrev_b32_e32 v27, 2, v27
	v_cndmask_b32_e32 v26, 3, v26, vcc_lo
	v_and_b32_e32 v27, 0xfc, v27
	v_and_b32_e32 v89, 3, v26
	v_or_b32_e32 v16, v16, v26
	v_or3_b32 v20, v20, v27, v89
	v_cmp_ne_u32_e32 vcc_lo, 0, v16
	v_lshlrev_b32_e32 v20, 8, v20
	v_cndmask_b32_e32 v16, 0, v20, vcc_lo
.LBB4_437:                              ;   in Loop: Header=BB4_358 Depth=4
	s_or_b32 exec_lo, exec_lo, s63
.LBB4_438:                              ;   in Loop: Header=BB4_358 Depth=4
	s_or_b32 exec_lo, exec_lo, s62
	v_cmp_gt_i16_sdwa s62, v21, v115 src0_sel:BYTE_0 src1_sel:DWORD
	s_mov_b32 s16, 0
	s_and_saveexec_b32 s63, s62
	s_xor_b32 s62, exec_lo, s63
	s_cbranch_execz .LBB4_1012
; %bb.439:                              ;   in Loop: Header=BB4_358 Depth=4
	v_cmp_eq_u16_sdwa s72, v21, v116 src0_sel:BYTE_0 src1_sel:DWORD
	s_mov_b32 s16, -1
	s_and_saveexec_b32 s63, s72
; %bb.440:                              ;   in Loop: Header=BB4_358 Depth=4
	s_xor_b32 s16, exec_lo, -1
; %bb.441:                              ;   in Loop: Header=BB4_358 Depth=4
	s_or_b32 exec_lo, exec_lo, s63
	s_and_b32 s16, s16, exec_lo
	s_or_saveexec_b32 s62, s62
	v_mov_b32_e32 v20, 0x7f800001
	s_xor_b32 exec_lo, exec_lo, s62
	s_cbranch_execnz .LBB4_1013
.LBB4_442:                              ;   in Loop: Header=BB4_358 Depth=4
	s_or_b32 exec_lo, exec_lo, s62
	s_and_saveexec_b32 s62, s16
	s_cbranch_execz .LBB4_444
.LBB4_443:                              ;   in Loop: Header=BB4_358 Depth=4
	v_and_b32_e32 v20, 3, v21
	v_bfe_u32 v89, v21, 2, 5
	v_lshlrev_b32_e32 v90, 24, v21
	v_ffbh_u32_e32 v26, v20
	v_cmp_eq_u32_e32 vcc_lo, 0, v89
	v_min_u32_e32 v26, 32, v26
	v_subrev_nc_u32_e32 v27, 29, v26
	v_sub_nc_u32_e32 v26, 30, v26
	v_lshlrev_b32_e32 v27, v27, v21
	v_cndmask_b32_e32 v26, v89, v26, vcc_lo
	v_and_b32_e32 v27, 3, v27
	v_lshl_add_u32 v26, v26, 23, 0x37800000
	v_cndmask_b32_e32 v20, v20, v27, vcc_lo
	v_and_b32_e32 v27, 0x80000000, v90
	v_lshlrev_b32_e32 v20, 21, v20
	v_or3_b32 v20, v27, v26, v20
.LBB4_444:                              ;   in Loop: Header=BB4_358 Depth=4
	s_or_b32 exec_lo, exec_lo, s62
	v_cmp_gt_i16_sdwa s62, v17, v115 src0_sel:BYTE_0 src1_sel:DWORD
	s_mov_b32 s16, 0
	s_and_saveexec_b32 s63, s62
	s_xor_b32 s62, exec_lo, s63
	s_cbranch_execz .LBB4_1014
; %bb.445:                              ;   in Loop: Header=BB4_358 Depth=4
	v_cmp_eq_u16_sdwa s72, v17, v116 src0_sel:BYTE_0 src1_sel:DWORD
	s_mov_b32 s16, -1
	s_and_saveexec_b32 s63, s72
; %bb.446:                              ;   in Loop: Header=BB4_358 Depth=4
	s_xor_b32 s16, exec_lo, -1
; %bb.447:                              ;   in Loop: Header=BB4_358 Depth=4
	s_or_b32 exec_lo, exec_lo, s63
	s_and_b32 s16, s16, exec_lo
	s_or_saveexec_b32 s62, s62
	v_mov_b32_e32 v89, 0x7f800001
	s_xor_b32 exec_lo, exec_lo, s62
	s_cbranch_execnz .LBB4_1015
.LBB4_448:                              ;   in Loop: Header=BB4_358 Depth=4
	s_or_b32 exec_lo, exec_lo, s62
	s_and_saveexec_b32 s62, s16
	s_cbranch_execz .LBB4_450
.LBB4_449:                              ;   in Loop: Header=BB4_358 Depth=4
	v_and_b32_e32 v26, 3, v17
	v_bfe_u32 v90, v17, 2, 5
	v_lshlrev_b32_e32 v91, 24, v17
	v_ffbh_u32_e32 v27, v26
	v_cmp_eq_u32_e32 vcc_lo, 0, v90
	v_min_u32_e32 v27, 32, v27
	v_subrev_nc_u32_e32 v89, 29, v27
	v_sub_nc_u32_e32 v27, 30, v27
	v_lshlrev_b32_e32 v89, v89, v17
	v_cndmask_b32_e32 v27, v90, v27, vcc_lo
	v_and_b32_e32 v89, 3, v89
	v_lshl_add_u32 v27, v27, 23, 0x37800000
	v_cndmask_b32_e32 v26, v26, v89, vcc_lo
	v_and_b32_e32 v89, 0x80000000, v91
	v_lshlrev_b32_e32 v26, 21, v26
	v_or3_b32 v89, v89, v27, v26
.LBB4_450:                              ;   in Loop: Header=BB4_358 Depth=4
	s_or_b32 exec_lo, exec_lo, s62
	v_mul_f32_e32 v89, v20, v89
	v_and_b32_e32 v20, 0x7f800000, v89
	v_cmp_ne_u32_e32 vcc_lo, 0x7f800000, v20
	v_mov_b32_e32 v20, 0x80
	s_and_saveexec_b32 s62, vcc_lo
	s_cbranch_execz .LBB4_458
; %bb.451:                              ;   in Loop: Header=BB4_358 Depth=4
	v_mov_b32_e32 v20, 0
	s_mov_b32 s63, exec_lo
	v_cmpx_ne_u32_e32 0, v89
	s_cbranch_execz .LBB4_457
; %bb.452:                              ;   in Loop: Header=BB4_358 Depth=4
	v_bfe_u32 v20, v89, 23, 8
	v_and_b32_e32 v26, 0x7fffff, v89
	v_sub_nc_u32_e32 v27, 0x70, v20
	v_cmp_gt_u32_e32 vcc_lo, 0x71, v20
	v_or_b32_e32 v90, 0x800000, v26
	v_cndmask_b32_e32 v27, 0, v27, vcc_lo
	v_cmp_eq_u32_e32 vcc_lo, 0, v20
	v_add_nc_u32_e32 v20, 0xffffff91, v20
	v_cndmask_b32_e64 v27, v27, 0x6f, vcc_lo
	v_cndmask_b32_e32 v26, v90, v26, vcc_lo
	v_cndmask_b32_e64 v20, v20, 0xffffff92, vcc_lo
	v_lshl_add_u32 v91, 0x200000, v27, -1
	v_lshrrev_b32_e32 v90, v27, v26
	v_lshlrev_b32_e64 v93, v27, 0x100000
	v_and_b32_e32 v26, v91, v26
	v_bfe_u32 v92, v90, 21, 1
	v_cmp_eq_u32_e64 s16, v26, v93
	v_add_nc_u32_e32 v91, -1, v92
	v_lshrrev_b32_e32 v92, 23, v90
	v_cndmask_b32_e64 v26, 0, v91, s16
	v_add_nc_u32_e32 v91, v27, v20
	v_xor_b32_e32 v92, 1, v92
	s_mov_b32 s16, exec_lo
	v_add_nc_u32_e32 v26, v26, v90
	v_and_b32_e32 v20, 0x1fffff, v26
	v_add_nc_u32_e32 v90, v20, v90
                                        ; implicit-def: $vgpr20
	v_cmpx_ne_u32_e64 v91, v92
	s_xor_b32 s16, exec_lo, s16
; %bb.453:                              ;   in Loop: Header=BB4_358 Depth=4
	v_cmp_lt_u32_e32 vcc_lo, 0xffffff, v90
	v_sub_nc_u32_e32 v20, v91, v92
	v_cndmask_b32_e64 v26, 0, 1, vcc_lo
	v_add_co_ci_u32_e64 v20, null, 0, v20, vcc_lo
	v_lshrrev_b32_e32 v90, v26, v90
; %bb.454:                              ;   in Loop: Header=BB4_358 Depth=4
	s_andn2_saveexec_b32 s16, s16
; %bb.455:                              ;   in Loop: Header=BB4_358 Depth=4
	v_bfe_u32 v20, v90, 23, 1
; %bb.456:                              ;   in Loop: Header=BB4_358 Depth=4
	s_or_b32 exec_lo, exec_lo, s16
	v_lshrrev_b32_e32 v26, 21, v90
	v_min_i32_e32 v27, 31, v20
	v_cmp_gt_i32_e32 vcc_lo, 32, v20
	v_and_b32_sdwa v89, v89, v116 dst_sel:DWORD dst_unused:UNUSED_PAD src0_sel:BYTE_3 src1_sel:DWORD
	v_lshlrev_b32_e32 v27, 2, v27
	v_cndmask_b32_e32 v26, 3, v26, vcc_lo
	v_and_b32_e32 v27, 0xfc, v27
	v_and_b32_e32 v90, 3, v26
	v_or_b32_e32 v20, v20, v26
	v_or3_b32 v26, v27, v89, v90
	v_cmp_ne_u32_e32 vcc_lo, 0, v20
	v_cndmask_b32_e32 v20, 0, v26, vcc_lo
.LBB4_457:                              ;   in Loop: Header=BB4_358 Depth=4
	s_or_b32 exec_lo, exec_lo, s63
.LBB4_458:                              ;   in Loop: Header=BB4_358 Depth=4
	s_or_b32 exec_lo, exec_lo, s62
	v_cmp_gt_i16_sdwa s62, v21, v115 src0_sel:BYTE_1 src1_sel:DWORD
	s_mov_b32 s16, 0
	s_and_saveexec_b32 s63, s62
	s_xor_b32 s62, exec_lo, s63
	s_cbranch_execz .LBB4_1016
; %bb.459:                              ;   in Loop: Header=BB4_358 Depth=4
	v_cmp_eq_u16_sdwa s72, v21, v116 src0_sel:BYTE_1 src1_sel:DWORD
	s_mov_b32 s16, -1
	s_and_saveexec_b32 s63, s72
; %bb.460:                              ;   in Loop: Header=BB4_358 Depth=4
	s_xor_b32 s16, exec_lo, -1
; %bb.461:                              ;   in Loop: Header=BB4_358 Depth=4
	s_or_b32 exec_lo, exec_lo, s63
	s_and_b32 s16, s16, exec_lo
	s_or_saveexec_b32 s62, s62
	v_mov_b32_e32 v89, 0x7f800001
	s_xor_b32 exec_lo, exec_lo, s62
	s_cbranch_execnz .LBB4_1017
.LBB4_462:                              ;   in Loop: Header=BB4_358 Depth=4
	s_or_b32 exec_lo, exec_lo, s62
	s_and_saveexec_b32 s62, s16
	s_cbranch_execz .LBB4_464
.LBB4_463:                              ;   in Loop: Header=BB4_358 Depth=4
	v_and_b32_sdwa v26, v117, v21 dst_sel:DWORD dst_unused:UNUSED_PAD src0_sel:DWORD src1_sel:BYTE_1
	v_and_b32_e32 v27, 3, v26
	v_bfe_u32 v91, v26, 2, 5
	v_ffbh_u32_e32 v89, v27
	v_cmp_eq_u32_e32 vcc_lo, 0, v91
	v_min_u32_e32 v89, 32, v89
	v_subrev_nc_u32_e32 v90, 29, v89
	v_sub_nc_u32_e32 v89, 30, v89
	v_lshlrev_b32_e32 v26, v90, v26
	v_lshlrev_b32_sdwa v90, v118, v21 dst_sel:DWORD dst_unused:UNUSED_PAD src0_sel:DWORD src1_sel:BYTE_1
	v_cndmask_b32_e32 v89, v91, v89, vcc_lo
	v_and_b32_e32 v26, 3, v26
	v_lshl_add_u32 v89, v89, 23, 0x37800000
	v_cndmask_b32_e32 v26, v27, v26, vcc_lo
	v_and_b32_e32 v27, 0x80000000, v90
	v_lshlrev_b32_e32 v26, 21, v26
	v_or3_b32 v89, v27, v89, v26
.LBB4_464:                              ;   in Loop: Header=BB4_358 Depth=4
	s_or_b32 exec_lo, exec_lo, s62
	v_cmp_gt_i16_sdwa s62, v17, v115 src0_sel:BYTE_1 src1_sel:DWORD
	s_mov_b32 s16, 0
	s_and_saveexec_b32 s63, s62
	s_xor_b32 s62, exec_lo, s63
	s_cbranch_execz .LBB4_1018
; %bb.465:                              ;   in Loop: Header=BB4_358 Depth=4
	v_cmp_eq_u16_sdwa s72, v17, v116 src0_sel:BYTE_1 src1_sel:DWORD
	s_mov_b32 s16, -1
	s_and_saveexec_b32 s63, s72
; %bb.466:                              ;   in Loop: Header=BB4_358 Depth=4
	s_xor_b32 s16, exec_lo, -1
; %bb.467:                              ;   in Loop: Header=BB4_358 Depth=4
	s_or_b32 exec_lo, exec_lo, s63
	s_and_b32 s16, s16, exec_lo
	s_or_saveexec_b32 s62, s62
	v_mov_b32_e32 v90, 0x7f800001
	s_xor_b32 exec_lo, exec_lo, s62
	s_cbranch_execnz .LBB4_1019
.LBB4_468:                              ;   in Loop: Header=BB4_358 Depth=4
	s_or_b32 exec_lo, exec_lo, s62
	s_and_saveexec_b32 s62, s16
	s_cbranch_execz .LBB4_470
.LBB4_469:                              ;   in Loop: Header=BB4_358 Depth=4
	v_and_b32_sdwa v26, v117, v17 dst_sel:DWORD dst_unused:UNUSED_PAD src0_sel:DWORD src1_sel:BYTE_1
	v_and_b32_e32 v27, 3, v26
	v_bfe_u32 v92, v26, 2, 5
	v_ffbh_u32_e32 v90, v27
	v_cmp_eq_u32_e32 vcc_lo, 0, v92
	v_min_u32_e32 v90, 32, v90
	v_subrev_nc_u32_e32 v91, 29, v90
	v_sub_nc_u32_e32 v90, 30, v90
	v_lshlrev_b32_e32 v26, v91, v26
	v_lshlrev_b32_sdwa v91, v118, v17 dst_sel:DWORD dst_unused:UNUSED_PAD src0_sel:DWORD src1_sel:BYTE_1
	v_cndmask_b32_e32 v90, v92, v90, vcc_lo
	v_and_b32_e32 v26, 3, v26
	v_lshl_add_u32 v90, v90, 23, 0x37800000
	v_cndmask_b32_e32 v26, v27, v26, vcc_lo
	v_and_b32_e32 v27, 0x80000000, v91
	v_lshlrev_b32_e32 v26, 21, v26
	v_or3_b32 v90, v27, v90, v26
.LBB4_470:                              ;   in Loop: Header=BB4_358 Depth=4
	s_or_b32 exec_lo, exec_lo, s62
	v_mul_f32_e32 v90, v89, v90
	v_mov_b32_e32 v89, 0x8000
	s_mov_b32 s62, exec_lo
	v_and_b32_e32 v26, 0x7f800000, v90
	v_cmpx_ne_u32_e32 0x7f800000, v26
	s_cbranch_execz .LBB4_478
; %bb.471:                              ;   in Loop: Header=BB4_358 Depth=4
	v_mov_b32_e32 v89, 0
	s_mov_b32 s63, exec_lo
	v_cmpx_ne_u32_e32 0, v90
	s_cbranch_execz .LBB4_477
; %bb.472:                              ;   in Loop: Header=BB4_358 Depth=4
	v_bfe_u32 v26, v90, 23, 8
	v_and_b32_e32 v27, 0x7fffff, v90
	v_sub_nc_u32_e32 v89, 0x70, v26
	v_cmp_gt_u32_e32 vcc_lo, 0x71, v26
	v_or_b32_e32 v91, 0x800000, v27
	v_cndmask_b32_e32 v89, 0, v89, vcc_lo
	v_cmp_eq_u32_e32 vcc_lo, 0, v26
	v_add_nc_u32_e32 v26, 0xffffff91, v26
	v_cndmask_b32_e64 v89, v89, 0x6f, vcc_lo
	v_cndmask_b32_e32 v27, v91, v27, vcc_lo
	v_cndmask_b32_e64 v26, v26, 0xffffff92, vcc_lo
	v_lshl_add_u32 v92, 0x200000, v89, -1
	v_lshrrev_b32_e32 v91, v89, v27
	v_lshlrev_b32_e64 v94, v89, 0x100000
	v_and_b32_e32 v27, v92, v27
	v_bfe_u32 v93, v91, 21, 1
	v_cmp_eq_u32_e64 s16, v27, v94
	v_add_nc_u32_e32 v92, -1, v93
	v_lshrrev_b32_e32 v93, 23, v91
	v_cndmask_b32_e64 v27, 0, v92, s16
	v_add_nc_u32_e32 v92, v89, v26
	v_xor_b32_e32 v93, 1, v93
	s_mov_b32 s16, exec_lo
                                        ; implicit-def: $vgpr89
	v_add_nc_u32_e32 v27, v27, v91
	v_and_b32_e32 v26, 0x1fffff, v27
	v_add_nc_u32_e32 v91, v26, v91
	v_cmpx_ne_u32_e64 v92, v93
	s_xor_b32 s16, exec_lo, s16
; %bb.473:                              ;   in Loop: Header=BB4_358 Depth=4
	v_cmp_lt_u32_e32 vcc_lo, 0xffffff, v91
	v_sub_nc_u32_e32 v26, v92, v93
	v_cndmask_b32_e64 v27, 0, 1, vcc_lo
	v_add_co_ci_u32_e64 v89, null, 0, v26, vcc_lo
	v_lshrrev_b32_e32 v91, v27, v91
; %bb.474:                              ;   in Loop: Header=BB4_358 Depth=4
	s_andn2_saveexec_b32 s16, s16
; %bb.475:                              ;   in Loop: Header=BB4_358 Depth=4
	v_bfe_u32 v89, v91, 23, 1
; %bb.476:                              ;   in Loop: Header=BB4_358 Depth=4
	s_or_b32 exec_lo, exec_lo, s16
	v_lshrrev_b32_e32 v26, 21, v91
	v_min_i32_e32 v27, 31, v89
	v_cmp_gt_i32_e32 vcc_lo, 32, v89
	v_and_b32_sdwa v90, v90, v116 dst_sel:DWORD dst_unused:UNUSED_PAD src0_sel:BYTE_3 src1_sel:DWORD
	v_lshlrev_b32_e32 v27, 2, v27
	v_cndmask_b32_e32 v26, 3, v26, vcc_lo
	v_and_b32_e32 v27, 0xfc, v27
	v_and_b32_e32 v91, 3, v26
	v_or_b32_e32 v26, v89, v26
	v_or3_b32 v27, v90, v27, v91
	v_cmp_ne_u32_e32 vcc_lo, 0, v26
	v_lshlrev_b32_e32 v27, 8, v27
	v_cndmask_b32_e32 v89, 0, v27, vcc_lo
.LBB4_477:                              ;   in Loop: Header=BB4_358 Depth=4
	s_or_b32 exec_lo, exec_lo, s63
.LBB4_478:                              ;   in Loop: Header=BB4_358 Depth=4
	s_or_b32 exec_lo, exec_lo, s62
	v_and_b32_sdwa v91, v21, v119 dst_sel:DWORD dst_unused:UNUSED_PAD src0_sel:WORD_1 src1_sel:DWORD
	s_mov_b32 s16, 0
	s_mov_b32 s62, exec_lo
	v_cmpx_lt_i16_e32 0x7f, v91
	s_xor_b32 s62, exec_lo, s62
	s_cbranch_execz .LBB4_1020
; %bb.479:                              ;   in Loop: Header=BB4_358 Depth=4
	s_mov_b32 s16, -1
	s_mov_b32 s63, exec_lo
	v_cmpx_eq_u16_e32 0x80, v91
; %bb.480:                              ;   in Loop: Header=BB4_358 Depth=4
	s_xor_b32 s16, exec_lo, -1
; %bb.481:                              ;   in Loop: Header=BB4_358 Depth=4
	s_or_b32 exec_lo, exec_lo, s63
	s_and_b32 s16, s16, exec_lo
                                        ; implicit-def: $vgpr91
	s_or_saveexec_b32 s62, s62
	v_mov_b32_e32 v90, 0x7f800001
	s_xor_b32 exec_lo, exec_lo, s62
	s_cbranch_execnz .LBB4_1021
.LBB4_482:                              ;   in Loop: Header=BB4_358 Depth=4
	s_or_b32 exec_lo, exec_lo, s62
	s_and_saveexec_b32 s62, s16
	s_cbranch_execz .LBB4_484
.LBB4_483:                              ;   in Loop: Header=BB4_358 Depth=4
	v_bfe_u32 v26, v21, 16, 2
	v_bfe_u32 v91, v21, 18, 5
	v_lshlrev_b32_e32 v92, 8, v21
	v_ffbh_u32_e32 v27, v26
	v_cmp_eq_u32_e32 vcc_lo, 0, v91
	v_min_u32_e32 v27, 32, v27
	v_subrev_nc_u32_e32 v90, 29, v27
	v_sub_nc_u32_e32 v27, 30, v27
	v_lshlrev_b32_sdwa v90, v90, v21 dst_sel:DWORD dst_unused:UNUSED_PAD src0_sel:DWORD src1_sel:WORD_1
	v_cndmask_b32_e32 v27, v91, v27, vcc_lo
	v_and_b32_e32 v90, 3, v90
	v_lshl_add_u32 v27, v27, 23, 0x37800000
	v_cndmask_b32_e32 v26, v26, v90, vcc_lo
	v_and_b32_e32 v90, 0x80000000, v92
	v_lshlrev_b32_e32 v26, 21, v26
	v_or3_b32 v90, v90, v27, v26
.LBB4_484:                              ;   in Loop: Header=BB4_358 Depth=4
	s_or_b32 exec_lo, exec_lo, s62
	v_and_b32_sdwa v92, v17, v119 dst_sel:DWORD dst_unused:UNUSED_PAD src0_sel:WORD_1 src1_sel:DWORD
	s_mov_b32 s16, 0
	s_mov_b32 s62, exec_lo
	v_cmpx_lt_i16_e32 0x7f, v92
	s_xor_b32 s62, exec_lo, s62
	s_cbranch_execz .LBB4_1022
; %bb.485:                              ;   in Loop: Header=BB4_358 Depth=4
	s_mov_b32 s16, -1
	s_mov_b32 s63, exec_lo
	v_cmpx_eq_u16_e32 0x80, v92
; %bb.486:                              ;   in Loop: Header=BB4_358 Depth=4
	s_xor_b32 s16, exec_lo, -1
; %bb.487:                              ;   in Loop: Header=BB4_358 Depth=4
	s_or_b32 exec_lo, exec_lo, s63
	s_and_b32 s16, s16, exec_lo
                                        ; implicit-def: $vgpr92
	s_or_saveexec_b32 s62, s62
	v_mov_b32_e32 v91, 0x7f800001
	s_xor_b32 exec_lo, exec_lo, s62
	s_cbranch_execnz .LBB4_1023
.LBB4_488:                              ;   in Loop: Header=BB4_358 Depth=4
	s_or_b32 exec_lo, exec_lo, s62
	s_and_saveexec_b32 s62, s16
	s_cbranch_execz .LBB4_490
.LBB4_489:                              ;   in Loop: Header=BB4_358 Depth=4
	v_bfe_u32 v26, v17, 16, 2
	v_bfe_u32 v92, v17, 18, 5
	v_lshlrev_b32_e32 v93, 8, v17
	v_ffbh_u32_e32 v27, v26
	v_cmp_eq_u32_e32 vcc_lo, 0, v92
	v_min_u32_e32 v27, 32, v27
	v_subrev_nc_u32_e32 v91, 29, v27
	v_sub_nc_u32_e32 v27, 30, v27
	v_lshlrev_b32_sdwa v91, v91, v17 dst_sel:DWORD dst_unused:UNUSED_PAD src0_sel:DWORD src1_sel:WORD_1
	v_cndmask_b32_e32 v27, v92, v27, vcc_lo
	v_and_b32_e32 v91, 3, v91
	v_lshl_add_u32 v27, v27, 23, 0x37800000
	v_cndmask_b32_e32 v26, v26, v91, vcc_lo
	v_and_b32_e32 v91, 0x80000000, v93
	v_lshlrev_b32_e32 v26, 21, v26
	v_or3_b32 v91, v91, v27, v26
.LBB4_490:                              ;   in Loop: Header=BB4_358 Depth=4
	s_or_b32 exec_lo, exec_lo, s62
	v_mul_f32_e32 v91, v90, v91
	v_mov_b32_e32 v90, 0x80
	s_mov_b32 s62, exec_lo
	v_and_b32_e32 v26, 0x7f800000, v91
	v_cmpx_ne_u32_e32 0x7f800000, v26
	s_cbranch_execz .LBB4_498
; %bb.491:                              ;   in Loop: Header=BB4_358 Depth=4
	v_mov_b32_e32 v90, 0
	s_mov_b32 s63, exec_lo
	v_cmpx_ne_u32_e32 0, v91
	s_cbranch_execz .LBB4_497
; %bb.492:                              ;   in Loop: Header=BB4_358 Depth=4
	v_bfe_u32 v26, v91, 23, 8
	v_and_b32_e32 v27, 0x7fffff, v91
	v_sub_nc_u32_e32 v90, 0x70, v26
	v_cmp_gt_u32_e32 vcc_lo, 0x71, v26
	v_or_b32_e32 v92, 0x800000, v27
	v_cndmask_b32_e32 v90, 0, v90, vcc_lo
	v_cmp_eq_u32_e32 vcc_lo, 0, v26
	v_add_nc_u32_e32 v26, 0xffffff91, v26
	v_cndmask_b32_e64 v90, v90, 0x6f, vcc_lo
	v_cndmask_b32_e32 v27, v92, v27, vcc_lo
	v_cndmask_b32_e64 v26, v26, 0xffffff92, vcc_lo
	v_lshl_add_u32 v93, 0x200000, v90, -1
	v_lshrrev_b32_e32 v92, v90, v27
	v_lshlrev_b32_e64 v95, v90, 0x100000
	v_and_b32_e32 v27, v93, v27
	v_bfe_u32 v94, v92, 21, 1
	v_cmp_eq_u32_e64 s16, v27, v95
	v_add_nc_u32_e32 v93, -1, v94
	v_lshrrev_b32_e32 v94, 23, v92
	v_cndmask_b32_e64 v27, 0, v93, s16
	v_add_nc_u32_e32 v93, v90, v26
	v_xor_b32_e32 v94, 1, v94
	s_mov_b32 s16, exec_lo
                                        ; implicit-def: $vgpr90
	v_add_nc_u32_e32 v27, v27, v92
	v_and_b32_e32 v26, 0x1fffff, v27
	v_add_nc_u32_e32 v92, v26, v92
	v_cmpx_ne_u32_e64 v93, v94
	s_xor_b32 s16, exec_lo, s16
; %bb.493:                              ;   in Loop: Header=BB4_358 Depth=4
	v_cmp_lt_u32_e32 vcc_lo, 0xffffff, v92
	v_sub_nc_u32_e32 v26, v93, v94
	v_cndmask_b32_e64 v27, 0, 1, vcc_lo
	v_add_co_ci_u32_e64 v90, null, 0, v26, vcc_lo
	v_lshrrev_b32_e32 v92, v27, v92
; %bb.494:                              ;   in Loop: Header=BB4_358 Depth=4
	s_andn2_saveexec_b32 s16, s16
; %bb.495:                              ;   in Loop: Header=BB4_358 Depth=4
	v_bfe_u32 v90, v92, 23, 1
; %bb.496:                              ;   in Loop: Header=BB4_358 Depth=4
	s_or_b32 exec_lo, exec_lo, s16
	v_lshrrev_b32_e32 v26, 21, v92
	v_min_i32_e32 v27, 31, v90
	v_cmp_gt_i32_e32 vcc_lo, 32, v90
	v_and_b32_sdwa v91, v91, v116 dst_sel:DWORD dst_unused:UNUSED_PAD src0_sel:BYTE_3 src1_sel:DWORD
	v_lshlrev_b32_e32 v27, 2, v27
	v_cndmask_b32_e32 v26, 3, v26, vcc_lo
	v_and_b32_e32 v27, 0xfc, v27
	v_and_b32_e32 v92, 3, v26
	v_or_b32_e32 v26, v90, v26
	v_or3_b32 v27, v27, v91, v92
	v_cmp_ne_u32_e32 vcc_lo, 0, v26
	v_cndmask_b32_e32 v90, 0, v27, vcc_lo
.LBB4_497:                              ;   in Loop: Header=BB4_358 Depth=4
	s_or_b32 exec_lo, exec_lo, s63
.LBB4_498:                              ;   in Loop: Header=BB4_358 Depth=4
	s_or_b32 exec_lo, exec_lo, s62
	v_cmp_gt_i16_sdwa s62, v21, v115 src0_sel:BYTE_3 src1_sel:DWORD
	s_mov_b32 s16, 0
	s_and_saveexec_b32 s63, s62
	s_xor_b32 s62, exec_lo, s63
	s_cbranch_execz .LBB4_1024
; %bb.499:                              ;   in Loop: Header=BB4_358 Depth=4
	v_cmp_eq_u16_sdwa s72, v21, v116 src0_sel:BYTE_3 src1_sel:DWORD
	s_mov_b32 s16, -1
	s_and_saveexec_b32 s63, s72
; %bb.500:                              ;   in Loop: Header=BB4_358 Depth=4
	s_xor_b32 s16, exec_lo, -1
; %bb.501:                              ;   in Loop: Header=BB4_358 Depth=4
	s_or_b32 exec_lo, exec_lo, s63
	s_and_b32 s16, s16, exec_lo
	s_or_saveexec_b32 s62, s62
	v_mov_b32_e32 v91, 0x7f800001
	s_xor_b32 exec_lo, exec_lo, s62
	s_cbranch_execnz .LBB4_1025
.LBB4_502:                              ;   in Loop: Header=BB4_358 Depth=4
	s_or_b32 exec_lo, exec_lo, s62
	s_and_saveexec_b32 s62, s16
	s_cbranch_execz .LBB4_504
.LBB4_503:                              ;   in Loop: Header=BB4_358 Depth=4
	v_bfe_u32 v26, v21, 24, 2
	v_bfe_u32 v92, v21, 26, 5
	v_ffbh_u32_e32 v27, v26
	v_cmp_eq_u32_e32 vcc_lo, 0, v92
	v_min_u32_e32 v27, 32, v27
	v_subrev_nc_u32_e32 v91, 29, v27
	v_sub_nc_u32_e32 v27, 30, v27
	v_lshlrev_b32_sdwa v91, v91, v21 dst_sel:DWORD dst_unused:UNUSED_PAD src0_sel:DWORD src1_sel:BYTE_3
	v_cndmask_b32_e32 v27, v92, v27, vcc_lo
	v_and_b32_e32 v21, 0x80000000, v21
	v_and_b32_e32 v91, 3, v91
	v_lshl_add_u32 v27, v27, 23, 0x37800000
	v_cndmask_b32_e32 v26, v26, v91, vcc_lo
	v_lshlrev_b32_e32 v26, 21, v26
	v_or3_b32 v91, v21, v27, v26
.LBB4_504:                              ;   in Loop: Header=BB4_358 Depth=4
	s_or_b32 exec_lo, exec_lo, s62
	v_cmp_gt_i16_sdwa s62, v17, v115 src0_sel:BYTE_3 src1_sel:DWORD
	s_mov_b32 s16, 0
	s_and_saveexec_b32 s63, s62
	s_xor_b32 s62, exec_lo, s63
	s_cbranch_execz .LBB4_1026
; %bb.505:                              ;   in Loop: Header=BB4_358 Depth=4
	v_cmp_eq_u16_sdwa s72, v17, v116 src0_sel:BYTE_3 src1_sel:DWORD
	s_mov_b32 s16, -1
	s_and_saveexec_b32 s63, s72
; %bb.506:                              ;   in Loop: Header=BB4_358 Depth=4
	s_xor_b32 s16, exec_lo, -1
; %bb.507:                              ;   in Loop: Header=BB4_358 Depth=4
	s_or_b32 exec_lo, exec_lo, s63
	s_and_b32 s16, s16, exec_lo
	s_or_saveexec_b32 s62, s62
	v_mov_b32_e32 v21, 0x7f800001
	s_xor_b32 exec_lo, exec_lo, s62
	s_cbranch_execnz .LBB4_1027
.LBB4_508:                              ;   in Loop: Header=BB4_358 Depth=4
	s_or_b32 exec_lo, exec_lo, s62
	s_and_saveexec_b32 s62, s16
	s_cbranch_execz .LBB4_510
.LBB4_509:                              ;   in Loop: Header=BB4_358 Depth=4
	v_bfe_u32 v21, v17, 24, 2
	v_bfe_u32 v92, v17, 26, 5
	v_ffbh_u32_e32 v26, v21
	v_cmp_eq_u32_e32 vcc_lo, 0, v92
	v_min_u32_e32 v26, 32, v26
	v_subrev_nc_u32_e32 v27, 29, v26
	v_sub_nc_u32_e32 v26, 30, v26
	v_lshlrev_b32_sdwa v27, v27, v17 dst_sel:DWORD dst_unused:UNUSED_PAD src0_sel:DWORD src1_sel:BYTE_3
	v_cndmask_b32_e32 v26, v92, v26, vcc_lo
	v_and_b32_e32 v17, 0x80000000, v17
	v_and_b32_e32 v27, 3, v27
	v_lshl_add_u32 v26, v26, 23, 0x37800000
	v_cndmask_b32_e32 v21, v21, v27, vcc_lo
	v_lshlrev_b32_e32 v21, 21, v21
	v_or3_b32 v21, v17, v26, v21
.LBB4_510:                              ;   in Loop: Header=BB4_358 Depth=4
	s_or_b32 exec_lo, exec_lo, s62
	v_mul_f32_e32 v21, v91, v21
	v_and_b32_e32 v17, 0x7f800000, v21
	v_cmp_ne_u32_e32 vcc_lo, 0x7f800000, v17
	v_mov_b32_e32 v17, 0x8000
	s_and_saveexec_b32 s62, vcc_lo
	s_cbranch_execz .LBB4_518
; %bb.511:                              ;   in Loop: Header=BB4_358 Depth=4
	v_mov_b32_e32 v17, 0
	s_mov_b32 s63, exec_lo
	v_cmpx_ne_u32_e32 0, v21
	s_cbranch_execz .LBB4_517
; %bb.512:                              ;   in Loop: Header=BB4_358 Depth=4
	v_bfe_u32 v17, v21, 23, 8
	v_and_b32_e32 v26, 0x7fffff, v21
	v_sub_nc_u32_e32 v27, 0x70, v17
	v_cmp_gt_u32_e32 vcc_lo, 0x71, v17
	v_or_b32_e32 v91, 0x800000, v26
	v_cndmask_b32_e32 v27, 0, v27, vcc_lo
	v_cmp_eq_u32_e32 vcc_lo, 0, v17
	v_add_nc_u32_e32 v17, 0xffffff91, v17
	v_cndmask_b32_e64 v27, v27, 0x6f, vcc_lo
	v_cndmask_b32_e32 v26, v91, v26, vcc_lo
	v_cndmask_b32_e64 v17, v17, 0xffffff92, vcc_lo
	v_lshl_add_u32 v92, 0x200000, v27, -1
	v_lshrrev_b32_e32 v91, v27, v26
	v_lshlrev_b32_e64 v94, v27, 0x100000
	v_and_b32_e32 v26, v92, v26
	v_bfe_u32 v93, v91, 21, 1
	v_cmp_eq_u32_e64 s16, v26, v94
	v_add_nc_u32_e32 v92, -1, v93
	v_lshrrev_b32_e32 v93, 23, v91
	v_cndmask_b32_e64 v26, 0, v92, s16
	v_add_nc_u32_e32 v92, v27, v17
	v_xor_b32_e32 v93, 1, v93
	s_mov_b32 s16, exec_lo
	v_add_nc_u32_e32 v26, v26, v91
	v_and_b32_e32 v17, 0x1fffff, v26
	v_add_nc_u32_e32 v91, v17, v91
                                        ; implicit-def: $vgpr17
	v_cmpx_ne_u32_e64 v92, v93
	s_xor_b32 s16, exec_lo, s16
; %bb.513:                              ;   in Loop: Header=BB4_358 Depth=4
	v_cmp_lt_u32_e32 vcc_lo, 0xffffff, v91
	v_sub_nc_u32_e32 v17, v92, v93
	v_cndmask_b32_e64 v26, 0, 1, vcc_lo
	v_add_co_ci_u32_e64 v17, null, 0, v17, vcc_lo
	v_lshrrev_b32_e32 v91, v26, v91
; %bb.514:                              ;   in Loop: Header=BB4_358 Depth=4
	s_andn2_saveexec_b32 s16, s16
; %bb.515:                              ;   in Loop: Header=BB4_358 Depth=4
	v_bfe_u32 v17, v91, 23, 1
; %bb.516:                              ;   in Loop: Header=BB4_358 Depth=4
	s_or_b32 exec_lo, exec_lo, s16
	v_lshrrev_b32_e32 v26, 21, v91
	v_min_i32_e32 v27, 31, v17
	v_cmp_gt_i32_e32 vcc_lo, 32, v17
	v_and_b32_sdwa v21, v21, v116 dst_sel:DWORD dst_unused:UNUSED_PAD src0_sel:BYTE_3 src1_sel:DWORD
	v_lshlrev_b32_e32 v27, 2, v27
	v_cndmask_b32_e32 v26, 3, v26, vcc_lo
	v_and_b32_e32 v27, 0xfc, v27
	v_and_b32_e32 v91, 3, v26
	v_or_b32_e32 v17, v17, v26
	v_or3_b32 v21, v21, v27, v91
	v_cmp_ne_u32_e32 vcc_lo, 0, v17
	v_lshlrev_b32_e32 v21, 8, v21
	v_cndmask_b32_e32 v17, 0, v21, vcc_lo
.LBB4_517:                              ;   in Loop: Header=BB4_358 Depth=4
	s_or_b32 exec_lo, exec_lo, s63
.LBB4_518:                              ;   in Loop: Header=BB4_358 Depth=4
	s_or_b32 exec_lo, exec_lo, s62
	v_cmp_gt_i16_sdwa s62, v22, v115 src0_sel:BYTE_0 src1_sel:DWORD
	s_mov_b32 s16, 0
	s_and_saveexec_b32 s63, s62
	s_xor_b32 s62, exec_lo, s63
	s_cbranch_execz .LBB4_1028
; %bb.519:                              ;   in Loop: Header=BB4_358 Depth=4
	v_cmp_eq_u16_sdwa s72, v22, v116 src0_sel:BYTE_0 src1_sel:DWORD
	s_mov_b32 s16, -1
	s_and_saveexec_b32 s63, s72
; %bb.520:                              ;   in Loop: Header=BB4_358 Depth=4
	s_xor_b32 s16, exec_lo, -1
; %bb.521:                              ;   in Loop: Header=BB4_358 Depth=4
	s_or_b32 exec_lo, exec_lo, s63
	s_and_b32 s16, s16, exec_lo
	s_or_saveexec_b32 s62, s62
	v_mov_b32_e32 v21, 0x7f800001
	s_xor_b32 exec_lo, exec_lo, s62
	s_cbranch_execnz .LBB4_1029
.LBB4_522:                              ;   in Loop: Header=BB4_358 Depth=4
	s_or_b32 exec_lo, exec_lo, s62
	s_and_saveexec_b32 s62, s16
	s_cbranch_execz .LBB4_524
.LBB4_523:                              ;   in Loop: Header=BB4_358 Depth=4
	v_and_b32_e32 v21, 3, v22
	v_bfe_u32 v91, v22, 2, 5
	v_lshlrev_b32_e32 v92, 24, v22
	v_ffbh_u32_e32 v26, v21
	v_cmp_eq_u32_e32 vcc_lo, 0, v91
	v_min_u32_e32 v26, 32, v26
	v_subrev_nc_u32_e32 v27, 29, v26
	v_sub_nc_u32_e32 v26, 30, v26
	v_lshlrev_b32_e32 v27, v27, v22
	v_cndmask_b32_e32 v26, v91, v26, vcc_lo
	v_and_b32_e32 v27, 3, v27
	v_lshl_add_u32 v26, v26, 23, 0x37800000
	v_cndmask_b32_e32 v21, v21, v27, vcc_lo
	v_and_b32_e32 v27, 0x80000000, v92
	v_lshlrev_b32_e32 v21, 21, v21
	v_or3_b32 v21, v27, v26, v21
.LBB4_524:                              ;   in Loop: Header=BB4_358 Depth=4
	s_or_b32 exec_lo, exec_lo, s62
	v_cmp_gt_i16_sdwa s62, v18, v115 src0_sel:BYTE_0 src1_sel:DWORD
	s_mov_b32 s16, 0
	s_and_saveexec_b32 s63, s62
	s_xor_b32 s62, exec_lo, s63
	s_cbranch_execz .LBB4_1030
; %bb.525:                              ;   in Loop: Header=BB4_358 Depth=4
	v_cmp_eq_u16_sdwa s72, v18, v116 src0_sel:BYTE_0 src1_sel:DWORD
	s_mov_b32 s16, -1
	s_and_saveexec_b32 s63, s72
; %bb.526:                              ;   in Loop: Header=BB4_358 Depth=4
	s_xor_b32 s16, exec_lo, -1
; %bb.527:                              ;   in Loop: Header=BB4_358 Depth=4
	s_or_b32 exec_lo, exec_lo, s63
	s_and_b32 s16, s16, exec_lo
	s_or_saveexec_b32 s62, s62
	v_mov_b32_e32 v91, 0x7f800001
	s_xor_b32 exec_lo, exec_lo, s62
	s_cbranch_execnz .LBB4_1031
.LBB4_528:                              ;   in Loop: Header=BB4_358 Depth=4
	s_or_b32 exec_lo, exec_lo, s62
	s_and_saveexec_b32 s62, s16
	s_cbranch_execz .LBB4_530
.LBB4_529:                              ;   in Loop: Header=BB4_358 Depth=4
	v_and_b32_e32 v26, 3, v18
	v_bfe_u32 v92, v18, 2, 5
	v_lshlrev_b32_e32 v93, 24, v18
	v_ffbh_u32_e32 v27, v26
	v_cmp_eq_u32_e32 vcc_lo, 0, v92
	v_min_u32_e32 v27, 32, v27
	v_subrev_nc_u32_e32 v91, 29, v27
	v_sub_nc_u32_e32 v27, 30, v27
	v_lshlrev_b32_e32 v91, v91, v18
	v_cndmask_b32_e32 v27, v92, v27, vcc_lo
	v_and_b32_e32 v91, 3, v91
	v_lshl_add_u32 v27, v27, 23, 0x37800000
	v_cndmask_b32_e32 v26, v26, v91, vcc_lo
	v_and_b32_e32 v91, 0x80000000, v93
	v_lshlrev_b32_e32 v26, 21, v26
	v_or3_b32 v91, v91, v27, v26
.LBB4_530:                              ;   in Loop: Header=BB4_358 Depth=4
	s_or_b32 exec_lo, exec_lo, s62
	v_mul_f32_e32 v91, v21, v91
	v_and_b32_e32 v21, 0x7f800000, v91
	v_cmp_ne_u32_e32 vcc_lo, 0x7f800000, v21
	v_mov_b32_e32 v21, 0x80
	s_and_saveexec_b32 s62, vcc_lo
	s_cbranch_execz .LBB4_538
; %bb.531:                              ;   in Loop: Header=BB4_358 Depth=4
	v_mov_b32_e32 v21, 0
	s_mov_b32 s63, exec_lo
	v_cmpx_ne_u32_e32 0, v91
	s_cbranch_execz .LBB4_537
; %bb.532:                              ;   in Loop: Header=BB4_358 Depth=4
	v_bfe_u32 v21, v91, 23, 8
	v_and_b32_e32 v26, 0x7fffff, v91
	v_sub_nc_u32_e32 v27, 0x70, v21
	v_cmp_gt_u32_e32 vcc_lo, 0x71, v21
	v_or_b32_e32 v92, 0x800000, v26
	v_cndmask_b32_e32 v27, 0, v27, vcc_lo
	v_cmp_eq_u32_e32 vcc_lo, 0, v21
	v_add_nc_u32_e32 v21, 0xffffff91, v21
	v_cndmask_b32_e64 v27, v27, 0x6f, vcc_lo
	v_cndmask_b32_e32 v26, v92, v26, vcc_lo
	v_cndmask_b32_e64 v21, v21, 0xffffff92, vcc_lo
	v_lshl_add_u32 v93, 0x200000, v27, -1
	v_lshrrev_b32_e32 v92, v27, v26
	v_lshlrev_b32_e64 v95, v27, 0x100000
	v_and_b32_e32 v26, v93, v26
	v_bfe_u32 v94, v92, 21, 1
	v_cmp_eq_u32_e64 s16, v26, v95
	v_add_nc_u32_e32 v93, -1, v94
	v_lshrrev_b32_e32 v94, 23, v92
	v_cndmask_b32_e64 v26, 0, v93, s16
	v_add_nc_u32_e32 v93, v27, v21
	v_xor_b32_e32 v94, 1, v94
	s_mov_b32 s16, exec_lo
	v_add_nc_u32_e32 v26, v26, v92
	v_and_b32_e32 v21, 0x1fffff, v26
	v_add_nc_u32_e32 v92, v21, v92
                                        ; implicit-def: $vgpr21
	v_cmpx_ne_u32_e64 v93, v94
	s_xor_b32 s16, exec_lo, s16
; %bb.533:                              ;   in Loop: Header=BB4_358 Depth=4
	v_cmp_lt_u32_e32 vcc_lo, 0xffffff, v92
	v_sub_nc_u32_e32 v21, v93, v94
	v_cndmask_b32_e64 v26, 0, 1, vcc_lo
	v_add_co_ci_u32_e64 v21, null, 0, v21, vcc_lo
	v_lshrrev_b32_e32 v92, v26, v92
; %bb.534:                              ;   in Loop: Header=BB4_358 Depth=4
	s_andn2_saveexec_b32 s16, s16
; %bb.535:                              ;   in Loop: Header=BB4_358 Depth=4
	v_bfe_u32 v21, v92, 23, 1
; %bb.536:                              ;   in Loop: Header=BB4_358 Depth=4
	s_or_b32 exec_lo, exec_lo, s16
	v_lshrrev_b32_e32 v26, 21, v92
	v_min_i32_e32 v27, 31, v21
	v_cmp_gt_i32_e32 vcc_lo, 32, v21
	v_and_b32_sdwa v91, v91, v116 dst_sel:DWORD dst_unused:UNUSED_PAD src0_sel:BYTE_3 src1_sel:DWORD
	v_lshlrev_b32_e32 v27, 2, v27
	v_cndmask_b32_e32 v26, 3, v26, vcc_lo
	v_and_b32_e32 v27, 0xfc, v27
	v_and_b32_e32 v92, 3, v26
	v_or_b32_e32 v21, v21, v26
	v_or3_b32 v26, v27, v91, v92
	v_cmp_ne_u32_e32 vcc_lo, 0, v21
	v_cndmask_b32_e32 v21, 0, v26, vcc_lo
.LBB4_537:                              ;   in Loop: Header=BB4_358 Depth=4
	s_or_b32 exec_lo, exec_lo, s63
.LBB4_538:                              ;   in Loop: Header=BB4_358 Depth=4
	s_or_b32 exec_lo, exec_lo, s62
	v_cmp_gt_i16_sdwa s62, v22, v115 src0_sel:BYTE_1 src1_sel:DWORD
	s_mov_b32 s16, 0
	s_and_saveexec_b32 s63, s62
	s_xor_b32 s62, exec_lo, s63
	s_cbranch_execz .LBB4_1032
; %bb.539:                              ;   in Loop: Header=BB4_358 Depth=4
	v_cmp_eq_u16_sdwa s72, v22, v116 src0_sel:BYTE_1 src1_sel:DWORD
	s_mov_b32 s16, -1
	s_and_saveexec_b32 s63, s72
; %bb.540:                              ;   in Loop: Header=BB4_358 Depth=4
	s_xor_b32 s16, exec_lo, -1
; %bb.541:                              ;   in Loop: Header=BB4_358 Depth=4
	s_or_b32 exec_lo, exec_lo, s63
	s_and_b32 s16, s16, exec_lo
	s_or_saveexec_b32 s62, s62
	v_mov_b32_e32 v91, 0x7f800001
	s_xor_b32 exec_lo, exec_lo, s62
	s_cbranch_execnz .LBB4_1033
.LBB4_542:                              ;   in Loop: Header=BB4_358 Depth=4
	s_or_b32 exec_lo, exec_lo, s62
	s_and_saveexec_b32 s62, s16
	s_cbranch_execz .LBB4_544
.LBB4_543:                              ;   in Loop: Header=BB4_358 Depth=4
	v_and_b32_sdwa v26, v117, v22 dst_sel:DWORD dst_unused:UNUSED_PAD src0_sel:DWORD src1_sel:BYTE_1
	v_and_b32_e32 v27, 3, v26
	v_bfe_u32 v93, v26, 2, 5
	v_ffbh_u32_e32 v91, v27
	v_cmp_eq_u32_e32 vcc_lo, 0, v93
	v_min_u32_e32 v91, 32, v91
	v_subrev_nc_u32_e32 v92, 29, v91
	v_sub_nc_u32_e32 v91, 30, v91
	v_lshlrev_b32_e32 v26, v92, v26
	v_lshlrev_b32_sdwa v92, v118, v22 dst_sel:DWORD dst_unused:UNUSED_PAD src0_sel:DWORD src1_sel:BYTE_1
	v_cndmask_b32_e32 v91, v93, v91, vcc_lo
	v_and_b32_e32 v26, 3, v26
	v_lshl_add_u32 v91, v91, 23, 0x37800000
	v_cndmask_b32_e32 v26, v27, v26, vcc_lo
	v_and_b32_e32 v27, 0x80000000, v92
	v_lshlrev_b32_e32 v26, 21, v26
	v_or3_b32 v91, v27, v91, v26
.LBB4_544:                              ;   in Loop: Header=BB4_358 Depth=4
	s_or_b32 exec_lo, exec_lo, s62
	v_cmp_gt_i16_sdwa s62, v18, v115 src0_sel:BYTE_1 src1_sel:DWORD
	s_mov_b32 s16, 0
	s_and_saveexec_b32 s63, s62
	s_xor_b32 s62, exec_lo, s63
	s_cbranch_execz .LBB4_1034
; %bb.545:                              ;   in Loop: Header=BB4_358 Depth=4
	v_cmp_eq_u16_sdwa s72, v18, v116 src0_sel:BYTE_1 src1_sel:DWORD
	s_mov_b32 s16, -1
	s_and_saveexec_b32 s63, s72
; %bb.546:                              ;   in Loop: Header=BB4_358 Depth=4
	s_xor_b32 s16, exec_lo, -1
; %bb.547:                              ;   in Loop: Header=BB4_358 Depth=4
	s_or_b32 exec_lo, exec_lo, s63
	s_and_b32 s16, s16, exec_lo
	s_or_saveexec_b32 s62, s62
	v_mov_b32_e32 v92, 0x7f800001
	s_xor_b32 exec_lo, exec_lo, s62
	s_cbranch_execnz .LBB4_1035
.LBB4_548:                              ;   in Loop: Header=BB4_358 Depth=4
	s_or_b32 exec_lo, exec_lo, s62
	s_and_saveexec_b32 s62, s16
	s_cbranch_execz .LBB4_550
.LBB4_549:                              ;   in Loop: Header=BB4_358 Depth=4
	v_and_b32_sdwa v26, v117, v18 dst_sel:DWORD dst_unused:UNUSED_PAD src0_sel:DWORD src1_sel:BYTE_1
	v_and_b32_e32 v27, 3, v26
	v_bfe_u32 v94, v26, 2, 5
	v_ffbh_u32_e32 v92, v27
	v_cmp_eq_u32_e32 vcc_lo, 0, v94
	v_min_u32_e32 v92, 32, v92
	v_subrev_nc_u32_e32 v93, 29, v92
	v_sub_nc_u32_e32 v92, 30, v92
	v_lshlrev_b32_e32 v26, v93, v26
	v_lshlrev_b32_sdwa v93, v118, v18 dst_sel:DWORD dst_unused:UNUSED_PAD src0_sel:DWORD src1_sel:BYTE_1
	v_cndmask_b32_e32 v92, v94, v92, vcc_lo
	v_and_b32_e32 v26, 3, v26
	v_lshl_add_u32 v92, v92, 23, 0x37800000
	v_cndmask_b32_e32 v26, v27, v26, vcc_lo
	v_and_b32_e32 v27, 0x80000000, v93
	v_lshlrev_b32_e32 v26, 21, v26
	v_or3_b32 v92, v27, v92, v26
.LBB4_550:                              ;   in Loop: Header=BB4_358 Depth=4
	s_or_b32 exec_lo, exec_lo, s62
	v_mul_f32_e32 v92, v91, v92
	v_mov_b32_e32 v91, 0x8000
	s_mov_b32 s62, exec_lo
	v_and_b32_e32 v26, 0x7f800000, v92
	v_cmpx_ne_u32_e32 0x7f800000, v26
	s_cbranch_execz .LBB4_558
; %bb.551:                              ;   in Loop: Header=BB4_358 Depth=4
	v_mov_b32_e32 v91, 0
	s_mov_b32 s63, exec_lo
	v_cmpx_ne_u32_e32 0, v92
	s_cbranch_execz .LBB4_557
; %bb.552:                              ;   in Loop: Header=BB4_358 Depth=4
	v_bfe_u32 v26, v92, 23, 8
	v_and_b32_e32 v27, 0x7fffff, v92
	v_sub_nc_u32_e32 v91, 0x70, v26
	v_cmp_gt_u32_e32 vcc_lo, 0x71, v26
	v_or_b32_e32 v93, 0x800000, v27
	v_cndmask_b32_e32 v91, 0, v91, vcc_lo
	v_cmp_eq_u32_e32 vcc_lo, 0, v26
	v_add_nc_u32_e32 v26, 0xffffff91, v26
	v_cndmask_b32_e64 v91, v91, 0x6f, vcc_lo
	v_cndmask_b32_e32 v27, v93, v27, vcc_lo
	v_cndmask_b32_e64 v26, v26, 0xffffff92, vcc_lo
	v_lshl_add_u32 v94, 0x200000, v91, -1
	v_lshrrev_b32_e32 v93, v91, v27
	v_lshlrev_b32_e64 v104, v91, 0x100000
	v_and_b32_e32 v27, v94, v27
	v_bfe_u32 v95, v93, 21, 1
	v_cmp_eq_u32_e64 s16, v27, v104
	v_add_nc_u32_e32 v94, -1, v95
	v_lshrrev_b32_e32 v95, 23, v93
	v_cndmask_b32_e64 v27, 0, v94, s16
	v_add_nc_u32_e32 v94, v91, v26
	v_xor_b32_e32 v95, 1, v95
	s_mov_b32 s16, exec_lo
                                        ; implicit-def: $vgpr91
	v_add_nc_u32_e32 v27, v27, v93
	v_and_b32_e32 v26, 0x1fffff, v27
	v_add_nc_u32_e32 v93, v26, v93
	v_cmpx_ne_u32_e64 v94, v95
	s_xor_b32 s16, exec_lo, s16
; %bb.553:                              ;   in Loop: Header=BB4_358 Depth=4
	v_cmp_lt_u32_e32 vcc_lo, 0xffffff, v93
	v_sub_nc_u32_e32 v26, v94, v95
	v_cndmask_b32_e64 v27, 0, 1, vcc_lo
	v_add_co_ci_u32_e64 v91, null, 0, v26, vcc_lo
	v_lshrrev_b32_e32 v93, v27, v93
; %bb.554:                              ;   in Loop: Header=BB4_358 Depth=4
	s_andn2_saveexec_b32 s16, s16
; %bb.555:                              ;   in Loop: Header=BB4_358 Depth=4
	v_bfe_u32 v91, v93, 23, 1
; %bb.556:                              ;   in Loop: Header=BB4_358 Depth=4
	s_or_b32 exec_lo, exec_lo, s16
	v_lshrrev_b32_e32 v26, 21, v93
	v_min_i32_e32 v27, 31, v91
	v_cmp_gt_i32_e32 vcc_lo, 32, v91
	v_and_b32_sdwa v92, v92, v116 dst_sel:DWORD dst_unused:UNUSED_PAD src0_sel:BYTE_3 src1_sel:DWORD
	v_lshlrev_b32_e32 v27, 2, v27
	v_cndmask_b32_e32 v26, 3, v26, vcc_lo
	v_and_b32_e32 v27, 0xfc, v27
	v_and_b32_e32 v93, 3, v26
	v_or_b32_e32 v26, v91, v26
	v_or3_b32 v27, v92, v27, v93
	v_cmp_ne_u32_e32 vcc_lo, 0, v26
	v_lshlrev_b32_e32 v27, 8, v27
	v_cndmask_b32_e32 v91, 0, v27, vcc_lo
.LBB4_557:                              ;   in Loop: Header=BB4_358 Depth=4
	s_or_b32 exec_lo, exec_lo, s63
.LBB4_558:                              ;   in Loop: Header=BB4_358 Depth=4
	s_or_b32 exec_lo, exec_lo, s62
	v_and_b32_sdwa v93, v22, v119 dst_sel:DWORD dst_unused:UNUSED_PAD src0_sel:WORD_1 src1_sel:DWORD
	s_mov_b32 s16, 0
	s_mov_b32 s62, exec_lo
	v_cmpx_lt_i16_e32 0x7f, v93
	s_xor_b32 s62, exec_lo, s62
	s_cbranch_execz .LBB4_1036
; %bb.559:                              ;   in Loop: Header=BB4_358 Depth=4
	s_mov_b32 s16, -1
	s_mov_b32 s63, exec_lo
	v_cmpx_eq_u16_e32 0x80, v93
; %bb.560:                              ;   in Loop: Header=BB4_358 Depth=4
	s_xor_b32 s16, exec_lo, -1
; %bb.561:                              ;   in Loop: Header=BB4_358 Depth=4
	s_or_b32 exec_lo, exec_lo, s63
	s_and_b32 s16, s16, exec_lo
                                        ; implicit-def: $vgpr93
	s_or_saveexec_b32 s62, s62
	v_mov_b32_e32 v92, 0x7f800001
	s_xor_b32 exec_lo, exec_lo, s62
	s_cbranch_execnz .LBB4_1037
.LBB4_562:                              ;   in Loop: Header=BB4_358 Depth=4
	s_or_b32 exec_lo, exec_lo, s62
	s_and_saveexec_b32 s62, s16
	s_cbranch_execz .LBB4_564
.LBB4_563:                              ;   in Loop: Header=BB4_358 Depth=4
	v_bfe_u32 v26, v22, 16, 2
	v_bfe_u32 v93, v22, 18, 5
	v_lshlrev_b32_e32 v94, 8, v22
	v_ffbh_u32_e32 v27, v26
	v_cmp_eq_u32_e32 vcc_lo, 0, v93
	v_min_u32_e32 v27, 32, v27
	v_subrev_nc_u32_e32 v92, 29, v27
	v_sub_nc_u32_e32 v27, 30, v27
	v_lshlrev_b32_sdwa v92, v92, v22 dst_sel:DWORD dst_unused:UNUSED_PAD src0_sel:DWORD src1_sel:WORD_1
	v_cndmask_b32_e32 v27, v93, v27, vcc_lo
	v_and_b32_e32 v92, 3, v92
	v_lshl_add_u32 v27, v27, 23, 0x37800000
	v_cndmask_b32_e32 v26, v26, v92, vcc_lo
	v_and_b32_e32 v92, 0x80000000, v94
	v_lshlrev_b32_e32 v26, 21, v26
	v_or3_b32 v92, v92, v27, v26
.LBB4_564:                              ;   in Loop: Header=BB4_358 Depth=4
	s_or_b32 exec_lo, exec_lo, s62
	v_and_b32_sdwa v94, v18, v119 dst_sel:DWORD dst_unused:UNUSED_PAD src0_sel:WORD_1 src1_sel:DWORD
	s_mov_b32 s16, 0
	s_mov_b32 s62, exec_lo
	v_cmpx_lt_i16_e32 0x7f, v94
	s_xor_b32 s62, exec_lo, s62
	s_cbranch_execz .LBB4_1038
; %bb.565:                              ;   in Loop: Header=BB4_358 Depth=4
	s_mov_b32 s16, -1
	s_mov_b32 s63, exec_lo
	v_cmpx_eq_u16_e32 0x80, v94
; %bb.566:                              ;   in Loop: Header=BB4_358 Depth=4
	s_xor_b32 s16, exec_lo, -1
; %bb.567:                              ;   in Loop: Header=BB4_358 Depth=4
	s_or_b32 exec_lo, exec_lo, s63
	s_and_b32 s16, s16, exec_lo
                                        ; implicit-def: $vgpr94
	s_or_saveexec_b32 s62, s62
	v_mov_b32_e32 v93, 0x7f800001
	s_xor_b32 exec_lo, exec_lo, s62
	s_cbranch_execnz .LBB4_1039
.LBB4_568:                              ;   in Loop: Header=BB4_358 Depth=4
	s_or_b32 exec_lo, exec_lo, s62
	s_and_saveexec_b32 s62, s16
	s_cbranch_execz .LBB4_570
.LBB4_569:                              ;   in Loop: Header=BB4_358 Depth=4
	v_bfe_u32 v26, v18, 16, 2
	v_bfe_u32 v94, v18, 18, 5
	v_lshlrev_b32_e32 v95, 8, v18
	v_ffbh_u32_e32 v27, v26
	v_cmp_eq_u32_e32 vcc_lo, 0, v94
	v_min_u32_e32 v27, 32, v27
	v_subrev_nc_u32_e32 v93, 29, v27
	v_sub_nc_u32_e32 v27, 30, v27
	v_lshlrev_b32_sdwa v93, v93, v18 dst_sel:DWORD dst_unused:UNUSED_PAD src0_sel:DWORD src1_sel:WORD_1
	v_cndmask_b32_e32 v27, v94, v27, vcc_lo
	v_and_b32_e32 v93, 3, v93
	v_lshl_add_u32 v27, v27, 23, 0x37800000
	v_cndmask_b32_e32 v26, v26, v93, vcc_lo
	v_and_b32_e32 v93, 0x80000000, v95
	v_lshlrev_b32_e32 v26, 21, v26
	v_or3_b32 v93, v93, v27, v26
.LBB4_570:                              ;   in Loop: Header=BB4_358 Depth=4
	s_or_b32 exec_lo, exec_lo, s62
	v_mul_f32_e32 v93, v92, v93
	v_mov_b32_e32 v92, 0x80
	s_mov_b32 s62, exec_lo
	v_and_b32_e32 v26, 0x7f800000, v93
	v_cmpx_ne_u32_e32 0x7f800000, v26
	s_cbranch_execz .LBB4_578
; %bb.571:                              ;   in Loop: Header=BB4_358 Depth=4
	v_mov_b32_e32 v92, 0
	s_mov_b32 s63, exec_lo
	v_cmpx_ne_u32_e32 0, v93
	s_cbranch_execz .LBB4_577
; %bb.572:                              ;   in Loop: Header=BB4_358 Depth=4
	v_bfe_u32 v26, v93, 23, 8
	v_and_b32_e32 v27, 0x7fffff, v93
	v_sub_nc_u32_e32 v92, 0x70, v26
	v_cmp_gt_u32_e32 vcc_lo, 0x71, v26
	v_or_b32_e32 v94, 0x800000, v27
	v_cndmask_b32_e32 v92, 0, v92, vcc_lo
	v_cmp_eq_u32_e32 vcc_lo, 0, v26
	v_add_nc_u32_e32 v26, 0xffffff91, v26
	v_cndmask_b32_e64 v92, v92, 0x6f, vcc_lo
	v_cndmask_b32_e32 v27, v94, v27, vcc_lo
	v_cndmask_b32_e64 v26, v26, 0xffffff92, vcc_lo
	v_lshl_add_u32 v95, 0x200000, v92, -1
	v_lshrrev_b32_e32 v94, v92, v27
	v_lshlrev_b32_e64 v105, v92, 0x100000
	v_and_b32_e32 v27, v95, v27
	v_bfe_u32 v104, v94, 21, 1
	v_cmp_eq_u32_e64 s16, v27, v105
	v_add_nc_u32_e32 v95, -1, v104
	v_lshrrev_b32_e32 v104, 23, v94
	v_cndmask_b32_e64 v27, 0, v95, s16
	v_add_nc_u32_e32 v95, v92, v26
	v_xor_b32_e32 v104, 1, v104
	s_mov_b32 s16, exec_lo
                                        ; implicit-def: $vgpr92
	v_add_nc_u32_e32 v27, v27, v94
	v_and_b32_e32 v26, 0x1fffff, v27
	v_add_nc_u32_e32 v94, v26, v94
	v_cmpx_ne_u32_e64 v95, v104
	s_xor_b32 s16, exec_lo, s16
; %bb.573:                              ;   in Loop: Header=BB4_358 Depth=4
	v_cmp_lt_u32_e32 vcc_lo, 0xffffff, v94
	v_sub_nc_u32_e32 v26, v95, v104
	v_cndmask_b32_e64 v27, 0, 1, vcc_lo
	v_add_co_ci_u32_e64 v92, null, 0, v26, vcc_lo
	v_lshrrev_b32_e32 v94, v27, v94
; %bb.574:                              ;   in Loop: Header=BB4_358 Depth=4
	s_andn2_saveexec_b32 s16, s16
; %bb.575:                              ;   in Loop: Header=BB4_358 Depth=4
	v_bfe_u32 v92, v94, 23, 1
; %bb.576:                              ;   in Loop: Header=BB4_358 Depth=4
	s_or_b32 exec_lo, exec_lo, s16
	v_lshrrev_b32_e32 v26, 21, v94
	v_min_i32_e32 v27, 31, v92
	v_cmp_gt_i32_e32 vcc_lo, 32, v92
	v_and_b32_sdwa v93, v93, v116 dst_sel:DWORD dst_unused:UNUSED_PAD src0_sel:BYTE_3 src1_sel:DWORD
	v_lshlrev_b32_e32 v27, 2, v27
	v_cndmask_b32_e32 v26, 3, v26, vcc_lo
	v_and_b32_e32 v27, 0xfc, v27
	v_and_b32_e32 v94, 3, v26
	v_or_b32_e32 v26, v92, v26
	v_or3_b32 v27, v27, v93, v94
	v_cmp_ne_u32_e32 vcc_lo, 0, v26
	v_cndmask_b32_e32 v92, 0, v27, vcc_lo
.LBB4_577:                              ;   in Loop: Header=BB4_358 Depth=4
	s_or_b32 exec_lo, exec_lo, s63
.LBB4_578:                              ;   in Loop: Header=BB4_358 Depth=4
	s_or_b32 exec_lo, exec_lo, s62
	v_cmp_gt_i16_sdwa s62, v22, v115 src0_sel:BYTE_3 src1_sel:DWORD
	s_mov_b32 s16, 0
	s_and_saveexec_b32 s63, s62
	s_xor_b32 s62, exec_lo, s63
	s_cbranch_execz .LBB4_1040
; %bb.579:                              ;   in Loop: Header=BB4_358 Depth=4
	v_cmp_eq_u16_sdwa s72, v22, v116 src0_sel:BYTE_3 src1_sel:DWORD
	s_mov_b32 s16, -1
	s_and_saveexec_b32 s63, s72
; %bb.580:                              ;   in Loop: Header=BB4_358 Depth=4
	s_xor_b32 s16, exec_lo, -1
; %bb.581:                              ;   in Loop: Header=BB4_358 Depth=4
	s_or_b32 exec_lo, exec_lo, s63
	s_and_b32 s16, s16, exec_lo
	s_or_saveexec_b32 s62, s62
	v_mov_b32_e32 v93, 0x7f800001
	s_xor_b32 exec_lo, exec_lo, s62
	s_cbranch_execnz .LBB4_1041
.LBB4_582:                              ;   in Loop: Header=BB4_358 Depth=4
	s_or_b32 exec_lo, exec_lo, s62
	s_and_saveexec_b32 s62, s16
	s_cbranch_execz .LBB4_584
.LBB4_583:                              ;   in Loop: Header=BB4_358 Depth=4
	v_bfe_u32 v26, v22, 24, 2
	v_bfe_u32 v94, v22, 26, 5
	v_ffbh_u32_e32 v27, v26
	v_cmp_eq_u32_e32 vcc_lo, 0, v94
	v_min_u32_e32 v27, 32, v27
	v_subrev_nc_u32_e32 v93, 29, v27
	v_sub_nc_u32_e32 v27, 30, v27
	v_lshlrev_b32_sdwa v93, v93, v22 dst_sel:DWORD dst_unused:UNUSED_PAD src0_sel:DWORD src1_sel:BYTE_3
	v_cndmask_b32_e32 v27, v94, v27, vcc_lo
	v_and_b32_e32 v22, 0x80000000, v22
	v_and_b32_e32 v93, 3, v93
	v_lshl_add_u32 v27, v27, 23, 0x37800000
	v_cndmask_b32_e32 v26, v26, v93, vcc_lo
	v_lshlrev_b32_e32 v26, 21, v26
	v_or3_b32 v93, v22, v27, v26
.LBB4_584:                              ;   in Loop: Header=BB4_358 Depth=4
	s_or_b32 exec_lo, exec_lo, s62
	v_cmp_gt_i16_sdwa s62, v18, v115 src0_sel:BYTE_3 src1_sel:DWORD
	s_mov_b32 s16, 0
	s_and_saveexec_b32 s63, s62
	s_xor_b32 s62, exec_lo, s63
	s_cbranch_execz .LBB4_1042
; %bb.585:                              ;   in Loop: Header=BB4_358 Depth=4
	v_cmp_eq_u16_sdwa s72, v18, v116 src0_sel:BYTE_3 src1_sel:DWORD
	s_mov_b32 s16, -1
	s_and_saveexec_b32 s63, s72
; %bb.586:                              ;   in Loop: Header=BB4_358 Depth=4
	s_xor_b32 s16, exec_lo, -1
; %bb.587:                              ;   in Loop: Header=BB4_358 Depth=4
	s_or_b32 exec_lo, exec_lo, s63
	s_and_b32 s16, s16, exec_lo
	s_or_saveexec_b32 s62, s62
	v_mov_b32_e32 v22, 0x7f800001
	s_xor_b32 exec_lo, exec_lo, s62
	s_cbranch_execnz .LBB4_1043
.LBB4_588:                              ;   in Loop: Header=BB4_358 Depth=4
	s_or_b32 exec_lo, exec_lo, s62
	s_and_saveexec_b32 s62, s16
	s_cbranch_execz .LBB4_590
.LBB4_589:                              ;   in Loop: Header=BB4_358 Depth=4
	v_bfe_u32 v22, v18, 24, 2
	v_bfe_u32 v94, v18, 26, 5
	v_ffbh_u32_e32 v26, v22
	v_cmp_eq_u32_e32 vcc_lo, 0, v94
	v_min_u32_e32 v26, 32, v26
	v_subrev_nc_u32_e32 v27, 29, v26
	v_sub_nc_u32_e32 v26, 30, v26
	v_lshlrev_b32_sdwa v27, v27, v18 dst_sel:DWORD dst_unused:UNUSED_PAD src0_sel:DWORD src1_sel:BYTE_3
	v_cndmask_b32_e32 v26, v94, v26, vcc_lo
	v_and_b32_e32 v18, 0x80000000, v18
	v_and_b32_e32 v27, 3, v27
	v_lshl_add_u32 v26, v26, 23, 0x37800000
	v_cndmask_b32_e32 v22, v22, v27, vcc_lo
	v_lshlrev_b32_e32 v22, 21, v22
	v_or3_b32 v22, v18, v26, v22
.LBB4_590:                              ;   in Loop: Header=BB4_358 Depth=4
	s_or_b32 exec_lo, exec_lo, s62
	v_mul_f32_e32 v22, v93, v22
	v_and_b32_e32 v18, 0x7f800000, v22
	v_cmp_ne_u32_e32 vcc_lo, 0x7f800000, v18
	v_mov_b32_e32 v18, 0x8000
	s_and_saveexec_b32 s62, vcc_lo
	s_cbranch_execz .LBB4_598
; %bb.591:                              ;   in Loop: Header=BB4_358 Depth=4
	v_mov_b32_e32 v18, 0
	s_mov_b32 s63, exec_lo
	v_cmpx_ne_u32_e32 0, v22
	s_cbranch_execz .LBB4_597
; %bb.592:                              ;   in Loop: Header=BB4_358 Depth=4
	v_bfe_u32 v18, v22, 23, 8
	v_and_b32_e32 v26, 0x7fffff, v22
	v_sub_nc_u32_e32 v27, 0x70, v18
	v_cmp_gt_u32_e32 vcc_lo, 0x71, v18
	v_or_b32_e32 v93, 0x800000, v26
	v_cndmask_b32_e32 v27, 0, v27, vcc_lo
	v_cmp_eq_u32_e32 vcc_lo, 0, v18
	v_add_nc_u32_e32 v18, 0xffffff91, v18
	v_cndmask_b32_e64 v27, v27, 0x6f, vcc_lo
	v_cndmask_b32_e32 v26, v93, v26, vcc_lo
	v_cndmask_b32_e64 v18, v18, 0xffffff92, vcc_lo
	v_lshl_add_u32 v94, 0x200000, v27, -1
	v_lshrrev_b32_e32 v93, v27, v26
	v_lshlrev_b32_e64 v104, v27, 0x100000
	v_and_b32_e32 v26, v94, v26
	v_bfe_u32 v95, v93, 21, 1
	v_cmp_eq_u32_e64 s16, v26, v104
	v_add_nc_u32_e32 v94, -1, v95
	v_lshrrev_b32_e32 v95, 23, v93
	v_cndmask_b32_e64 v26, 0, v94, s16
	v_add_nc_u32_e32 v94, v27, v18
	v_xor_b32_e32 v95, 1, v95
	s_mov_b32 s16, exec_lo
	v_add_nc_u32_e32 v26, v26, v93
	v_and_b32_e32 v18, 0x1fffff, v26
	v_add_nc_u32_e32 v93, v18, v93
                                        ; implicit-def: $vgpr18
	v_cmpx_ne_u32_e64 v94, v95
	s_xor_b32 s16, exec_lo, s16
; %bb.593:                              ;   in Loop: Header=BB4_358 Depth=4
	v_cmp_lt_u32_e32 vcc_lo, 0xffffff, v93
	v_sub_nc_u32_e32 v18, v94, v95
	v_cndmask_b32_e64 v26, 0, 1, vcc_lo
	v_add_co_ci_u32_e64 v18, null, 0, v18, vcc_lo
	v_lshrrev_b32_e32 v93, v26, v93
; %bb.594:                              ;   in Loop: Header=BB4_358 Depth=4
	s_andn2_saveexec_b32 s16, s16
; %bb.595:                              ;   in Loop: Header=BB4_358 Depth=4
	v_bfe_u32 v18, v93, 23, 1
; %bb.596:                              ;   in Loop: Header=BB4_358 Depth=4
	s_or_b32 exec_lo, exec_lo, s16
	v_lshrrev_b32_e32 v26, 21, v93
	v_min_i32_e32 v27, 31, v18
	v_cmp_gt_i32_e32 vcc_lo, 32, v18
	v_and_b32_sdwa v22, v22, v116 dst_sel:DWORD dst_unused:UNUSED_PAD src0_sel:BYTE_3 src1_sel:DWORD
	v_lshlrev_b32_e32 v27, 2, v27
	v_cndmask_b32_e32 v26, 3, v26, vcc_lo
	v_and_b32_e32 v27, 0xfc, v27
	v_and_b32_e32 v93, 3, v26
	v_or_b32_e32 v18, v18, v26
	v_or3_b32 v22, v22, v27, v93
	v_cmp_ne_u32_e32 vcc_lo, 0, v18
	v_lshlrev_b32_e32 v22, 8, v22
	v_cndmask_b32_e32 v18, 0, v22, vcc_lo
.LBB4_597:                              ;   in Loop: Header=BB4_358 Depth=4
	s_or_b32 exec_lo, exec_lo, s63
.LBB4_598:                              ;   in Loop: Header=BB4_358 Depth=4
	s_or_b32 exec_lo, exec_lo, s62
	v_cmp_gt_i16_sdwa s62, v23, v115 src0_sel:BYTE_0 src1_sel:DWORD
	s_mov_b32 s16, 0
	s_and_saveexec_b32 s63, s62
	s_xor_b32 s62, exec_lo, s63
	s_cbranch_execz .LBB4_1044
; %bb.599:                              ;   in Loop: Header=BB4_358 Depth=4
	v_cmp_eq_u16_sdwa s72, v23, v116 src0_sel:BYTE_0 src1_sel:DWORD
	s_mov_b32 s16, -1
	s_and_saveexec_b32 s63, s72
; %bb.600:                              ;   in Loop: Header=BB4_358 Depth=4
	s_xor_b32 s16, exec_lo, -1
; %bb.601:                              ;   in Loop: Header=BB4_358 Depth=4
	s_or_b32 exec_lo, exec_lo, s63
	s_and_b32 s16, s16, exec_lo
	s_or_saveexec_b32 s62, s62
	v_mov_b32_e32 v22, 0x7f800001
	s_xor_b32 exec_lo, exec_lo, s62
	s_cbranch_execnz .LBB4_1045
.LBB4_602:                              ;   in Loop: Header=BB4_358 Depth=4
	s_or_b32 exec_lo, exec_lo, s62
	s_and_saveexec_b32 s62, s16
	s_cbranch_execz .LBB4_604
.LBB4_603:                              ;   in Loop: Header=BB4_358 Depth=4
	v_and_b32_e32 v22, 3, v23
	v_bfe_u32 v93, v23, 2, 5
	v_lshlrev_b32_e32 v94, 24, v23
	v_ffbh_u32_e32 v26, v22
	v_cmp_eq_u32_e32 vcc_lo, 0, v93
	v_min_u32_e32 v26, 32, v26
	v_subrev_nc_u32_e32 v27, 29, v26
	v_sub_nc_u32_e32 v26, 30, v26
	v_lshlrev_b32_e32 v27, v27, v23
	v_cndmask_b32_e32 v26, v93, v26, vcc_lo
	v_and_b32_e32 v27, 3, v27
	v_lshl_add_u32 v26, v26, 23, 0x37800000
	v_cndmask_b32_e32 v22, v22, v27, vcc_lo
	v_and_b32_e32 v27, 0x80000000, v94
	v_lshlrev_b32_e32 v22, 21, v22
	v_or3_b32 v22, v27, v26, v22
.LBB4_604:                              ;   in Loop: Header=BB4_358 Depth=4
	s_or_b32 exec_lo, exec_lo, s62
	v_cmp_gt_i16_sdwa s62, v19, v115 src0_sel:BYTE_0 src1_sel:DWORD
	s_mov_b32 s16, 0
	s_and_saveexec_b32 s63, s62
	s_xor_b32 s62, exec_lo, s63
	s_cbranch_execz .LBB4_1046
; %bb.605:                              ;   in Loop: Header=BB4_358 Depth=4
	v_cmp_eq_u16_sdwa s72, v19, v116 src0_sel:BYTE_0 src1_sel:DWORD
	s_mov_b32 s16, -1
	s_and_saveexec_b32 s63, s72
; %bb.606:                              ;   in Loop: Header=BB4_358 Depth=4
	s_xor_b32 s16, exec_lo, -1
; %bb.607:                              ;   in Loop: Header=BB4_358 Depth=4
	s_or_b32 exec_lo, exec_lo, s63
	s_and_b32 s16, s16, exec_lo
	s_or_saveexec_b32 s62, s62
	v_mov_b32_e32 v93, 0x7f800001
	s_xor_b32 exec_lo, exec_lo, s62
	s_cbranch_execnz .LBB4_1047
.LBB4_608:                              ;   in Loop: Header=BB4_358 Depth=4
	s_or_b32 exec_lo, exec_lo, s62
	s_and_saveexec_b32 s62, s16
	s_cbranch_execz .LBB4_610
.LBB4_609:                              ;   in Loop: Header=BB4_358 Depth=4
	v_and_b32_e32 v26, 3, v19
	v_bfe_u32 v94, v19, 2, 5
	v_lshlrev_b32_e32 v95, 24, v19
	v_ffbh_u32_e32 v27, v26
	v_cmp_eq_u32_e32 vcc_lo, 0, v94
	v_min_u32_e32 v27, 32, v27
	v_subrev_nc_u32_e32 v93, 29, v27
	v_sub_nc_u32_e32 v27, 30, v27
	v_lshlrev_b32_e32 v93, v93, v19
	v_cndmask_b32_e32 v27, v94, v27, vcc_lo
	v_and_b32_e32 v93, 3, v93
	v_lshl_add_u32 v27, v27, 23, 0x37800000
	v_cndmask_b32_e32 v26, v26, v93, vcc_lo
	v_and_b32_e32 v93, 0x80000000, v95
	v_lshlrev_b32_e32 v26, 21, v26
	v_or3_b32 v93, v93, v27, v26
.LBB4_610:                              ;   in Loop: Header=BB4_358 Depth=4
	s_or_b32 exec_lo, exec_lo, s62
	v_mul_f32_e32 v93, v22, v93
	v_and_b32_e32 v22, 0x7f800000, v93
	v_cmp_ne_u32_e32 vcc_lo, 0x7f800000, v22
	v_mov_b32_e32 v22, 0x80
	s_and_saveexec_b32 s62, vcc_lo
	s_cbranch_execz .LBB4_618
; %bb.611:                              ;   in Loop: Header=BB4_358 Depth=4
	v_mov_b32_e32 v22, 0
	s_mov_b32 s63, exec_lo
	v_cmpx_ne_u32_e32 0, v93
	s_cbranch_execz .LBB4_617
; %bb.612:                              ;   in Loop: Header=BB4_358 Depth=4
	v_bfe_u32 v22, v93, 23, 8
	v_and_b32_e32 v26, 0x7fffff, v93
	v_sub_nc_u32_e32 v27, 0x70, v22
	v_cmp_gt_u32_e32 vcc_lo, 0x71, v22
	v_or_b32_e32 v94, 0x800000, v26
	v_cndmask_b32_e32 v27, 0, v27, vcc_lo
	v_cmp_eq_u32_e32 vcc_lo, 0, v22
	v_add_nc_u32_e32 v22, 0xffffff91, v22
	v_cndmask_b32_e64 v27, v27, 0x6f, vcc_lo
	v_cndmask_b32_e32 v26, v94, v26, vcc_lo
	v_cndmask_b32_e64 v22, v22, 0xffffff92, vcc_lo
	v_lshl_add_u32 v95, 0x200000, v27, -1
	v_lshrrev_b32_e32 v94, v27, v26
	v_lshlrev_b32_e64 v105, v27, 0x100000
	v_and_b32_e32 v26, v95, v26
	v_bfe_u32 v104, v94, 21, 1
	v_cmp_eq_u32_e64 s16, v26, v105
	v_add_nc_u32_e32 v95, -1, v104
	v_lshrrev_b32_e32 v104, 23, v94
	v_cndmask_b32_e64 v26, 0, v95, s16
	v_add_nc_u32_e32 v95, v27, v22
	v_xor_b32_e32 v104, 1, v104
	s_mov_b32 s16, exec_lo
	v_add_nc_u32_e32 v26, v26, v94
	v_and_b32_e32 v22, 0x1fffff, v26
	v_add_nc_u32_e32 v94, v22, v94
                                        ; implicit-def: $vgpr22
	v_cmpx_ne_u32_e64 v95, v104
	s_xor_b32 s16, exec_lo, s16
; %bb.613:                              ;   in Loop: Header=BB4_358 Depth=4
	v_cmp_lt_u32_e32 vcc_lo, 0xffffff, v94
	v_sub_nc_u32_e32 v22, v95, v104
	v_cndmask_b32_e64 v26, 0, 1, vcc_lo
	v_add_co_ci_u32_e64 v22, null, 0, v22, vcc_lo
	v_lshrrev_b32_e32 v94, v26, v94
; %bb.614:                              ;   in Loop: Header=BB4_358 Depth=4
	s_andn2_saveexec_b32 s16, s16
; %bb.615:                              ;   in Loop: Header=BB4_358 Depth=4
	v_bfe_u32 v22, v94, 23, 1
; %bb.616:                              ;   in Loop: Header=BB4_358 Depth=4
	s_or_b32 exec_lo, exec_lo, s16
	v_lshrrev_b32_e32 v26, 21, v94
	v_min_i32_e32 v27, 31, v22
	v_cmp_gt_i32_e32 vcc_lo, 32, v22
	v_and_b32_sdwa v93, v93, v116 dst_sel:DWORD dst_unused:UNUSED_PAD src0_sel:BYTE_3 src1_sel:DWORD
	v_lshlrev_b32_e32 v27, 2, v27
	v_cndmask_b32_e32 v26, 3, v26, vcc_lo
	v_and_b32_e32 v27, 0xfc, v27
	v_and_b32_e32 v94, 3, v26
	v_or_b32_e32 v22, v22, v26
	v_or3_b32 v26, v27, v93, v94
	v_cmp_ne_u32_e32 vcc_lo, 0, v22
	v_cndmask_b32_e32 v22, 0, v26, vcc_lo
.LBB4_617:                              ;   in Loop: Header=BB4_358 Depth=4
	s_or_b32 exec_lo, exec_lo, s63
.LBB4_618:                              ;   in Loop: Header=BB4_358 Depth=4
	s_or_b32 exec_lo, exec_lo, s62
	v_cmp_gt_i16_sdwa s62, v23, v115 src0_sel:BYTE_1 src1_sel:DWORD
	s_mov_b32 s16, 0
	s_and_saveexec_b32 s63, s62
	s_xor_b32 s62, exec_lo, s63
	s_cbranch_execz .LBB4_1048
; %bb.619:                              ;   in Loop: Header=BB4_358 Depth=4
	v_cmp_eq_u16_sdwa s72, v23, v116 src0_sel:BYTE_1 src1_sel:DWORD
	s_mov_b32 s16, -1
	s_and_saveexec_b32 s63, s72
; %bb.620:                              ;   in Loop: Header=BB4_358 Depth=4
	s_xor_b32 s16, exec_lo, -1
; %bb.621:                              ;   in Loop: Header=BB4_358 Depth=4
	s_or_b32 exec_lo, exec_lo, s63
	s_and_b32 s16, s16, exec_lo
	s_or_saveexec_b32 s62, s62
	v_mov_b32_e32 v93, 0x7f800001
	s_xor_b32 exec_lo, exec_lo, s62
	s_cbranch_execnz .LBB4_1049
.LBB4_622:                              ;   in Loop: Header=BB4_358 Depth=4
	s_or_b32 exec_lo, exec_lo, s62
	s_and_saveexec_b32 s62, s16
	s_cbranch_execz .LBB4_624
.LBB4_623:                              ;   in Loop: Header=BB4_358 Depth=4
	v_and_b32_sdwa v26, v117, v23 dst_sel:DWORD dst_unused:UNUSED_PAD src0_sel:DWORD src1_sel:BYTE_1
	v_and_b32_e32 v27, 3, v26
	v_bfe_u32 v95, v26, 2, 5
	v_ffbh_u32_e32 v93, v27
	v_cmp_eq_u32_e32 vcc_lo, 0, v95
	v_min_u32_e32 v93, 32, v93
	v_subrev_nc_u32_e32 v94, 29, v93
	v_sub_nc_u32_e32 v93, 30, v93
	v_lshlrev_b32_e32 v26, v94, v26
	v_lshlrev_b32_sdwa v94, v118, v23 dst_sel:DWORD dst_unused:UNUSED_PAD src0_sel:DWORD src1_sel:BYTE_1
	v_cndmask_b32_e32 v93, v95, v93, vcc_lo
	v_and_b32_e32 v26, 3, v26
	v_lshl_add_u32 v93, v93, 23, 0x37800000
	v_cndmask_b32_e32 v26, v27, v26, vcc_lo
	v_and_b32_e32 v27, 0x80000000, v94
	v_lshlrev_b32_e32 v26, 21, v26
	v_or3_b32 v93, v27, v93, v26
.LBB4_624:                              ;   in Loop: Header=BB4_358 Depth=4
	s_or_b32 exec_lo, exec_lo, s62
	v_cmp_gt_i16_sdwa s62, v19, v115 src0_sel:BYTE_1 src1_sel:DWORD
	s_mov_b32 s16, 0
	s_and_saveexec_b32 s63, s62
	s_xor_b32 s62, exec_lo, s63
	s_cbranch_execz .LBB4_1050
; %bb.625:                              ;   in Loop: Header=BB4_358 Depth=4
	v_cmp_eq_u16_sdwa s72, v19, v116 src0_sel:BYTE_1 src1_sel:DWORD
	s_mov_b32 s16, -1
	s_and_saveexec_b32 s63, s72
; %bb.626:                              ;   in Loop: Header=BB4_358 Depth=4
	s_xor_b32 s16, exec_lo, -1
; %bb.627:                              ;   in Loop: Header=BB4_358 Depth=4
	s_or_b32 exec_lo, exec_lo, s63
	s_and_b32 s16, s16, exec_lo
	s_or_saveexec_b32 s62, s62
	v_mov_b32_e32 v94, 0x7f800001
	s_xor_b32 exec_lo, exec_lo, s62
	s_cbranch_execnz .LBB4_1051
.LBB4_628:                              ;   in Loop: Header=BB4_358 Depth=4
	s_or_b32 exec_lo, exec_lo, s62
	s_and_saveexec_b32 s62, s16
	s_cbranch_execz .LBB4_630
.LBB4_629:                              ;   in Loop: Header=BB4_358 Depth=4
	v_and_b32_sdwa v26, v117, v19 dst_sel:DWORD dst_unused:UNUSED_PAD src0_sel:DWORD src1_sel:BYTE_1
	v_and_b32_e32 v27, 3, v26
	v_bfe_u32 v104, v26, 2, 5
	v_ffbh_u32_e32 v94, v27
	v_cmp_eq_u32_e32 vcc_lo, 0, v104
	v_min_u32_e32 v94, 32, v94
	v_subrev_nc_u32_e32 v95, 29, v94
	v_sub_nc_u32_e32 v94, 30, v94
	v_lshlrev_b32_e32 v26, v95, v26
	v_lshlrev_b32_sdwa v95, v118, v19 dst_sel:DWORD dst_unused:UNUSED_PAD src0_sel:DWORD src1_sel:BYTE_1
	v_cndmask_b32_e32 v94, v104, v94, vcc_lo
	v_and_b32_e32 v26, 3, v26
	v_lshl_add_u32 v94, v94, 23, 0x37800000
	v_cndmask_b32_e32 v26, v27, v26, vcc_lo
	v_and_b32_e32 v27, 0x80000000, v95
	v_lshlrev_b32_e32 v26, 21, v26
	v_or3_b32 v94, v27, v94, v26
.LBB4_630:                              ;   in Loop: Header=BB4_358 Depth=4
	s_or_b32 exec_lo, exec_lo, s62
	v_mul_f32_e32 v94, v93, v94
	v_mov_b32_e32 v93, 0x8000
	s_mov_b32 s62, exec_lo
	v_and_b32_e32 v26, 0x7f800000, v94
	v_cmpx_ne_u32_e32 0x7f800000, v26
	s_cbranch_execz .LBB4_638
; %bb.631:                              ;   in Loop: Header=BB4_358 Depth=4
	v_mov_b32_e32 v93, 0
	s_mov_b32 s63, exec_lo
	v_cmpx_ne_u32_e32 0, v94
	s_cbranch_execz .LBB4_637
; %bb.632:                              ;   in Loop: Header=BB4_358 Depth=4
	v_bfe_u32 v26, v94, 23, 8
	v_and_b32_e32 v27, 0x7fffff, v94
	v_sub_nc_u32_e32 v93, 0x70, v26
	v_cmp_gt_u32_e32 vcc_lo, 0x71, v26
	v_or_b32_e32 v95, 0x800000, v27
	v_cndmask_b32_e32 v93, 0, v93, vcc_lo
	v_cmp_eq_u32_e32 vcc_lo, 0, v26
	v_add_nc_u32_e32 v26, 0xffffff91, v26
	v_cndmask_b32_e64 v93, v93, 0x6f, vcc_lo
	v_cndmask_b32_e32 v27, v95, v27, vcc_lo
	v_cndmask_b32_e64 v26, v26, 0xffffff92, vcc_lo
	v_lshl_add_u32 v104, 0x200000, v93, -1
	v_lshrrev_b32_e32 v95, v93, v27
	v_lshlrev_b32_e64 v106, v93, 0x100000
	v_and_b32_e32 v27, v104, v27
	v_bfe_u32 v105, v95, 21, 1
	v_cmp_eq_u32_e64 s16, v27, v106
	v_add_nc_u32_e32 v104, -1, v105
	v_lshrrev_b32_e32 v105, 23, v95
	v_cndmask_b32_e64 v27, 0, v104, s16
	v_add_nc_u32_e32 v104, v93, v26
	v_xor_b32_e32 v105, 1, v105
	s_mov_b32 s16, exec_lo
                                        ; implicit-def: $vgpr93
	v_add_nc_u32_e32 v27, v27, v95
	v_and_b32_e32 v26, 0x1fffff, v27
	v_add_nc_u32_e32 v95, v26, v95
	v_cmpx_ne_u32_e64 v104, v105
	s_xor_b32 s16, exec_lo, s16
; %bb.633:                              ;   in Loop: Header=BB4_358 Depth=4
	v_cmp_lt_u32_e32 vcc_lo, 0xffffff, v95
	v_sub_nc_u32_e32 v26, v104, v105
	v_cndmask_b32_e64 v27, 0, 1, vcc_lo
	v_add_co_ci_u32_e64 v93, null, 0, v26, vcc_lo
	v_lshrrev_b32_e32 v95, v27, v95
; %bb.634:                              ;   in Loop: Header=BB4_358 Depth=4
	s_andn2_saveexec_b32 s16, s16
; %bb.635:                              ;   in Loop: Header=BB4_358 Depth=4
	v_bfe_u32 v93, v95, 23, 1
; %bb.636:                              ;   in Loop: Header=BB4_358 Depth=4
	s_or_b32 exec_lo, exec_lo, s16
	v_lshrrev_b32_e32 v26, 21, v95
	v_min_i32_e32 v27, 31, v93
	v_cmp_gt_i32_e32 vcc_lo, 32, v93
	v_and_b32_sdwa v94, v94, v116 dst_sel:DWORD dst_unused:UNUSED_PAD src0_sel:BYTE_3 src1_sel:DWORD
	v_lshlrev_b32_e32 v27, 2, v27
	v_cndmask_b32_e32 v26, 3, v26, vcc_lo
	v_and_b32_e32 v27, 0xfc, v27
	v_and_b32_e32 v95, 3, v26
	v_or_b32_e32 v26, v93, v26
	v_or3_b32 v27, v94, v27, v95
	v_cmp_ne_u32_e32 vcc_lo, 0, v26
	v_lshlrev_b32_e32 v27, 8, v27
	v_cndmask_b32_e32 v93, 0, v27, vcc_lo
.LBB4_637:                              ;   in Loop: Header=BB4_358 Depth=4
	s_or_b32 exec_lo, exec_lo, s63
.LBB4_638:                              ;   in Loop: Header=BB4_358 Depth=4
	s_or_b32 exec_lo, exec_lo, s62
	v_and_b32_sdwa v95, v23, v119 dst_sel:DWORD dst_unused:UNUSED_PAD src0_sel:WORD_1 src1_sel:DWORD
	s_mov_b32 s16, 0
	s_mov_b32 s62, exec_lo
	v_cmpx_lt_i16_e32 0x7f, v95
	s_xor_b32 s62, exec_lo, s62
	s_cbranch_execz .LBB4_1052
; %bb.639:                              ;   in Loop: Header=BB4_358 Depth=4
	s_mov_b32 s16, -1
	s_mov_b32 s63, exec_lo
	v_cmpx_eq_u16_e32 0x80, v95
; %bb.640:                              ;   in Loop: Header=BB4_358 Depth=4
	s_xor_b32 s16, exec_lo, -1
; %bb.641:                              ;   in Loop: Header=BB4_358 Depth=4
	s_or_b32 exec_lo, exec_lo, s63
	s_and_b32 s16, s16, exec_lo
                                        ; implicit-def: $vgpr95
	s_or_saveexec_b32 s62, s62
	v_mov_b32_e32 v94, 0x7f800001
	s_xor_b32 exec_lo, exec_lo, s62
	s_cbranch_execnz .LBB4_1053
.LBB4_642:                              ;   in Loop: Header=BB4_358 Depth=4
	s_or_b32 exec_lo, exec_lo, s62
	s_and_saveexec_b32 s62, s16
	s_cbranch_execz .LBB4_644
.LBB4_643:                              ;   in Loop: Header=BB4_358 Depth=4
	v_bfe_u32 v26, v23, 16, 2
	v_bfe_u32 v95, v23, 18, 5
	v_lshlrev_b32_e32 v104, 8, v23
	v_ffbh_u32_e32 v27, v26
	v_cmp_eq_u32_e32 vcc_lo, 0, v95
	v_min_u32_e32 v27, 32, v27
	v_subrev_nc_u32_e32 v94, 29, v27
	v_sub_nc_u32_e32 v27, 30, v27
	v_lshlrev_b32_sdwa v94, v94, v23 dst_sel:DWORD dst_unused:UNUSED_PAD src0_sel:DWORD src1_sel:WORD_1
	v_cndmask_b32_e32 v27, v95, v27, vcc_lo
	v_and_b32_e32 v94, 3, v94
	v_lshl_add_u32 v27, v27, 23, 0x37800000
	v_cndmask_b32_e32 v26, v26, v94, vcc_lo
	v_and_b32_e32 v94, 0x80000000, v104
	v_lshlrev_b32_e32 v26, 21, v26
	v_or3_b32 v94, v94, v27, v26
.LBB4_644:                              ;   in Loop: Header=BB4_358 Depth=4
	s_or_b32 exec_lo, exec_lo, s62
	v_and_b32_sdwa v104, v19, v119 dst_sel:DWORD dst_unused:UNUSED_PAD src0_sel:WORD_1 src1_sel:DWORD
	s_mov_b32 s16, 0
	s_mov_b32 s62, exec_lo
	v_cmpx_lt_i16_e32 0x7f, v104
	s_xor_b32 s62, exec_lo, s62
	s_cbranch_execz .LBB4_1054
; %bb.645:                              ;   in Loop: Header=BB4_358 Depth=4
	s_mov_b32 s16, -1
	s_mov_b32 s63, exec_lo
	v_cmpx_eq_u16_e32 0x80, v104
; %bb.646:                              ;   in Loop: Header=BB4_358 Depth=4
	s_xor_b32 s16, exec_lo, -1
; %bb.647:                              ;   in Loop: Header=BB4_358 Depth=4
	s_or_b32 exec_lo, exec_lo, s63
	s_and_b32 s16, s16, exec_lo
                                        ; implicit-def: $vgpr104
	s_or_saveexec_b32 s62, s62
	v_mov_b32_e32 v95, 0x7f800001
	s_xor_b32 exec_lo, exec_lo, s62
	s_cbranch_execnz .LBB4_1055
.LBB4_648:                              ;   in Loop: Header=BB4_358 Depth=4
	s_or_b32 exec_lo, exec_lo, s62
	s_and_saveexec_b32 s62, s16
	s_cbranch_execz .LBB4_650
.LBB4_649:                              ;   in Loop: Header=BB4_358 Depth=4
	v_bfe_u32 v26, v19, 16, 2
	v_bfe_u32 v104, v19, 18, 5
	v_lshlrev_b32_e32 v105, 8, v19
	v_ffbh_u32_e32 v27, v26
	v_cmp_eq_u32_e32 vcc_lo, 0, v104
	v_min_u32_e32 v27, 32, v27
	v_subrev_nc_u32_e32 v95, 29, v27
	v_sub_nc_u32_e32 v27, 30, v27
	v_lshlrev_b32_sdwa v95, v95, v19 dst_sel:DWORD dst_unused:UNUSED_PAD src0_sel:DWORD src1_sel:WORD_1
	v_cndmask_b32_e32 v27, v104, v27, vcc_lo
	v_and_b32_e32 v95, 3, v95
	v_lshl_add_u32 v27, v27, 23, 0x37800000
	v_cndmask_b32_e32 v26, v26, v95, vcc_lo
	v_and_b32_e32 v95, 0x80000000, v105
	v_lshlrev_b32_e32 v26, 21, v26
	v_or3_b32 v95, v95, v27, v26
.LBB4_650:                              ;   in Loop: Header=BB4_358 Depth=4
	s_or_b32 exec_lo, exec_lo, s62
	v_mul_f32_e32 v95, v94, v95
	v_mov_b32_e32 v94, 0x80
	s_mov_b32 s62, exec_lo
	v_and_b32_e32 v26, 0x7f800000, v95
	v_cmpx_ne_u32_e32 0x7f800000, v26
	s_cbranch_execz .LBB4_658
; %bb.651:                              ;   in Loop: Header=BB4_358 Depth=4
	v_mov_b32_e32 v94, 0
	s_mov_b32 s63, exec_lo
	v_cmpx_ne_u32_e32 0, v95
	s_cbranch_execz .LBB4_657
; %bb.652:                              ;   in Loop: Header=BB4_358 Depth=4
	v_bfe_u32 v26, v95, 23, 8
	v_and_b32_e32 v27, 0x7fffff, v95
	v_sub_nc_u32_e32 v94, 0x70, v26
	v_cmp_gt_u32_e32 vcc_lo, 0x71, v26
	v_or_b32_e32 v104, 0x800000, v27
	v_cndmask_b32_e32 v94, 0, v94, vcc_lo
	v_cmp_eq_u32_e32 vcc_lo, 0, v26
	v_add_nc_u32_e32 v26, 0xffffff91, v26
	v_cndmask_b32_e64 v94, v94, 0x6f, vcc_lo
	v_cndmask_b32_e32 v27, v104, v27, vcc_lo
	v_cndmask_b32_e64 v26, v26, 0xffffff92, vcc_lo
	v_lshl_add_u32 v105, 0x200000, v94, -1
	v_lshrrev_b32_e32 v104, v94, v27
	v_lshlrev_b32_e64 v107, v94, 0x100000
	v_and_b32_e32 v27, v105, v27
	v_bfe_u32 v106, v104, 21, 1
	v_cmp_eq_u32_e64 s16, v27, v107
	v_add_nc_u32_e32 v105, -1, v106
	v_lshrrev_b32_e32 v106, 23, v104
	v_cndmask_b32_e64 v27, 0, v105, s16
	v_add_nc_u32_e32 v105, v94, v26
	v_xor_b32_e32 v106, 1, v106
	s_mov_b32 s16, exec_lo
                                        ; implicit-def: $vgpr94
	v_add_nc_u32_e32 v27, v27, v104
	v_and_b32_e32 v26, 0x1fffff, v27
	v_add_nc_u32_e32 v104, v26, v104
	v_cmpx_ne_u32_e64 v105, v106
	s_xor_b32 s16, exec_lo, s16
; %bb.653:                              ;   in Loop: Header=BB4_358 Depth=4
	v_cmp_lt_u32_e32 vcc_lo, 0xffffff, v104
	v_sub_nc_u32_e32 v26, v105, v106
	v_cndmask_b32_e64 v27, 0, 1, vcc_lo
	v_add_co_ci_u32_e64 v94, null, 0, v26, vcc_lo
	v_lshrrev_b32_e32 v104, v27, v104
; %bb.654:                              ;   in Loop: Header=BB4_358 Depth=4
	s_andn2_saveexec_b32 s16, s16
; %bb.655:                              ;   in Loop: Header=BB4_358 Depth=4
	v_bfe_u32 v94, v104, 23, 1
; %bb.656:                              ;   in Loop: Header=BB4_358 Depth=4
	s_or_b32 exec_lo, exec_lo, s16
	v_lshrrev_b32_e32 v26, 21, v104
	v_min_i32_e32 v27, 31, v94
	v_cmp_gt_i32_e32 vcc_lo, 32, v94
	v_and_b32_sdwa v95, v95, v116 dst_sel:DWORD dst_unused:UNUSED_PAD src0_sel:BYTE_3 src1_sel:DWORD
	v_lshlrev_b32_e32 v27, 2, v27
	v_cndmask_b32_e32 v26, 3, v26, vcc_lo
	v_and_b32_e32 v27, 0xfc, v27
	v_and_b32_e32 v104, 3, v26
	v_or_b32_e32 v26, v94, v26
	v_or3_b32 v27, v27, v95, v104
	v_cmp_ne_u32_e32 vcc_lo, 0, v26
	v_cndmask_b32_e32 v94, 0, v27, vcc_lo
.LBB4_657:                              ;   in Loop: Header=BB4_358 Depth=4
	s_or_b32 exec_lo, exec_lo, s63
.LBB4_658:                              ;   in Loop: Header=BB4_358 Depth=4
	s_or_b32 exec_lo, exec_lo, s62
	v_cmp_gt_i16_sdwa s62, v23, v115 src0_sel:BYTE_3 src1_sel:DWORD
	s_mov_b32 s16, 0
	s_and_saveexec_b32 s63, s62
	s_xor_b32 s62, exec_lo, s63
	s_cbranch_execz .LBB4_1056
; %bb.659:                              ;   in Loop: Header=BB4_358 Depth=4
	v_cmp_eq_u16_sdwa s72, v23, v116 src0_sel:BYTE_3 src1_sel:DWORD
	s_mov_b32 s16, -1
	s_and_saveexec_b32 s63, s72
; %bb.660:                              ;   in Loop: Header=BB4_358 Depth=4
	s_xor_b32 s16, exec_lo, -1
; %bb.661:                              ;   in Loop: Header=BB4_358 Depth=4
	s_or_b32 exec_lo, exec_lo, s63
	s_and_b32 s16, s16, exec_lo
	s_or_saveexec_b32 s62, s62
	v_mov_b32_e32 v95, 0x7f800001
	s_xor_b32 exec_lo, exec_lo, s62
	s_cbranch_execnz .LBB4_1057
.LBB4_662:                              ;   in Loop: Header=BB4_358 Depth=4
	s_or_b32 exec_lo, exec_lo, s62
	s_and_saveexec_b32 s62, s16
	s_cbranch_execz .LBB4_664
.LBB4_663:                              ;   in Loop: Header=BB4_358 Depth=4
	v_bfe_u32 v26, v23, 24, 2
	v_bfe_u32 v104, v23, 26, 5
	v_ffbh_u32_e32 v27, v26
	v_cmp_eq_u32_e32 vcc_lo, 0, v104
	v_min_u32_e32 v27, 32, v27
	v_subrev_nc_u32_e32 v95, 29, v27
	v_sub_nc_u32_e32 v27, 30, v27
	v_lshlrev_b32_sdwa v95, v95, v23 dst_sel:DWORD dst_unused:UNUSED_PAD src0_sel:DWORD src1_sel:BYTE_3
	v_cndmask_b32_e32 v27, v104, v27, vcc_lo
	v_and_b32_e32 v23, 0x80000000, v23
	v_and_b32_e32 v95, 3, v95
	v_lshl_add_u32 v27, v27, 23, 0x37800000
	v_cndmask_b32_e32 v26, v26, v95, vcc_lo
	v_lshlrev_b32_e32 v26, 21, v26
	v_or3_b32 v95, v23, v27, v26
.LBB4_664:                              ;   in Loop: Header=BB4_358 Depth=4
	s_or_b32 exec_lo, exec_lo, s62
	v_cmp_gt_i16_sdwa s62, v19, v115 src0_sel:BYTE_3 src1_sel:DWORD
	s_mov_b32 s16, 0
	s_and_saveexec_b32 s63, s62
	s_xor_b32 s62, exec_lo, s63
	s_cbranch_execz .LBB4_1058
; %bb.665:                              ;   in Loop: Header=BB4_358 Depth=4
	v_cmp_eq_u16_sdwa s72, v19, v116 src0_sel:BYTE_3 src1_sel:DWORD
	s_mov_b32 s16, -1
	s_and_saveexec_b32 s63, s72
; %bb.666:                              ;   in Loop: Header=BB4_358 Depth=4
	s_xor_b32 s16, exec_lo, -1
; %bb.667:                              ;   in Loop: Header=BB4_358 Depth=4
	s_or_b32 exec_lo, exec_lo, s63
	s_and_b32 s16, s16, exec_lo
	s_or_saveexec_b32 s62, s62
	v_mov_b32_e32 v23, 0x7f800001
	s_xor_b32 exec_lo, exec_lo, s62
	s_cbranch_execnz .LBB4_1059
.LBB4_668:                              ;   in Loop: Header=BB4_358 Depth=4
	s_or_b32 exec_lo, exec_lo, s62
	s_and_saveexec_b32 s62, s16
	s_cbranch_execz .LBB4_670
.LBB4_669:                              ;   in Loop: Header=BB4_358 Depth=4
	v_bfe_u32 v23, v19, 24, 2
	v_bfe_u32 v104, v19, 26, 5
	v_ffbh_u32_e32 v26, v23
	v_cmp_eq_u32_e32 vcc_lo, 0, v104
	v_min_u32_e32 v26, 32, v26
	v_subrev_nc_u32_e32 v27, 29, v26
	v_sub_nc_u32_e32 v26, 30, v26
	v_lshlrev_b32_sdwa v27, v27, v19 dst_sel:DWORD dst_unused:UNUSED_PAD src0_sel:DWORD src1_sel:BYTE_3
	v_cndmask_b32_e32 v26, v104, v26, vcc_lo
	v_and_b32_e32 v19, 0x80000000, v19
	v_and_b32_e32 v27, 3, v27
	v_lshl_add_u32 v26, v26, 23, 0x37800000
	v_cndmask_b32_e32 v23, v23, v27, vcc_lo
	v_lshlrev_b32_e32 v23, 21, v23
	v_or3_b32 v23, v19, v26, v23
.LBB4_670:                              ;   in Loop: Header=BB4_358 Depth=4
	s_or_b32 exec_lo, exec_lo, s62
	v_mul_f32_e32 v23, v95, v23
	v_and_b32_e32 v19, 0x7f800000, v23
	v_cmp_ne_u32_e32 vcc_lo, 0x7f800000, v19
	v_mov_b32_e32 v19, 0x8000
	s_and_saveexec_b32 s62, vcc_lo
	s_cbranch_execz .LBB4_678
; %bb.671:                              ;   in Loop: Header=BB4_358 Depth=4
	v_mov_b32_e32 v19, 0
	s_mov_b32 s63, exec_lo
	v_cmpx_ne_u32_e32 0, v23
	s_cbranch_execz .LBB4_677
; %bb.672:                              ;   in Loop: Header=BB4_358 Depth=4
	v_bfe_u32 v19, v23, 23, 8
	v_and_b32_e32 v26, 0x7fffff, v23
	v_sub_nc_u32_e32 v27, 0x70, v19
	v_cmp_gt_u32_e32 vcc_lo, 0x71, v19
	v_or_b32_e32 v95, 0x800000, v26
	v_cndmask_b32_e32 v27, 0, v27, vcc_lo
	v_cmp_eq_u32_e32 vcc_lo, 0, v19
	v_add_nc_u32_e32 v19, 0xffffff91, v19
	v_cndmask_b32_e64 v27, v27, 0x6f, vcc_lo
	v_cndmask_b32_e32 v26, v95, v26, vcc_lo
	v_cndmask_b32_e64 v19, v19, 0xffffff92, vcc_lo
	v_lshl_add_u32 v104, 0x200000, v27, -1
	v_lshrrev_b32_e32 v95, v27, v26
	v_lshlrev_b32_e64 v106, v27, 0x100000
	v_and_b32_e32 v26, v104, v26
	v_bfe_u32 v105, v95, 21, 1
	v_cmp_eq_u32_e64 s16, v26, v106
	v_add_nc_u32_e32 v104, -1, v105
	v_lshrrev_b32_e32 v105, 23, v95
	v_cndmask_b32_e64 v26, 0, v104, s16
	v_add_nc_u32_e32 v104, v27, v19
	v_xor_b32_e32 v105, 1, v105
	s_mov_b32 s16, exec_lo
	v_add_nc_u32_e32 v26, v26, v95
	v_and_b32_e32 v19, 0x1fffff, v26
	v_add_nc_u32_e32 v95, v19, v95
                                        ; implicit-def: $vgpr19
	v_cmpx_ne_u32_e64 v104, v105
	s_xor_b32 s16, exec_lo, s16
; %bb.673:                              ;   in Loop: Header=BB4_358 Depth=4
	v_cmp_lt_u32_e32 vcc_lo, 0xffffff, v95
	v_sub_nc_u32_e32 v19, v104, v105
	v_cndmask_b32_e64 v26, 0, 1, vcc_lo
	v_add_co_ci_u32_e64 v19, null, 0, v19, vcc_lo
	v_lshrrev_b32_e32 v95, v26, v95
; %bb.674:                              ;   in Loop: Header=BB4_358 Depth=4
	s_andn2_saveexec_b32 s16, s16
; %bb.675:                              ;   in Loop: Header=BB4_358 Depth=4
	v_bfe_u32 v19, v95, 23, 1
; %bb.676:                              ;   in Loop: Header=BB4_358 Depth=4
	s_or_b32 exec_lo, exec_lo, s16
	v_lshrrev_b32_e32 v26, 21, v95
	v_min_i32_e32 v27, 31, v19
	v_cmp_gt_i32_e32 vcc_lo, 32, v19
	v_and_b32_sdwa v23, v23, v116 dst_sel:DWORD dst_unused:UNUSED_PAD src0_sel:BYTE_3 src1_sel:DWORD
	v_lshlrev_b32_e32 v27, 2, v27
	v_cndmask_b32_e32 v26, 3, v26, vcc_lo
	v_and_b32_e32 v27, 0xfc, v27
	v_and_b32_e32 v95, 3, v26
	v_or_b32_e32 v19, v19, v26
	v_or3_b32 v23, v23, v27, v95
	v_cmp_ne_u32_e32 vcc_lo, 0, v19
	v_lshlrev_b32_e32 v23, 8, v23
	v_cndmask_b32_e32 v19, 0, v23, vcc_lo
.LBB4_677:                              ;   in Loop: Header=BB4_358 Depth=4
	s_or_b32 exec_lo, exec_lo, s63
.LBB4_678:                              ;   in Loop: Header=BB4_358 Depth=4
	s_or_b32 exec_lo, exec_lo, s62
	v_cmp_gt_i16_sdwa s62, v12, v115 src0_sel:BYTE_0 src1_sel:DWORD
	s_mov_b32 s16, 0
	s_and_saveexec_b32 s63, s62
	s_xor_b32 s62, exec_lo, s63
	s_cbranch_execz .LBB4_1060
; %bb.679:                              ;   in Loop: Header=BB4_358 Depth=4
	v_cmp_eq_u16_sdwa s72, v12, v116 src0_sel:BYTE_0 src1_sel:DWORD
	s_mov_b32 s16, -1
	s_and_saveexec_b32 s63, s72
; %bb.680:                              ;   in Loop: Header=BB4_358 Depth=4
	s_xor_b32 s16, exec_lo, -1
; %bb.681:                              ;   in Loop: Header=BB4_358 Depth=4
	s_or_b32 exec_lo, exec_lo, s63
	s_and_b32 s16, s16, exec_lo
	s_or_saveexec_b32 s62, s62
	v_mov_b32_e32 v23, 0x7f800001
	s_xor_b32 exec_lo, exec_lo, s62
	s_cbranch_execnz .LBB4_1061
.LBB4_682:                              ;   in Loop: Header=BB4_358 Depth=4
	s_or_b32 exec_lo, exec_lo, s62
	s_and_saveexec_b32 s62, s16
	s_cbranch_execz .LBB4_684
.LBB4_683:                              ;   in Loop: Header=BB4_358 Depth=4
	v_and_b32_e32 v23, 3, v12
	v_bfe_u32 v95, v12, 2, 5
	v_lshlrev_b32_e32 v104, 24, v12
	v_ffbh_u32_e32 v26, v23
	v_cmp_eq_u32_e32 vcc_lo, 0, v95
	v_min_u32_e32 v26, 32, v26
	v_subrev_nc_u32_e32 v27, 29, v26
	v_sub_nc_u32_e32 v26, 30, v26
	v_lshlrev_b32_e32 v27, v27, v12
	v_cndmask_b32_e32 v26, v95, v26, vcc_lo
	v_and_b32_e32 v27, 3, v27
	v_lshl_add_u32 v26, v26, 23, 0x37800000
	v_cndmask_b32_e32 v23, v23, v27, vcc_lo
	v_and_b32_e32 v27, 0x80000000, v104
	v_lshlrev_b32_e32 v23, 21, v23
	v_or3_b32 v23, v27, v26, v23
.LBB4_684:                              ;   in Loop: Header=BB4_358 Depth=4
	s_or_b32 exec_lo, exec_lo, s62
	s_waitcnt vmcnt(0)
	v_cmp_gt_i16_sdwa s62, v8, v115 src0_sel:BYTE_0 src1_sel:DWORD
	s_mov_b32 s16, 0
	s_and_saveexec_b32 s63, s62
	s_xor_b32 s62, exec_lo, s63
	s_cbranch_execz .LBB4_1062
; %bb.685:                              ;   in Loop: Header=BB4_358 Depth=4
	v_cmp_eq_u16_sdwa s72, v8, v116 src0_sel:BYTE_0 src1_sel:DWORD
	s_mov_b32 s16, -1
	s_and_saveexec_b32 s63, s72
; %bb.686:                              ;   in Loop: Header=BB4_358 Depth=4
	s_xor_b32 s16, exec_lo, -1
; %bb.687:                              ;   in Loop: Header=BB4_358 Depth=4
	s_or_b32 exec_lo, exec_lo, s63
	s_and_b32 s16, s16, exec_lo
	s_or_saveexec_b32 s62, s62
	v_mov_b32_e32 v95, 0x7f800001
	s_xor_b32 exec_lo, exec_lo, s62
	s_cbranch_execnz .LBB4_1063
.LBB4_688:                              ;   in Loop: Header=BB4_358 Depth=4
	s_or_b32 exec_lo, exec_lo, s62
	s_and_saveexec_b32 s62, s16
	s_cbranch_execz .LBB4_690
.LBB4_689:                              ;   in Loop: Header=BB4_358 Depth=4
	v_and_b32_e32 v26, 3, v8
	v_bfe_u32 v104, v8, 2, 5
	v_lshlrev_b32_e32 v105, 24, v8
	v_ffbh_u32_e32 v27, v26
	v_cmp_eq_u32_e32 vcc_lo, 0, v104
	v_min_u32_e32 v27, 32, v27
	v_subrev_nc_u32_e32 v95, 29, v27
	v_sub_nc_u32_e32 v27, 30, v27
	v_lshlrev_b32_e32 v95, v95, v8
	v_cndmask_b32_e32 v27, v104, v27, vcc_lo
	v_and_b32_e32 v95, 3, v95
	v_lshl_add_u32 v27, v27, 23, 0x37800000
	v_cndmask_b32_e32 v26, v26, v95, vcc_lo
	v_and_b32_e32 v95, 0x80000000, v105
	v_lshlrev_b32_e32 v26, 21, v26
	v_or3_b32 v95, v95, v27, v26
.LBB4_690:                              ;   in Loop: Header=BB4_358 Depth=4
	s_or_b32 exec_lo, exec_lo, s62
	v_mul_f32_e32 v95, v23, v95
	v_and_b32_e32 v23, 0x7f800000, v95
	v_cmp_ne_u32_e32 vcc_lo, 0x7f800000, v23
	v_mov_b32_e32 v23, 0x80
	s_and_saveexec_b32 s62, vcc_lo
	s_cbranch_execz .LBB4_698
; %bb.691:                              ;   in Loop: Header=BB4_358 Depth=4
	v_mov_b32_e32 v23, 0
	s_mov_b32 s63, exec_lo
	v_cmpx_ne_u32_e32 0, v95
	s_cbranch_execz .LBB4_697
; %bb.692:                              ;   in Loop: Header=BB4_358 Depth=4
	v_bfe_u32 v23, v95, 23, 8
	v_and_b32_e32 v26, 0x7fffff, v95
	v_sub_nc_u32_e32 v27, 0x70, v23
	v_cmp_gt_u32_e32 vcc_lo, 0x71, v23
	v_or_b32_e32 v104, 0x800000, v26
	v_cndmask_b32_e32 v27, 0, v27, vcc_lo
	v_cmp_eq_u32_e32 vcc_lo, 0, v23
	v_add_nc_u32_e32 v23, 0xffffff91, v23
	v_cndmask_b32_e64 v27, v27, 0x6f, vcc_lo
	v_cndmask_b32_e32 v26, v104, v26, vcc_lo
	v_cndmask_b32_e64 v23, v23, 0xffffff92, vcc_lo
	v_lshl_add_u32 v105, 0x200000, v27, -1
	v_lshrrev_b32_e32 v104, v27, v26
	v_lshlrev_b32_e64 v107, v27, 0x100000
	v_and_b32_e32 v26, v105, v26
	v_bfe_u32 v106, v104, 21, 1
	v_cmp_eq_u32_e64 s16, v26, v107
	v_add_nc_u32_e32 v105, -1, v106
	v_lshrrev_b32_e32 v106, 23, v104
	v_cndmask_b32_e64 v26, 0, v105, s16
	v_add_nc_u32_e32 v105, v27, v23
	v_xor_b32_e32 v106, 1, v106
	s_mov_b32 s16, exec_lo
	v_add_nc_u32_e32 v26, v26, v104
	v_and_b32_e32 v23, 0x1fffff, v26
	v_add_nc_u32_e32 v104, v23, v104
                                        ; implicit-def: $vgpr23
	v_cmpx_ne_u32_e64 v105, v106
	s_xor_b32 s16, exec_lo, s16
; %bb.693:                              ;   in Loop: Header=BB4_358 Depth=4
	v_cmp_lt_u32_e32 vcc_lo, 0xffffff, v104
	v_sub_nc_u32_e32 v23, v105, v106
	v_cndmask_b32_e64 v26, 0, 1, vcc_lo
	v_add_co_ci_u32_e64 v23, null, 0, v23, vcc_lo
	v_lshrrev_b32_e32 v104, v26, v104
; %bb.694:                              ;   in Loop: Header=BB4_358 Depth=4
	s_andn2_saveexec_b32 s16, s16
; %bb.695:                              ;   in Loop: Header=BB4_358 Depth=4
	v_bfe_u32 v23, v104, 23, 1
; %bb.696:                              ;   in Loop: Header=BB4_358 Depth=4
	s_or_b32 exec_lo, exec_lo, s16
	v_lshrrev_b32_e32 v26, 21, v104
	v_min_i32_e32 v27, 31, v23
	v_cmp_gt_i32_e32 vcc_lo, 32, v23
	v_and_b32_sdwa v95, v95, v116 dst_sel:DWORD dst_unused:UNUSED_PAD src0_sel:BYTE_3 src1_sel:DWORD
	v_lshlrev_b32_e32 v27, 2, v27
	v_cndmask_b32_e32 v26, 3, v26, vcc_lo
	v_and_b32_e32 v27, 0xfc, v27
	v_and_b32_e32 v104, 3, v26
	v_or_b32_e32 v23, v23, v26
	v_or3_b32 v26, v27, v95, v104
	v_cmp_ne_u32_e32 vcc_lo, 0, v23
	v_cndmask_b32_e32 v23, 0, v26, vcc_lo
.LBB4_697:                              ;   in Loop: Header=BB4_358 Depth=4
	s_or_b32 exec_lo, exec_lo, s63
.LBB4_698:                              ;   in Loop: Header=BB4_358 Depth=4
	s_or_b32 exec_lo, exec_lo, s62
	v_cmp_gt_i16_sdwa s62, v12, v115 src0_sel:BYTE_1 src1_sel:DWORD
	s_mov_b32 s16, 0
	s_and_saveexec_b32 s63, s62
	s_xor_b32 s62, exec_lo, s63
	s_cbranch_execz .LBB4_1064
; %bb.699:                              ;   in Loop: Header=BB4_358 Depth=4
	v_cmp_eq_u16_sdwa s72, v12, v116 src0_sel:BYTE_1 src1_sel:DWORD
	s_mov_b32 s16, -1
	s_and_saveexec_b32 s63, s72
; %bb.700:                              ;   in Loop: Header=BB4_358 Depth=4
	s_xor_b32 s16, exec_lo, -1
; %bb.701:                              ;   in Loop: Header=BB4_358 Depth=4
	s_or_b32 exec_lo, exec_lo, s63
	s_and_b32 s16, s16, exec_lo
	s_or_saveexec_b32 s62, s62
	v_mov_b32_e32 v95, 0x7f800001
	s_xor_b32 exec_lo, exec_lo, s62
	s_cbranch_execnz .LBB4_1065
.LBB4_702:                              ;   in Loop: Header=BB4_358 Depth=4
	s_or_b32 exec_lo, exec_lo, s62
	s_and_saveexec_b32 s62, s16
	s_cbranch_execz .LBB4_704
.LBB4_703:                              ;   in Loop: Header=BB4_358 Depth=4
	v_and_b32_sdwa v26, v117, v12 dst_sel:DWORD dst_unused:UNUSED_PAD src0_sel:DWORD src1_sel:BYTE_1
	v_and_b32_e32 v27, 3, v26
	v_bfe_u32 v105, v26, 2, 5
	v_ffbh_u32_e32 v95, v27
	v_cmp_eq_u32_e32 vcc_lo, 0, v105
	v_min_u32_e32 v95, 32, v95
	v_subrev_nc_u32_e32 v104, 29, v95
	v_sub_nc_u32_e32 v95, 30, v95
	v_lshlrev_b32_e32 v26, v104, v26
	v_lshlrev_b32_sdwa v104, v118, v12 dst_sel:DWORD dst_unused:UNUSED_PAD src0_sel:DWORD src1_sel:BYTE_1
	v_cndmask_b32_e32 v95, v105, v95, vcc_lo
	v_and_b32_e32 v26, 3, v26
	v_lshl_add_u32 v95, v95, 23, 0x37800000
	v_cndmask_b32_e32 v26, v27, v26, vcc_lo
	v_and_b32_e32 v27, 0x80000000, v104
	v_lshlrev_b32_e32 v26, 21, v26
	v_or3_b32 v95, v27, v95, v26
.LBB4_704:                              ;   in Loop: Header=BB4_358 Depth=4
	s_or_b32 exec_lo, exec_lo, s62
	v_cmp_gt_i16_sdwa s62, v8, v115 src0_sel:BYTE_1 src1_sel:DWORD
	s_mov_b32 s16, 0
	s_and_saveexec_b32 s63, s62
	s_xor_b32 s62, exec_lo, s63
	s_cbranch_execz .LBB4_1066
; %bb.705:                              ;   in Loop: Header=BB4_358 Depth=4
	v_cmp_eq_u16_sdwa s72, v8, v116 src0_sel:BYTE_1 src1_sel:DWORD
	s_mov_b32 s16, -1
	s_and_saveexec_b32 s63, s72
; %bb.706:                              ;   in Loop: Header=BB4_358 Depth=4
	s_xor_b32 s16, exec_lo, -1
; %bb.707:                              ;   in Loop: Header=BB4_358 Depth=4
	s_or_b32 exec_lo, exec_lo, s63
	s_and_b32 s16, s16, exec_lo
	s_or_saveexec_b32 s62, s62
	v_mov_b32_e32 v104, 0x7f800001
	s_xor_b32 exec_lo, exec_lo, s62
	s_cbranch_execnz .LBB4_1067
.LBB4_708:                              ;   in Loop: Header=BB4_358 Depth=4
	s_or_b32 exec_lo, exec_lo, s62
	s_and_saveexec_b32 s62, s16
	s_cbranch_execz .LBB4_710
.LBB4_709:                              ;   in Loop: Header=BB4_358 Depth=4
	v_and_b32_sdwa v26, v117, v8 dst_sel:DWORD dst_unused:UNUSED_PAD src0_sel:DWORD src1_sel:BYTE_1
	v_and_b32_e32 v27, 3, v26
	v_bfe_u32 v106, v26, 2, 5
	v_ffbh_u32_e32 v104, v27
	v_cmp_eq_u32_e32 vcc_lo, 0, v106
	v_min_u32_e32 v104, 32, v104
	v_subrev_nc_u32_e32 v105, 29, v104
	v_sub_nc_u32_e32 v104, 30, v104
	v_lshlrev_b32_e32 v26, v105, v26
	v_lshlrev_b32_sdwa v105, v118, v8 dst_sel:DWORD dst_unused:UNUSED_PAD src0_sel:DWORD src1_sel:BYTE_1
	v_cndmask_b32_e32 v104, v106, v104, vcc_lo
	v_and_b32_e32 v26, 3, v26
	v_lshl_add_u32 v104, v104, 23, 0x37800000
	v_cndmask_b32_e32 v26, v27, v26, vcc_lo
	v_and_b32_e32 v27, 0x80000000, v105
	v_lshlrev_b32_e32 v26, 21, v26
	v_or3_b32 v104, v27, v104, v26
.LBB4_710:                              ;   in Loop: Header=BB4_358 Depth=4
	s_or_b32 exec_lo, exec_lo, s62
	v_mul_f32_e32 v104, v95, v104
	v_mov_b32_e32 v95, 0x8000
	s_mov_b32 s62, exec_lo
	v_and_b32_e32 v26, 0x7f800000, v104
	v_cmpx_ne_u32_e32 0x7f800000, v26
	s_cbranch_execz .LBB4_718
; %bb.711:                              ;   in Loop: Header=BB4_358 Depth=4
	v_mov_b32_e32 v95, 0
	s_mov_b32 s63, exec_lo
	v_cmpx_ne_u32_e32 0, v104
	s_cbranch_execz .LBB4_717
; %bb.712:                              ;   in Loop: Header=BB4_358 Depth=4
	v_bfe_u32 v26, v104, 23, 8
	v_and_b32_e32 v27, 0x7fffff, v104
	v_sub_nc_u32_e32 v95, 0x70, v26
	v_cmp_gt_u32_e32 vcc_lo, 0x71, v26
	v_or_b32_e32 v105, 0x800000, v27
	v_cndmask_b32_e32 v95, 0, v95, vcc_lo
	v_cmp_eq_u32_e32 vcc_lo, 0, v26
	v_add_nc_u32_e32 v26, 0xffffff91, v26
	v_cndmask_b32_e64 v95, v95, 0x6f, vcc_lo
	v_cndmask_b32_e32 v27, v105, v27, vcc_lo
	v_cndmask_b32_e64 v26, v26, 0xffffff92, vcc_lo
	v_lshl_add_u32 v106, 0x200000, v95, -1
	v_lshrrev_b32_e32 v105, v95, v27
	v_lshlrev_b32_e64 v108, v95, 0x100000
	v_and_b32_e32 v27, v106, v27
	v_bfe_u32 v107, v105, 21, 1
	v_cmp_eq_u32_e64 s16, v27, v108
	v_add_nc_u32_e32 v106, -1, v107
	v_lshrrev_b32_e32 v107, 23, v105
	v_cndmask_b32_e64 v27, 0, v106, s16
	v_add_nc_u32_e32 v106, v95, v26
	v_xor_b32_e32 v107, 1, v107
	s_mov_b32 s16, exec_lo
                                        ; implicit-def: $vgpr95
	v_add_nc_u32_e32 v27, v27, v105
	v_and_b32_e32 v26, 0x1fffff, v27
	v_add_nc_u32_e32 v105, v26, v105
	v_cmpx_ne_u32_e64 v106, v107
	s_xor_b32 s16, exec_lo, s16
; %bb.713:                              ;   in Loop: Header=BB4_358 Depth=4
	v_cmp_lt_u32_e32 vcc_lo, 0xffffff, v105
	v_sub_nc_u32_e32 v26, v106, v107
	v_cndmask_b32_e64 v27, 0, 1, vcc_lo
	v_add_co_ci_u32_e64 v95, null, 0, v26, vcc_lo
	v_lshrrev_b32_e32 v105, v27, v105
; %bb.714:                              ;   in Loop: Header=BB4_358 Depth=4
	s_andn2_saveexec_b32 s16, s16
; %bb.715:                              ;   in Loop: Header=BB4_358 Depth=4
	v_bfe_u32 v95, v105, 23, 1
; %bb.716:                              ;   in Loop: Header=BB4_358 Depth=4
	s_or_b32 exec_lo, exec_lo, s16
	v_lshrrev_b32_e32 v26, 21, v105
	v_min_i32_e32 v27, 31, v95
	v_cmp_gt_i32_e32 vcc_lo, 32, v95
	v_and_b32_sdwa v104, v104, v116 dst_sel:DWORD dst_unused:UNUSED_PAD src0_sel:BYTE_3 src1_sel:DWORD
	v_lshlrev_b32_e32 v27, 2, v27
	v_cndmask_b32_e32 v26, 3, v26, vcc_lo
	v_and_b32_e32 v27, 0xfc, v27
	v_and_b32_e32 v105, 3, v26
	v_or_b32_e32 v26, v95, v26
	v_or3_b32 v27, v104, v27, v105
	v_cmp_ne_u32_e32 vcc_lo, 0, v26
	v_lshlrev_b32_e32 v27, 8, v27
	v_cndmask_b32_e32 v95, 0, v27, vcc_lo
.LBB4_717:                              ;   in Loop: Header=BB4_358 Depth=4
	s_or_b32 exec_lo, exec_lo, s63
.LBB4_718:                              ;   in Loop: Header=BB4_358 Depth=4
	s_or_b32 exec_lo, exec_lo, s62
	v_and_b32_sdwa v105, v12, v119 dst_sel:DWORD dst_unused:UNUSED_PAD src0_sel:WORD_1 src1_sel:DWORD
	s_mov_b32 s16, 0
	s_mov_b32 s62, exec_lo
	v_cmpx_lt_i16_e32 0x7f, v105
	s_xor_b32 s62, exec_lo, s62
	s_cbranch_execz .LBB4_1068
; %bb.719:                              ;   in Loop: Header=BB4_358 Depth=4
	s_mov_b32 s16, -1
	s_mov_b32 s63, exec_lo
	v_cmpx_eq_u16_e32 0x80, v105
; %bb.720:                              ;   in Loop: Header=BB4_358 Depth=4
	s_xor_b32 s16, exec_lo, -1
; %bb.721:                              ;   in Loop: Header=BB4_358 Depth=4
	s_or_b32 exec_lo, exec_lo, s63
	s_and_b32 s16, s16, exec_lo
                                        ; implicit-def: $vgpr105
	s_or_saveexec_b32 s62, s62
	v_mov_b32_e32 v104, 0x7f800001
	s_xor_b32 exec_lo, exec_lo, s62
	s_cbranch_execnz .LBB4_1069
.LBB4_722:                              ;   in Loop: Header=BB4_358 Depth=4
	s_or_b32 exec_lo, exec_lo, s62
	s_and_saveexec_b32 s62, s16
	s_cbranch_execz .LBB4_724
.LBB4_723:                              ;   in Loop: Header=BB4_358 Depth=4
	v_bfe_u32 v26, v12, 16, 2
	v_bfe_u32 v105, v12, 18, 5
	v_lshlrev_b32_e32 v106, 8, v12
	v_ffbh_u32_e32 v27, v26
	v_cmp_eq_u32_e32 vcc_lo, 0, v105
	v_min_u32_e32 v27, 32, v27
	v_subrev_nc_u32_e32 v104, 29, v27
	v_sub_nc_u32_e32 v27, 30, v27
	v_lshlrev_b32_sdwa v104, v104, v12 dst_sel:DWORD dst_unused:UNUSED_PAD src0_sel:DWORD src1_sel:WORD_1
	v_cndmask_b32_e32 v27, v105, v27, vcc_lo
	v_and_b32_e32 v104, 3, v104
	v_lshl_add_u32 v27, v27, 23, 0x37800000
	v_cndmask_b32_e32 v26, v26, v104, vcc_lo
	v_and_b32_e32 v104, 0x80000000, v106
	v_lshlrev_b32_e32 v26, 21, v26
	v_or3_b32 v104, v104, v27, v26
.LBB4_724:                              ;   in Loop: Header=BB4_358 Depth=4
	s_or_b32 exec_lo, exec_lo, s62
	v_and_b32_sdwa v106, v8, v119 dst_sel:DWORD dst_unused:UNUSED_PAD src0_sel:WORD_1 src1_sel:DWORD
	s_mov_b32 s16, 0
	s_mov_b32 s62, exec_lo
	v_cmpx_lt_i16_e32 0x7f, v106
	s_xor_b32 s62, exec_lo, s62
	s_cbranch_execz .LBB4_1070
; %bb.725:                              ;   in Loop: Header=BB4_358 Depth=4
	s_mov_b32 s16, -1
	s_mov_b32 s63, exec_lo
	v_cmpx_eq_u16_e32 0x80, v106
; %bb.726:                              ;   in Loop: Header=BB4_358 Depth=4
	s_xor_b32 s16, exec_lo, -1
; %bb.727:                              ;   in Loop: Header=BB4_358 Depth=4
	s_or_b32 exec_lo, exec_lo, s63
	s_and_b32 s16, s16, exec_lo
                                        ; implicit-def: $vgpr106
	s_or_saveexec_b32 s62, s62
	v_mov_b32_e32 v105, 0x7f800001
	s_xor_b32 exec_lo, exec_lo, s62
	s_cbranch_execnz .LBB4_1071
.LBB4_728:                              ;   in Loop: Header=BB4_358 Depth=4
	s_or_b32 exec_lo, exec_lo, s62
	s_and_saveexec_b32 s62, s16
	s_cbranch_execz .LBB4_730
.LBB4_729:                              ;   in Loop: Header=BB4_358 Depth=4
	v_bfe_u32 v26, v8, 16, 2
	v_bfe_u32 v106, v8, 18, 5
	v_lshlrev_b32_e32 v107, 8, v8
	v_ffbh_u32_e32 v27, v26
	v_cmp_eq_u32_e32 vcc_lo, 0, v106
	v_min_u32_e32 v27, 32, v27
	v_subrev_nc_u32_e32 v105, 29, v27
	v_sub_nc_u32_e32 v27, 30, v27
	v_lshlrev_b32_sdwa v105, v105, v8 dst_sel:DWORD dst_unused:UNUSED_PAD src0_sel:DWORD src1_sel:WORD_1
	v_cndmask_b32_e32 v27, v106, v27, vcc_lo
	v_and_b32_e32 v105, 3, v105
	v_lshl_add_u32 v27, v27, 23, 0x37800000
	v_cndmask_b32_e32 v26, v26, v105, vcc_lo
	v_and_b32_e32 v105, 0x80000000, v107
	v_lshlrev_b32_e32 v26, 21, v26
	v_or3_b32 v105, v105, v27, v26
.LBB4_730:                              ;   in Loop: Header=BB4_358 Depth=4
	s_or_b32 exec_lo, exec_lo, s62
	v_mul_f32_e32 v105, v104, v105
	v_mov_b32_e32 v104, 0x80
	s_mov_b32 s62, exec_lo
	v_and_b32_e32 v26, 0x7f800000, v105
	v_cmpx_ne_u32_e32 0x7f800000, v26
	s_cbranch_execz .LBB4_738
; %bb.731:                              ;   in Loop: Header=BB4_358 Depth=4
	v_mov_b32_e32 v104, 0
	s_mov_b32 s63, exec_lo
	v_cmpx_ne_u32_e32 0, v105
	s_cbranch_execz .LBB4_737
; %bb.732:                              ;   in Loop: Header=BB4_358 Depth=4
	v_bfe_u32 v26, v105, 23, 8
	v_and_b32_e32 v27, 0x7fffff, v105
	v_sub_nc_u32_e32 v104, 0x70, v26
	v_cmp_gt_u32_e32 vcc_lo, 0x71, v26
	v_or_b32_e32 v106, 0x800000, v27
	v_cndmask_b32_e32 v104, 0, v104, vcc_lo
	v_cmp_eq_u32_e32 vcc_lo, 0, v26
	v_add_nc_u32_e32 v26, 0xffffff91, v26
	v_cndmask_b32_e64 v104, v104, 0x6f, vcc_lo
	v_cndmask_b32_e32 v27, v106, v27, vcc_lo
	v_cndmask_b32_e64 v26, v26, 0xffffff92, vcc_lo
	v_lshl_add_u32 v107, 0x200000, v104, -1
	v_lshrrev_b32_e32 v106, v104, v27
	v_lshlrev_b32_e64 v109, v104, 0x100000
	v_and_b32_e32 v27, v107, v27
	v_bfe_u32 v108, v106, 21, 1
	v_cmp_eq_u32_e64 s16, v27, v109
	v_add_nc_u32_e32 v107, -1, v108
	v_lshrrev_b32_e32 v108, 23, v106
	v_cndmask_b32_e64 v27, 0, v107, s16
	v_add_nc_u32_e32 v107, v104, v26
	v_xor_b32_e32 v108, 1, v108
	s_mov_b32 s16, exec_lo
                                        ; implicit-def: $vgpr104
	v_add_nc_u32_e32 v27, v27, v106
	v_and_b32_e32 v26, 0x1fffff, v27
	v_add_nc_u32_e32 v106, v26, v106
	v_cmpx_ne_u32_e64 v107, v108
	s_xor_b32 s16, exec_lo, s16
; %bb.733:                              ;   in Loop: Header=BB4_358 Depth=4
	v_cmp_lt_u32_e32 vcc_lo, 0xffffff, v106
	v_sub_nc_u32_e32 v26, v107, v108
	v_cndmask_b32_e64 v27, 0, 1, vcc_lo
	v_add_co_ci_u32_e64 v104, null, 0, v26, vcc_lo
	v_lshrrev_b32_e32 v106, v27, v106
; %bb.734:                              ;   in Loop: Header=BB4_358 Depth=4
	s_andn2_saveexec_b32 s16, s16
; %bb.735:                              ;   in Loop: Header=BB4_358 Depth=4
	v_bfe_u32 v104, v106, 23, 1
; %bb.736:                              ;   in Loop: Header=BB4_358 Depth=4
	s_or_b32 exec_lo, exec_lo, s16
	v_lshrrev_b32_e32 v26, 21, v106
	v_min_i32_e32 v27, 31, v104
	v_cmp_gt_i32_e32 vcc_lo, 32, v104
	v_and_b32_sdwa v105, v105, v116 dst_sel:DWORD dst_unused:UNUSED_PAD src0_sel:BYTE_3 src1_sel:DWORD
	v_lshlrev_b32_e32 v27, 2, v27
	v_cndmask_b32_e32 v26, 3, v26, vcc_lo
	v_and_b32_e32 v27, 0xfc, v27
	v_and_b32_e32 v106, 3, v26
	v_or_b32_e32 v26, v104, v26
	v_or3_b32 v27, v27, v105, v106
	v_cmp_ne_u32_e32 vcc_lo, 0, v26
	v_cndmask_b32_e32 v104, 0, v27, vcc_lo
.LBB4_737:                              ;   in Loop: Header=BB4_358 Depth=4
	s_or_b32 exec_lo, exec_lo, s63
.LBB4_738:                              ;   in Loop: Header=BB4_358 Depth=4
	s_or_b32 exec_lo, exec_lo, s62
	v_cmp_gt_i16_sdwa s62, v12, v115 src0_sel:BYTE_3 src1_sel:DWORD
	s_mov_b32 s16, 0
	s_and_saveexec_b32 s63, s62
	s_xor_b32 s62, exec_lo, s63
	s_cbranch_execz .LBB4_1072
; %bb.739:                              ;   in Loop: Header=BB4_358 Depth=4
	v_cmp_eq_u16_sdwa s72, v12, v116 src0_sel:BYTE_3 src1_sel:DWORD
	s_mov_b32 s16, -1
	s_and_saveexec_b32 s63, s72
; %bb.740:                              ;   in Loop: Header=BB4_358 Depth=4
	s_xor_b32 s16, exec_lo, -1
; %bb.741:                              ;   in Loop: Header=BB4_358 Depth=4
	s_or_b32 exec_lo, exec_lo, s63
	s_and_b32 s16, s16, exec_lo
	s_or_saveexec_b32 s62, s62
	v_mov_b32_e32 v105, 0x7f800001
	s_xor_b32 exec_lo, exec_lo, s62
	s_cbranch_execnz .LBB4_1073
.LBB4_742:                              ;   in Loop: Header=BB4_358 Depth=4
	s_or_b32 exec_lo, exec_lo, s62
	s_and_saveexec_b32 s62, s16
	s_cbranch_execz .LBB4_744
.LBB4_743:                              ;   in Loop: Header=BB4_358 Depth=4
	v_bfe_u32 v26, v12, 24, 2
	v_bfe_u32 v106, v12, 26, 5
	v_ffbh_u32_e32 v27, v26
	v_cmp_eq_u32_e32 vcc_lo, 0, v106
	v_min_u32_e32 v27, 32, v27
	v_subrev_nc_u32_e32 v105, 29, v27
	v_sub_nc_u32_e32 v27, 30, v27
	v_lshlrev_b32_sdwa v105, v105, v12 dst_sel:DWORD dst_unused:UNUSED_PAD src0_sel:DWORD src1_sel:BYTE_3
	v_cndmask_b32_e32 v27, v106, v27, vcc_lo
	v_and_b32_e32 v12, 0x80000000, v12
	v_and_b32_e32 v105, 3, v105
	v_lshl_add_u32 v27, v27, 23, 0x37800000
	v_cndmask_b32_e32 v26, v26, v105, vcc_lo
	v_lshlrev_b32_e32 v26, 21, v26
	v_or3_b32 v105, v12, v27, v26
.LBB4_744:                              ;   in Loop: Header=BB4_358 Depth=4
	s_or_b32 exec_lo, exec_lo, s62
	v_cmp_gt_i16_sdwa s62, v8, v115 src0_sel:BYTE_3 src1_sel:DWORD
	s_mov_b32 s16, 0
	s_and_saveexec_b32 s63, s62
	s_xor_b32 s62, exec_lo, s63
	s_cbranch_execz .LBB4_1074
; %bb.745:                              ;   in Loop: Header=BB4_358 Depth=4
	v_cmp_eq_u16_sdwa s72, v8, v116 src0_sel:BYTE_3 src1_sel:DWORD
	s_mov_b32 s16, -1
	s_and_saveexec_b32 s63, s72
; %bb.746:                              ;   in Loop: Header=BB4_358 Depth=4
	s_xor_b32 s16, exec_lo, -1
; %bb.747:                              ;   in Loop: Header=BB4_358 Depth=4
	s_or_b32 exec_lo, exec_lo, s63
	s_and_b32 s16, s16, exec_lo
	s_or_saveexec_b32 s62, s62
	v_mov_b32_e32 v12, 0x7f800001
	s_xor_b32 exec_lo, exec_lo, s62
	s_cbranch_execnz .LBB4_1075
.LBB4_748:                              ;   in Loop: Header=BB4_358 Depth=4
	s_or_b32 exec_lo, exec_lo, s62
	s_and_saveexec_b32 s62, s16
	s_cbranch_execz .LBB4_750
.LBB4_749:                              ;   in Loop: Header=BB4_358 Depth=4
	v_bfe_u32 v12, v8, 24, 2
	v_bfe_u32 v106, v8, 26, 5
	v_ffbh_u32_e32 v26, v12
	v_cmp_eq_u32_e32 vcc_lo, 0, v106
	v_min_u32_e32 v26, 32, v26
	v_subrev_nc_u32_e32 v27, 29, v26
	v_sub_nc_u32_e32 v26, 30, v26
	v_lshlrev_b32_sdwa v27, v27, v8 dst_sel:DWORD dst_unused:UNUSED_PAD src0_sel:DWORD src1_sel:BYTE_3
	v_cndmask_b32_e32 v26, v106, v26, vcc_lo
	v_and_b32_e32 v8, 0x80000000, v8
	v_and_b32_e32 v27, 3, v27
	v_lshl_add_u32 v26, v26, 23, 0x37800000
	v_cndmask_b32_e32 v12, v12, v27, vcc_lo
	v_lshlrev_b32_e32 v12, 21, v12
	v_or3_b32 v12, v8, v26, v12
.LBB4_750:                              ;   in Loop: Header=BB4_358 Depth=4
	s_or_b32 exec_lo, exec_lo, s62
	v_mul_f32_e32 v12, v105, v12
	v_and_b32_e32 v8, 0x7f800000, v12
	v_cmp_ne_u32_e32 vcc_lo, 0x7f800000, v8
	v_mov_b32_e32 v8, 0x8000
	s_and_saveexec_b32 s62, vcc_lo
	s_cbranch_execz .LBB4_758
; %bb.751:                              ;   in Loop: Header=BB4_358 Depth=4
	v_mov_b32_e32 v8, 0
	s_mov_b32 s63, exec_lo
	v_cmpx_ne_u32_e32 0, v12
	s_cbranch_execz .LBB4_757
; %bb.752:                              ;   in Loop: Header=BB4_358 Depth=4
	v_bfe_u32 v8, v12, 23, 8
	v_and_b32_e32 v26, 0x7fffff, v12
	v_sub_nc_u32_e32 v27, 0x70, v8
	v_cmp_gt_u32_e32 vcc_lo, 0x71, v8
	v_or_b32_e32 v105, 0x800000, v26
	v_cndmask_b32_e32 v27, 0, v27, vcc_lo
	v_cmp_eq_u32_e32 vcc_lo, 0, v8
	v_add_nc_u32_e32 v8, 0xffffff91, v8
	v_cndmask_b32_e64 v27, v27, 0x6f, vcc_lo
	v_cndmask_b32_e32 v26, v105, v26, vcc_lo
	v_cndmask_b32_e64 v8, v8, 0xffffff92, vcc_lo
	v_lshl_add_u32 v106, 0x200000, v27, -1
	v_lshrrev_b32_e32 v105, v27, v26
	v_lshlrev_b32_e64 v108, v27, 0x100000
	v_and_b32_e32 v26, v106, v26
	v_bfe_u32 v107, v105, 21, 1
	v_cmp_eq_u32_e64 s16, v26, v108
	v_add_nc_u32_e32 v106, -1, v107
	v_lshrrev_b32_e32 v107, 23, v105
	v_cndmask_b32_e64 v26, 0, v106, s16
	v_add_nc_u32_e32 v106, v27, v8
	v_xor_b32_e32 v107, 1, v107
	s_mov_b32 s16, exec_lo
	v_add_nc_u32_e32 v26, v26, v105
	v_and_b32_e32 v8, 0x1fffff, v26
	v_add_nc_u32_e32 v105, v8, v105
                                        ; implicit-def: $vgpr8
	v_cmpx_ne_u32_e64 v106, v107
	s_xor_b32 s16, exec_lo, s16
; %bb.753:                              ;   in Loop: Header=BB4_358 Depth=4
	v_cmp_lt_u32_e32 vcc_lo, 0xffffff, v105
	v_sub_nc_u32_e32 v8, v106, v107
	v_cndmask_b32_e64 v26, 0, 1, vcc_lo
	v_add_co_ci_u32_e64 v8, null, 0, v8, vcc_lo
	v_lshrrev_b32_e32 v105, v26, v105
; %bb.754:                              ;   in Loop: Header=BB4_358 Depth=4
	s_andn2_saveexec_b32 s16, s16
; %bb.755:                              ;   in Loop: Header=BB4_358 Depth=4
	v_bfe_u32 v8, v105, 23, 1
; %bb.756:                              ;   in Loop: Header=BB4_358 Depth=4
	s_or_b32 exec_lo, exec_lo, s16
	v_lshrrev_b32_e32 v26, 21, v105
	v_min_i32_e32 v27, 31, v8
	v_cmp_gt_i32_e32 vcc_lo, 32, v8
	v_and_b32_sdwa v12, v12, v116 dst_sel:DWORD dst_unused:UNUSED_PAD src0_sel:BYTE_3 src1_sel:DWORD
	v_lshlrev_b32_e32 v27, 2, v27
	v_cndmask_b32_e32 v26, 3, v26, vcc_lo
	v_and_b32_e32 v27, 0xfc, v27
	v_and_b32_e32 v105, 3, v26
	v_or_b32_e32 v8, v8, v26
	v_or3_b32 v12, v12, v27, v105
	v_cmp_ne_u32_e32 vcc_lo, 0, v8
	v_lshlrev_b32_e32 v12, 8, v12
	v_cndmask_b32_e32 v8, 0, v12, vcc_lo
.LBB4_757:                              ;   in Loop: Header=BB4_358 Depth=4
	s_or_b32 exec_lo, exec_lo, s63
.LBB4_758:                              ;   in Loop: Header=BB4_358 Depth=4
	s_or_b32 exec_lo, exec_lo, s62
	v_cmp_gt_i16_sdwa s62, v13, v115 src0_sel:BYTE_0 src1_sel:DWORD
	s_mov_b32 s16, 0
	s_and_saveexec_b32 s63, s62
	s_xor_b32 s62, exec_lo, s63
	s_cbranch_execz .LBB4_1076
; %bb.759:                              ;   in Loop: Header=BB4_358 Depth=4
	v_cmp_eq_u16_sdwa s72, v13, v116 src0_sel:BYTE_0 src1_sel:DWORD
	s_mov_b32 s16, -1
	s_and_saveexec_b32 s63, s72
; %bb.760:                              ;   in Loop: Header=BB4_358 Depth=4
	s_xor_b32 s16, exec_lo, -1
; %bb.761:                              ;   in Loop: Header=BB4_358 Depth=4
	s_or_b32 exec_lo, exec_lo, s63
	s_and_b32 s16, s16, exec_lo
	s_or_saveexec_b32 s62, s62
	v_mov_b32_e32 v12, 0x7f800001
	s_xor_b32 exec_lo, exec_lo, s62
	s_cbranch_execnz .LBB4_1077
.LBB4_762:                              ;   in Loop: Header=BB4_358 Depth=4
	s_or_b32 exec_lo, exec_lo, s62
	s_and_saveexec_b32 s62, s16
	s_cbranch_execz .LBB4_764
.LBB4_763:                              ;   in Loop: Header=BB4_358 Depth=4
	v_and_b32_e32 v12, 3, v13
	v_bfe_u32 v105, v13, 2, 5
	v_lshlrev_b32_e32 v106, 24, v13
	v_ffbh_u32_e32 v26, v12
	v_cmp_eq_u32_e32 vcc_lo, 0, v105
	v_min_u32_e32 v26, 32, v26
	v_subrev_nc_u32_e32 v27, 29, v26
	v_sub_nc_u32_e32 v26, 30, v26
	v_lshlrev_b32_e32 v27, v27, v13
	v_cndmask_b32_e32 v26, v105, v26, vcc_lo
	v_and_b32_e32 v27, 3, v27
	v_lshl_add_u32 v26, v26, 23, 0x37800000
	v_cndmask_b32_e32 v12, v12, v27, vcc_lo
	v_and_b32_e32 v27, 0x80000000, v106
	v_lshlrev_b32_e32 v12, 21, v12
	v_or3_b32 v12, v27, v26, v12
.LBB4_764:                              ;   in Loop: Header=BB4_358 Depth=4
	s_or_b32 exec_lo, exec_lo, s62
	v_cmp_gt_i16_sdwa s62, v9, v115 src0_sel:BYTE_0 src1_sel:DWORD
	s_mov_b32 s16, 0
	s_and_saveexec_b32 s63, s62
	s_xor_b32 s62, exec_lo, s63
	s_cbranch_execz .LBB4_1078
; %bb.765:                              ;   in Loop: Header=BB4_358 Depth=4
	v_cmp_eq_u16_sdwa s72, v9, v116 src0_sel:BYTE_0 src1_sel:DWORD
	s_mov_b32 s16, -1
	s_and_saveexec_b32 s63, s72
; %bb.766:                              ;   in Loop: Header=BB4_358 Depth=4
	s_xor_b32 s16, exec_lo, -1
; %bb.767:                              ;   in Loop: Header=BB4_358 Depth=4
	s_or_b32 exec_lo, exec_lo, s63
	s_and_b32 s16, s16, exec_lo
	s_or_saveexec_b32 s62, s62
	v_mov_b32_e32 v105, 0x7f800001
	s_xor_b32 exec_lo, exec_lo, s62
	s_cbranch_execnz .LBB4_1079
.LBB4_768:                              ;   in Loop: Header=BB4_358 Depth=4
	s_or_b32 exec_lo, exec_lo, s62
	s_and_saveexec_b32 s62, s16
	s_cbranch_execz .LBB4_770
.LBB4_769:                              ;   in Loop: Header=BB4_358 Depth=4
	v_and_b32_e32 v26, 3, v9
	v_bfe_u32 v106, v9, 2, 5
	v_lshlrev_b32_e32 v107, 24, v9
	v_ffbh_u32_e32 v27, v26
	v_cmp_eq_u32_e32 vcc_lo, 0, v106
	v_min_u32_e32 v27, 32, v27
	v_subrev_nc_u32_e32 v105, 29, v27
	v_sub_nc_u32_e32 v27, 30, v27
	v_lshlrev_b32_e32 v105, v105, v9
	v_cndmask_b32_e32 v27, v106, v27, vcc_lo
	v_and_b32_e32 v105, 3, v105
	v_lshl_add_u32 v27, v27, 23, 0x37800000
	v_cndmask_b32_e32 v26, v26, v105, vcc_lo
	v_and_b32_e32 v105, 0x80000000, v107
	v_lshlrev_b32_e32 v26, 21, v26
	v_or3_b32 v105, v105, v27, v26
.LBB4_770:                              ;   in Loop: Header=BB4_358 Depth=4
	s_or_b32 exec_lo, exec_lo, s62
	v_mul_f32_e32 v105, v12, v105
	v_and_b32_e32 v12, 0x7f800000, v105
	v_cmp_ne_u32_e32 vcc_lo, 0x7f800000, v12
	v_mov_b32_e32 v12, 0x80
	s_and_saveexec_b32 s62, vcc_lo
	s_cbranch_execz .LBB4_778
; %bb.771:                              ;   in Loop: Header=BB4_358 Depth=4
	v_mov_b32_e32 v12, 0
	s_mov_b32 s63, exec_lo
	v_cmpx_ne_u32_e32 0, v105
	s_cbranch_execz .LBB4_777
; %bb.772:                              ;   in Loop: Header=BB4_358 Depth=4
	v_bfe_u32 v12, v105, 23, 8
	v_and_b32_e32 v26, 0x7fffff, v105
	v_sub_nc_u32_e32 v27, 0x70, v12
	v_cmp_gt_u32_e32 vcc_lo, 0x71, v12
	v_or_b32_e32 v106, 0x800000, v26
	v_cndmask_b32_e32 v27, 0, v27, vcc_lo
	v_cmp_eq_u32_e32 vcc_lo, 0, v12
	v_add_nc_u32_e32 v12, 0xffffff91, v12
	v_cndmask_b32_e64 v27, v27, 0x6f, vcc_lo
	v_cndmask_b32_e32 v26, v106, v26, vcc_lo
	v_cndmask_b32_e64 v12, v12, 0xffffff92, vcc_lo
	v_lshl_add_u32 v107, 0x200000, v27, -1
	v_lshrrev_b32_e32 v106, v27, v26
	v_lshlrev_b32_e64 v109, v27, 0x100000
	v_and_b32_e32 v26, v107, v26
	v_bfe_u32 v108, v106, 21, 1
	v_cmp_eq_u32_e64 s16, v26, v109
	v_add_nc_u32_e32 v107, -1, v108
	v_lshrrev_b32_e32 v108, 23, v106
	v_cndmask_b32_e64 v26, 0, v107, s16
	v_add_nc_u32_e32 v107, v27, v12
	v_xor_b32_e32 v108, 1, v108
	s_mov_b32 s16, exec_lo
	v_add_nc_u32_e32 v26, v26, v106
	v_and_b32_e32 v12, 0x1fffff, v26
	v_add_nc_u32_e32 v106, v12, v106
                                        ; implicit-def: $vgpr12
	v_cmpx_ne_u32_e64 v107, v108
	s_xor_b32 s16, exec_lo, s16
; %bb.773:                              ;   in Loop: Header=BB4_358 Depth=4
	v_cmp_lt_u32_e32 vcc_lo, 0xffffff, v106
	v_sub_nc_u32_e32 v12, v107, v108
	v_cndmask_b32_e64 v26, 0, 1, vcc_lo
	v_add_co_ci_u32_e64 v12, null, 0, v12, vcc_lo
	v_lshrrev_b32_e32 v106, v26, v106
; %bb.774:                              ;   in Loop: Header=BB4_358 Depth=4
	s_andn2_saveexec_b32 s16, s16
; %bb.775:                              ;   in Loop: Header=BB4_358 Depth=4
	v_bfe_u32 v12, v106, 23, 1
; %bb.776:                              ;   in Loop: Header=BB4_358 Depth=4
	s_or_b32 exec_lo, exec_lo, s16
	v_lshrrev_b32_e32 v26, 21, v106
	v_min_i32_e32 v27, 31, v12
	v_cmp_gt_i32_e32 vcc_lo, 32, v12
	v_and_b32_sdwa v105, v105, v116 dst_sel:DWORD dst_unused:UNUSED_PAD src0_sel:BYTE_3 src1_sel:DWORD
	v_lshlrev_b32_e32 v27, 2, v27
	v_cndmask_b32_e32 v26, 3, v26, vcc_lo
	v_and_b32_e32 v27, 0xfc, v27
	v_and_b32_e32 v106, 3, v26
	v_or_b32_e32 v12, v12, v26
	v_or3_b32 v26, v27, v105, v106
	v_cmp_ne_u32_e32 vcc_lo, 0, v12
	v_cndmask_b32_e32 v12, 0, v26, vcc_lo
.LBB4_777:                              ;   in Loop: Header=BB4_358 Depth=4
	s_or_b32 exec_lo, exec_lo, s63
.LBB4_778:                              ;   in Loop: Header=BB4_358 Depth=4
	s_or_b32 exec_lo, exec_lo, s62
	v_cmp_gt_i16_sdwa s62, v13, v115 src0_sel:BYTE_1 src1_sel:DWORD
	s_mov_b32 s16, 0
	s_and_saveexec_b32 s63, s62
	s_xor_b32 s62, exec_lo, s63
	s_cbranch_execz .LBB4_1080
; %bb.779:                              ;   in Loop: Header=BB4_358 Depth=4
	v_cmp_eq_u16_sdwa s72, v13, v116 src0_sel:BYTE_1 src1_sel:DWORD
	s_mov_b32 s16, -1
	s_and_saveexec_b32 s63, s72
; %bb.780:                              ;   in Loop: Header=BB4_358 Depth=4
	s_xor_b32 s16, exec_lo, -1
; %bb.781:                              ;   in Loop: Header=BB4_358 Depth=4
	s_or_b32 exec_lo, exec_lo, s63
	s_and_b32 s16, s16, exec_lo
	s_or_saveexec_b32 s62, s62
	v_mov_b32_e32 v105, 0x7f800001
	s_xor_b32 exec_lo, exec_lo, s62
	s_cbranch_execnz .LBB4_1081
.LBB4_782:                              ;   in Loop: Header=BB4_358 Depth=4
	s_or_b32 exec_lo, exec_lo, s62
	s_and_saveexec_b32 s62, s16
	s_cbranch_execz .LBB4_784
.LBB4_783:                              ;   in Loop: Header=BB4_358 Depth=4
	v_and_b32_sdwa v26, v117, v13 dst_sel:DWORD dst_unused:UNUSED_PAD src0_sel:DWORD src1_sel:BYTE_1
	v_and_b32_e32 v27, 3, v26
	v_bfe_u32 v107, v26, 2, 5
	v_ffbh_u32_e32 v105, v27
	v_cmp_eq_u32_e32 vcc_lo, 0, v107
	v_min_u32_e32 v105, 32, v105
	v_subrev_nc_u32_e32 v106, 29, v105
	v_sub_nc_u32_e32 v105, 30, v105
	v_lshlrev_b32_e32 v26, v106, v26
	v_lshlrev_b32_sdwa v106, v118, v13 dst_sel:DWORD dst_unused:UNUSED_PAD src0_sel:DWORD src1_sel:BYTE_1
	v_cndmask_b32_e32 v105, v107, v105, vcc_lo
	v_and_b32_e32 v26, 3, v26
	v_lshl_add_u32 v105, v105, 23, 0x37800000
	v_cndmask_b32_e32 v26, v27, v26, vcc_lo
	v_and_b32_e32 v27, 0x80000000, v106
	v_lshlrev_b32_e32 v26, 21, v26
	v_or3_b32 v105, v27, v105, v26
.LBB4_784:                              ;   in Loop: Header=BB4_358 Depth=4
	s_or_b32 exec_lo, exec_lo, s62
	v_cmp_gt_i16_sdwa s62, v9, v115 src0_sel:BYTE_1 src1_sel:DWORD
	s_mov_b32 s16, 0
	s_and_saveexec_b32 s63, s62
	s_xor_b32 s62, exec_lo, s63
	s_cbranch_execz .LBB4_1082
; %bb.785:                              ;   in Loop: Header=BB4_358 Depth=4
	v_cmp_eq_u16_sdwa s72, v9, v116 src0_sel:BYTE_1 src1_sel:DWORD
	s_mov_b32 s16, -1
	s_and_saveexec_b32 s63, s72
; %bb.786:                              ;   in Loop: Header=BB4_358 Depth=4
	s_xor_b32 s16, exec_lo, -1
; %bb.787:                              ;   in Loop: Header=BB4_358 Depth=4
	s_or_b32 exec_lo, exec_lo, s63
	s_and_b32 s16, s16, exec_lo
	s_or_saveexec_b32 s62, s62
	v_mov_b32_e32 v106, 0x7f800001
	s_xor_b32 exec_lo, exec_lo, s62
	s_cbranch_execnz .LBB4_1083
.LBB4_788:                              ;   in Loop: Header=BB4_358 Depth=4
	s_or_b32 exec_lo, exec_lo, s62
	s_and_saveexec_b32 s62, s16
	s_cbranch_execz .LBB4_790
.LBB4_789:                              ;   in Loop: Header=BB4_358 Depth=4
	v_and_b32_sdwa v26, v117, v9 dst_sel:DWORD dst_unused:UNUSED_PAD src0_sel:DWORD src1_sel:BYTE_1
	v_and_b32_e32 v27, 3, v26
	v_bfe_u32 v108, v26, 2, 5
	v_ffbh_u32_e32 v106, v27
	v_cmp_eq_u32_e32 vcc_lo, 0, v108
	v_min_u32_e32 v106, 32, v106
	v_subrev_nc_u32_e32 v107, 29, v106
	v_sub_nc_u32_e32 v106, 30, v106
	v_lshlrev_b32_e32 v26, v107, v26
	v_lshlrev_b32_sdwa v107, v118, v9 dst_sel:DWORD dst_unused:UNUSED_PAD src0_sel:DWORD src1_sel:BYTE_1
	v_cndmask_b32_e32 v106, v108, v106, vcc_lo
	v_and_b32_e32 v26, 3, v26
	v_lshl_add_u32 v106, v106, 23, 0x37800000
	v_cndmask_b32_e32 v26, v27, v26, vcc_lo
	v_and_b32_e32 v27, 0x80000000, v107
	v_lshlrev_b32_e32 v26, 21, v26
	v_or3_b32 v106, v27, v106, v26
.LBB4_790:                              ;   in Loop: Header=BB4_358 Depth=4
	s_or_b32 exec_lo, exec_lo, s62
	v_mul_f32_e32 v106, v105, v106
	v_mov_b32_e32 v105, 0x8000
	s_mov_b32 s62, exec_lo
	v_and_b32_e32 v26, 0x7f800000, v106
	v_cmpx_ne_u32_e32 0x7f800000, v26
	s_cbranch_execz .LBB4_798
; %bb.791:                              ;   in Loop: Header=BB4_358 Depth=4
	v_mov_b32_e32 v105, 0
	s_mov_b32 s63, exec_lo
	v_cmpx_ne_u32_e32 0, v106
	s_cbranch_execz .LBB4_797
; %bb.792:                              ;   in Loop: Header=BB4_358 Depth=4
	v_bfe_u32 v26, v106, 23, 8
	v_and_b32_e32 v27, 0x7fffff, v106
	v_sub_nc_u32_e32 v105, 0x70, v26
	v_cmp_gt_u32_e32 vcc_lo, 0x71, v26
	v_or_b32_e32 v107, 0x800000, v27
	v_cndmask_b32_e32 v105, 0, v105, vcc_lo
	v_cmp_eq_u32_e32 vcc_lo, 0, v26
	v_add_nc_u32_e32 v26, 0xffffff91, v26
	v_cndmask_b32_e64 v105, v105, 0x6f, vcc_lo
	v_cndmask_b32_e32 v27, v107, v27, vcc_lo
	v_cndmask_b32_e64 v26, v26, 0xffffff92, vcc_lo
	v_lshl_add_u32 v108, 0x200000, v105, -1
	v_lshrrev_b32_e32 v107, v105, v27
	v_lshlrev_b32_e64 v110, v105, 0x100000
	v_and_b32_e32 v27, v108, v27
	v_bfe_u32 v109, v107, 21, 1
	v_cmp_eq_u32_e64 s16, v27, v110
	v_add_nc_u32_e32 v108, -1, v109
	v_lshrrev_b32_e32 v109, 23, v107
	v_cndmask_b32_e64 v27, 0, v108, s16
	v_add_nc_u32_e32 v108, v105, v26
	v_xor_b32_e32 v109, 1, v109
	s_mov_b32 s16, exec_lo
                                        ; implicit-def: $vgpr105
	v_add_nc_u32_e32 v27, v27, v107
	v_and_b32_e32 v26, 0x1fffff, v27
	v_add_nc_u32_e32 v107, v26, v107
	v_cmpx_ne_u32_e64 v108, v109
	s_xor_b32 s16, exec_lo, s16
; %bb.793:                              ;   in Loop: Header=BB4_358 Depth=4
	v_cmp_lt_u32_e32 vcc_lo, 0xffffff, v107
	v_sub_nc_u32_e32 v26, v108, v109
	v_cndmask_b32_e64 v27, 0, 1, vcc_lo
	v_add_co_ci_u32_e64 v105, null, 0, v26, vcc_lo
	v_lshrrev_b32_e32 v107, v27, v107
; %bb.794:                              ;   in Loop: Header=BB4_358 Depth=4
	s_andn2_saveexec_b32 s16, s16
; %bb.795:                              ;   in Loop: Header=BB4_358 Depth=4
	v_bfe_u32 v105, v107, 23, 1
; %bb.796:                              ;   in Loop: Header=BB4_358 Depth=4
	s_or_b32 exec_lo, exec_lo, s16
	v_lshrrev_b32_e32 v26, 21, v107
	v_min_i32_e32 v27, 31, v105
	v_cmp_gt_i32_e32 vcc_lo, 32, v105
	v_and_b32_sdwa v106, v106, v116 dst_sel:DWORD dst_unused:UNUSED_PAD src0_sel:BYTE_3 src1_sel:DWORD
	v_lshlrev_b32_e32 v27, 2, v27
	v_cndmask_b32_e32 v26, 3, v26, vcc_lo
	v_and_b32_e32 v27, 0xfc, v27
	v_and_b32_e32 v107, 3, v26
	v_or_b32_e32 v26, v105, v26
	v_or3_b32 v27, v106, v27, v107
	v_cmp_ne_u32_e32 vcc_lo, 0, v26
	v_lshlrev_b32_e32 v27, 8, v27
	v_cndmask_b32_e32 v105, 0, v27, vcc_lo
.LBB4_797:                              ;   in Loop: Header=BB4_358 Depth=4
	s_or_b32 exec_lo, exec_lo, s63
.LBB4_798:                              ;   in Loop: Header=BB4_358 Depth=4
	s_or_b32 exec_lo, exec_lo, s62
	v_and_b32_sdwa v107, v13, v119 dst_sel:DWORD dst_unused:UNUSED_PAD src0_sel:WORD_1 src1_sel:DWORD
	s_mov_b32 s16, 0
	s_mov_b32 s62, exec_lo
	v_cmpx_lt_i16_e32 0x7f, v107
	s_xor_b32 s62, exec_lo, s62
	s_cbranch_execz .LBB4_1084
; %bb.799:                              ;   in Loop: Header=BB4_358 Depth=4
	s_mov_b32 s16, -1
	s_mov_b32 s63, exec_lo
	v_cmpx_eq_u16_e32 0x80, v107
; %bb.800:                              ;   in Loop: Header=BB4_358 Depth=4
	s_xor_b32 s16, exec_lo, -1
; %bb.801:                              ;   in Loop: Header=BB4_358 Depth=4
	s_or_b32 exec_lo, exec_lo, s63
	s_and_b32 s16, s16, exec_lo
                                        ; implicit-def: $vgpr107
	s_or_saveexec_b32 s62, s62
	v_mov_b32_e32 v106, 0x7f800001
	s_xor_b32 exec_lo, exec_lo, s62
	s_cbranch_execnz .LBB4_1085
.LBB4_802:                              ;   in Loop: Header=BB4_358 Depth=4
	s_or_b32 exec_lo, exec_lo, s62
	s_and_saveexec_b32 s62, s16
	s_cbranch_execz .LBB4_804
.LBB4_803:                              ;   in Loop: Header=BB4_358 Depth=4
	v_bfe_u32 v26, v13, 16, 2
	v_bfe_u32 v107, v13, 18, 5
	v_lshlrev_b32_e32 v108, 8, v13
	v_ffbh_u32_e32 v27, v26
	v_cmp_eq_u32_e32 vcc_lo, 0, v107
	v_min_u32_e32 v27, 32, v27
	v_subrev_nc_u32_e32 v106, 29, v27
	v_sub_nc_u32_e32 v27, 30, v27
	v_lshlrev_b32_sdwa v106, v106, v13 dst_sel:DWORD dst_unused:UNUSED_PAD src0_sel:DWORD src1_sel:WORD_1
	v_cndmask_b32_e32 v27, v107, v27, vcc_lo
	v_and_b32_e32 v106, 3, v106
	v_lshl_add_u32 v27, v27, 23, 0x37800000
	v_cndmask_b32_e32 v26, v26, v106, vcc_lo
	v_and_b32_e32 v106, 0x80000000, v108
	v_lshlrev_b32_e32 v26, 21, v26
	v_or3_b32 v106, v106, v27, v26
.LBB4_804:                              ;   in Loop: Header=BB4_358 Depth=4
	s_or_b32 exec_lo, exec_lo, s62
	v_and_b32_sdwa v108, v9, v119 dst_sel:DWORD dst_unused:UNUSED_PAD src0_sel:WORD_1 src1_sel:DWORD
	s_mov_b32 s16, 0
	s_mov_b32 s62, exec_lo
	v_cmpx_lt_i16_e32 0x7f, v108
	s_xor_b32 s62, exec_lo, s62
	s_cbranch_execz .LBB4_1086
; %bb.805:                              ;   in Loop: Header=BB4_358 Depth=4
	s_mov_b32 s16, -1
	s_mov_b32 s63, exec_lo
	v_cmpx_eq_u16_e32 0x80, v108
; %bb.806:                              ;   in Loop: Header=BB4_358 Depth=4
	s_xor_b32 s16, exec_lo, -1
; %bb.807:                              ;   in Loop: Header=BB4_358 Depth=4
	s_or_b32 exec_lo, exec_lo, s63
	s_and_b32 s16, s16, exec_lo
                                        ; implicit-def: $vgpr108
	s_or_saveexec_b32 s62, s62
	v_mov_b32_e32 v107, 0x7f800001
	s_xor_b32 exec_lo, exec_lo, s62
	s_cbranch_execnz .LBB4_1087
.LBB4_808:                              ;   in Loop: Header=BB4_358 Depth=4
	s_or_b32 exec_lo, exec_lo, s62
	s_and_saveexec_b32 s62, s16
	s_cbranch_execz .LBB4_810
.LBB4_809:                              ;   in Loop: Header=BB4_358 Depth=4
	v_bfe_u32 v26, v9, 16, 2
	v_bfe_u32 v108, v9, 18, 5
	v_lshlrev_b32_e32 v109, 8, v9
	v_ffbh_u32_e32 v27, v26
	v_cmp_eq_u32_e32 vcc_lo, 0, v108
	v_min_u32_e32 v27, 32, v27
	v_subrev_nc_u32_e32 v107, 29, v27
	v_sub_nc_u32_e32 v27, 30, v27
	v_lshlrev_b32_sdwa v107, v107, v9 dst_sel:DWORD dst_unused:UNUSED_PAD src0_sel:DWORD src1_sel:WORD_1
	v_cndmask_b32_e32 v27, v108, v27, vcc_lo
	v_and_b32_e32 v107, 3, v107
	v_lshl_add_u32 v27, v27, 23, 0x37800000
	v_cndmask_b32_e32 v26, v26, v107, vcc_lo
	v_and_b32_e32 v107, 0x80000000, v109
	v_lshlrev_b32_e32 v26, 21, v26
	v_or3_b32 v107, v107, v27, v26
.LBB4_810:                              ;   in Loop: Header=BB4_358 Depth=4
	s_or_b32 exec_lo, exec_lo, s62
	v_mul_f32_e32 v107, v106, v107
	v_mov_b32_e32 v106, 0x80
	s_mov_b32 s62, exec_lo
	v_and_b32_e32 v26, 0x7f800000, v107
	v_cmpx_ne_u32_e32 0x7f800000, v26
	s_cbranch_execz .LBB4_818
; %bb.811:                              ;   in Loop: Header=BB4_358 Depth=4
	v_mov_b32_e32 v106, 0
	s_mov_b32 s63, exec_lo
	v_cmpx_ne_u32_e32 0, v107
	s_cbranch_execz .LBB4_817
; %bb.812:                              ;   in Loop: Header=BB4_358 Depth=4
	v_bfe_u32 v26, v107, 23, 8
	v_and_b32_e32 v27, 0x7fffff, v107
	v_sub_nc_u32_e32 v106, 0x70, v26
	v_cmp_gt_u32_e32 vcc_lo, 0x71, v26
	v_or_b32_e32 v108, 0x800000, v27
	v_cndmask_b32_e32 v106, 0, v106, vcc_lo
	v_cmp_eq_u32_e32 vcc_lo, 0, v26
	v_add_nc_u32_e32 v26, 0xffffff91, v26
	v_cndmask_b32_e64 v106, v106, 0x6f, vcc_lo
	v_cndmask_b32_e32 v27, v108, v27, vcc_lo
	v_cndmask_b32_e64 v26, v26, 0xffffff92, vcc_lo
	v_lshl_add_u32 v109, 0x200000, v106, -1
	v_lshrrev_b32_e32 v108, v106, v27
	v_lshlrev_b32_e64 v111, v106, 0x100000
	v_and_b32_e32 v27, v109, v27
	v_bfe_u32 v110, v108, 21, 1
	v_cmp_eq_u32_e64 s16, v27, v111
	v_add_nc_u32_e32 v109, -1, v110
	v_lshrrev_b32_e32 v110, 23, v108
	v_cndmask_b32_e64 v27, 0, v109, s16
	v_add_nc_u32_e32 v109, v106, v26
	v_xor_b32_e32 v110, 1, v110
	s_mov_b32 s16, exec_lo
                                        ; implicit-def: $vgpr106
	v_add_nc_u32_e32 v27, v27, v108
	v_and_b32_e32 v26, 0x1fffff, v27
	v_add_nc_u32_e32 v108, v26, v108
	v_cmpx_ne_u32_e64 v109, v110
	s_xor_b32 s16, exec_lo, s16
; %bb.813:                              ;   in Loop: Header=BB4_358 Depth=4
	v_cmp_lt_u32_e32 vcc_lo, 0xffffff, v108
	v_sub_nc_u32_e32 v26, v109, v110
	v_cndmask_b32_e64 v27, 0, 1, vcc_lo
	v_add_co_ci_u32_e64 v106, null, 0, v26, vcc_lo
	v_lshrrev_b32_e32 v108, v27, v108
; %bb.814:                              ;   in Loop: Header=BB4_358 Depth=4
	s_andn2_saveexec_b32 s16, s16
; %bb.815:                              ;   in Loop: Header=BB4_358 Depth=4
	v_bfe_u32 v106, v108, 23, 1
; %bb.816:                              ;   in Loop: Header=BB4_358 Depth=4
	s_or_b32 exec_lo, exec_lo, s16
	v_lshrrev_b32_e32 v26, 21, v108
	v_min_i32_e32 v27, 31, v106
	v_cmp_gt_i32_e32 vcc_lo, 32, v106
	v_and_b32_sdwa v107, v107, v116 dst_sel:DWORD dst_unused:UNUSED_PAD src0_sel:BYTE_3 src1_sel:DWORD
	v_lshlrev_b32_e32 v27, 2, v27
	v_cndmask_b32_e32 v26, 3, v26, vcc_lo
	v_and_b32_e32 v27, 0xfc, v27
	v_and_b32_e32 v108, 3, v26
	v_or_b32_e32 v26, v106, v26
	v_or3_b32 v27, v27, v107, v108
	v_cmp_ne_u32_e32 vcc_lo, 0, v26
	v_cndmask_b32_e32 v106, 0, v27, vcc_lo
.LBB4_817:                              ;   in Loop: Header=BB4_358 Depth=4
	s_or_b32 exec_lo, exec_lo, s63
.LBB4_818:                              ;   in Loop: Header=BB4_358 Depth=4
	s_or_b32 exec_lo, exec_lo, s62
	v_cmp_gt_i16_sdwa s62, v13, v115 src0_sel:BYTE_3 src1_sel:DWORD
	s_mov_b32 s16, 0
	s_and_saveexec_b32 s63, s62
	s_xor_b32 s62, exec_lo, s63
	s_cbranch_execz .LBB4_1088
; %bb.819:                              ;   in Loop: Header=BB4_358 Depth=4
	v_cmp_eq_u16_sdwa s72, v13, v116 src0_sel:BYTE_3 src1_sel:DWORD
	s_mov_b32 s16, -1
	s_and_saveexec_b32 s63, s72
; %bb.820:                              ;   in Loop: Header=BB4_358 Depth=4
	s_xor_b32 s16, exec_lo, -1
; %bb.821:                              ;   in Loop: Header=BB4_358 Depth=4
	s_or_b32 exec_lo, exec_lo, s63
	s_and_b32 s16, s16, exec_lo
	s_or_saveexec_b32 s62, s62
	v_mov_b32_e32 v107, 0x7f800001
	s_xor_b32 exec_lo, exec_lo, s62
	s_cbranch_execnz .LBB4_1089
.LBB4_822:                              ;   in Loop: Header=BB4_358 Depth=4
	s_or_b32 exec_lo, exec_lo, s62
	s_and_saveexec_b32 s62, s16
	s_cbranch_execz .LBB4_824
.LBB4_823:                              ;   in Loop: Header=BB4_358 Depth=4
	v_bfe_u32 v26, v13, 24, 2
	v_bfe_u32 v108, v13, 26, 5
	v_ffbh_u32_e32 v27, v26
	v_cmp_eq_u32_e32 vcc_lo, 0, v108
	v_min_u32_e32 v27, 32, v27
	v_subrev_nc_u32_e32 v107, 29, v27
	v_sub_nc_u32_e32 v27, 30, v27
	v_lshlrev_b32_sdwa v107, v107, v13 dst_sel:DWORD dst_unused:UNUSED_PAD src0_sel:DWORD src1_sel:BYTE_3
	v_cndmask_b32_e32 v27, v108, v27, vcc_lo
	v_and_b32_e32 v13, 0x80000000, v13
	v_and_b32_e32 v107, 3, v107
	v_lshl_add_u32 v27, v27, 23, 0x37800000
	v_cndmask_b32_e32 v26, v26, v107, vcc_lo
	v_lshlrev_b32_e32 v26, 21, v26
	v_or3_b32 v107, v13, v27, v26
.LBB4_824:                              ;   in Loop: Header=BB4_358 Depth=4
	s_or_b32 exec_lo, exec_lo, s62
	v_cmp_gt_i16_sdwa s62, v9, v115 src0_sel:BYTE_3 src1_sel:DWORD
	s_mov_b32 s16, 0
	s_and_saveexec_b32 s63, s62
	s_xor_b32 s62, exec_lo, s63
	s_cbranch_execz .LBB4_1090
; %bb.825:                              ;   in Loop: Header=BB4_358 Depth=4
	v_cmp_eq_u16_sdwa s72, v9, v116 src0_sel:BYTE_3 src1_sel:DWORD
	s_mov_b32 s16, -1
	s_and_saveexec_b32 s63, s72
; %bb.826:                              ;   in Loop: Header=BB4_358 Depth=4
	s_xor_b32 s16, exec_lo, -1
; %bb.827:                              ;   in Loop: Header=BB4_358 Depth=4
	s_or_b32 exec_lo, exec_lo, s63
	s_and_b32 s16, s16, exec_lo
	s_or_saveexec_b32 s62, s62
	v_mov_b32_e32 v13, 0x7f800001
	s_xor_b32 exec_lo, exec_lo, s62
	s_cbranch_execnz .LBB4_1091
.LBB4_828:                              ;   in Loop: Header=BB4_358 Depth=4
	s_or_b32 exec_lo, exec_lo, s62
	s_and_saveexec_b32 s62, s16
	s_cbranch_execz .LBB4_830
.LBB4_829:                              ;   in Loop: Header=BB4_358 Depth=4
	v_bfe_u32 v13, v9, 24, 2
	v_bfe_u32 v108, v9, 26, 5
	v_ffbh_u32_e32 v26, v13
	v_cmp_eq_u32_e32 vcc_lo, 0, v108
	v_min_u32_e32 v26, 32, v26
	v_subrev_nc_u32_e32 v27, 29, v26
	v_sub_nc_u32_e32 v26, 30, v26
	v_lshlrev_b32_sdwa v27, v27, v9 dst_sel:DWORD dst_unused:UNUSED_PAD src0_sel:DWORD src1_sel:BYTE_3
	v_cndmask_b32_e32 v26, v108, v26, vcc_lo
	v_and_b32_e32 v9, 0x80000000, v9
	v_and_b32_e32 v27, 3, v27
	v_lshl_add_u32 v26, v26, 23, 0x37800000
	v_cndmask_b32_e32 v13, v13, v27, vcc_lo
	v_lshlrev_b32_e32 v13, 21, v13
	v_or3_b32 v13, v9, v26, v13
.LBB4_830:                              ;   in Loop: Header=BB4_358 Depth=4
	s_or_b32 exec_lo, exec_lo, s62
	v_mul_f32_e32 v13, v107, v13
	v_and_b32_e32 v9, 0x7f800000, v13
	v_cmp_ne_u32_e32 vcc_lo, 0x7f800000, v9
	v_mov_b32_e32 v9, 0x8000
	s_and_saveexec_b32 s62, vcc_lo
	s_cbranch_execz .LBB4_838
; %bb.831:                              ;   in Loop: Header=BB4_358 Depth=4
	v_mov_b32_e32 v9, 0
	s_mov_b32 s63, exec_lo
	v_cmpx_ne_u32_e32 0, v13
	s_cbranch_execz .LBB4_837
; %bb.832:                              ;   in Loop: Header=BB4_358 Depth=4
	v_bfe_u32 v9, v13, 23, 8
	v_and_b32_e32 v26, 0x7fffff, v13
	v_sub_nc_u32_e32 v27, 0x70, v9
	v_cmp_gt_u32_e32 vcc_lo, 0x71, v9
	v_or_b32_e32 v107, 0x800000, v26
	v_cndmask_b32_e32 v27, 0, v27, vcc_lo
	v_cmp_eq_u32_e32 vcc_lo, 0, v9
	v_add_nc_u32_e32 v9, 0xffffff91, v9
	v_cndmask_b32_e64 v27, v27, 0x6f, vcc_lo
	v_cndmask_b32_e32 v26, v107, v26, vcc_lo
	v_cndmask_b32_e64 v9, v9, 0xffffff92, vcc_lo
	v_lshl_add_u32 v108, 0x200000, v27, -1
	v_lshrrev_b32_e32 v107, v27, v26
	v_lshlrev_b32_e64 v110, v27, 0x100000
	v_and_b32_e32 v26, v108, v26
	v_bfe_u32 v109, v107, 21, 1
	v_cmp_eq_u32_e64 s16, v26, v110
	v_add_nc_u32_e32 v108, -1, v109
	v_lshrrev_b32_e32 v109, 23, v107
	v_cndmask_b32_e64 v26, 0, v108, s16
	v_add_nc_u32_e32 v108, v27, v9
	v_xor_b32_e32 v109, 1, v109
	s_mov_b32 s16, exec_lo
	v_add_nc_u32_e32 v26, v26, v107
	v_and_b32_e32 v9, 0x1fffff, v26
	v_add_nc_u32_e32 v107, v9, v107
                                        ; implicit-def: $vgpr9
	v_cmpx_ne_u32_e64 v108, v109
	s_xor_b32 s16, exec_lo, s16
; %bb.833:                              ;   in Loop: Header=BB4_358 Depth=4
	v_cmp_lt_u32_e32 vcc_lo, 0xffffff, v107
	v_sub_nc_u32_e32 v9, v108, v109
	v_cndmask_b32_e64 v26, 0, 1, vcc_lo
	v_add_co_ci_u32_e64 v9, null, 0, v9, vcc_lo
	v_lshrrev_b32_e32 v107, v26, v107
; %bb.834:                              ;   in Loop: Header=BB4_358 Depth=4
	s_andn2_saveexec_b32 s16, s16
; %bb.835:                              ;   in Loop: Header=BB4_358 Depth=4
	v_bfe_u32 v9, v107, 23, 1
; %bb.836:                              ;   in Loop: Header=BB4_358 Depth=4
	s_or_b32 exec_lo, exec_lo, s16
	v_lshrrev_b32_e32 v26, 21, v107
	v_min_i32_e32 v27, 31, v9
	v_cmp_gt_i32_e32 vcc_lo, 32, v9
	v_and_b32_sdwa v13, v13, v116 dst_sel:DWORD dst_unused:UNUSED_PAD src0_sel:BYTE_3 src1_sel:DWORD
	v_lshlrev_b32_e32 v27, 2, v27
	v_cndmask_b32_e32 v26, 3, v26, vcc_lo
	v_and_b32_e32 v27, 0xfc, v27
	v_and_b32_e32 v107, 3, v26
	v_or_b32_e32 v9, v9, v26
	v_or3_b32 v13, v13, v27, v107
	v_cmp_ne_u32_e32 vcc_lo, 0, v9
	v_lshlrev_b32_e32 v13, 8, v13
	v_cndmask_b32_e32 v9, 0, v13, vcc_lo
.LBB4_837:                              ;   in Loop: Header=BB4_358 Depth=4
	s_or_b32 exec_lo, exec_lo, s63
.LBB4_838:                              ;   in Loop: Header=BB4_358 Depth=4
	s_or_b32 exec_lo, exec_lo, s62
	v_cmp_gt_i16_sdwa s62, v14, v115 src0_sel:BYTE_0 src1_sel:DWORD
	s_mov_b32 s16, 0
	s_and_saveexec_b32 s63, s62
	s_xor_b32 s62, exec_lo, s63
	s_cbranch_execz .LBB4_1092
; %bb.839:                              ;   in Loop: Header=BB4_358 Depth=4
	v_cmp_eq_u16_sdwa s72, v14, v116 src0_sel:BYTE_0 src1_sel:DWORD
	s_mov_b32 s16, -1
	s_and_saveexec_b32 s63, s72
; %bb.840:                              ;   in Loop: Header=BB4_358 Depth=4
	s_xor_b32 s16, exec_lo, -1
; %bb.841:                              ;   in Loop: Header=BB4_358 Depth=4
	s_or_b32 exec_lo, exec_lo, s63
	s_and_b32 s16, s16, exec_lo
	s_or_saveexec_b32 s62, s62
	v_mov_b32_e32 v13, 0x7f800001
	s_xor_b32 exec_lo, exec_lo, s62
	s_cbranch_execnz .LBB4_1093
.LBB4_842:                              ;   in Loop: Header=BB4_358 Depth=4
	s_or_b32 exec_lo, exec_lo, s62
	s_and_saveexec_b32 s62, s16
	s_cbranch_execz .LBB4_844
.LBB4_843:                              ;   in Loop: Header=BB4_358 Depth=4
	v_and_b32_e32 v13, 3, v14
	v_bfe_u32 v107, v14, 2, 5
	v_lshlrev_b32_e32 v108, 24, v14
	v_ffbh_u32_e32 v26, v13
	v_cmp_eq_u32_e32 vcc_lo, 0, v107
	v_min_u32_e32 v26, 32, v26
	v_subrev_nc_u32_e32 v27, 29, v26
	v_sub_nc_u32_e32 v26, 30, v26
	v_lshlrev_b32_e32 v27, v27, v14
	v_cndmask_b32_e32 v26, v107, v26, vcc_lo
	v_and_b32_e32 v27, 3, v27
	v_lshl_add_u32 v26, v26, 23, 0x37800000
	v_cndmask_b32_e32 v13, v13, v27, vcc_lo
	v_and_b32_e32 v27, 0x80000000, v108
	v_lshlrev_b32_e32 v13, 21, v13
	v_or3_b32 v13, v27, v26, v13
.LBB4_844:                              ;   in Loop: Header=BB4_358 Depth=4
	s_or_b32 exec_lo, exec_lo, s62
	v_cmp_gt_i16_sdwa s62, v10, v115 src0_sel:BYTE_0 src1_sel:DWORD
	s_mov_b32 s16, 0
	s_and_saveexec_b32 s63, s62
	s_xor_b32 s62, exec_lo, s63
	s_cbranch_execz .LBB4_1094
; %bb.845:                              ;   in Loop: Header=BB4_358 Depth=4
	v_cmp_eq_u16_sdwa s72, v10, v116 src0_sel:BYTE_0 src1_sel:DWORD
	s_mov_b32 s16, -1
	s_and_saveexec_b32 s63, s72
; %bb.846:                              ;   in Loop: Header=BB4_358 Depth=4
	s_xor_b32 s16, exec_lo, -1
; %bb.847:                              ;   in Loop: Header=BB4_358 Depth=4
	s_or_b32 exec_lo, exec_lo, s63
	s_and_b32 s16, s16, exec_lo
	s_or_saveexec_b32 s62, s62
	v_mov_b32_e32 v107, 0x7f800001
	s_xor_b32 exec_lo, exec_lo, s62
	s_cbranch_execnz .LBB4_1095
.LBB4_848:                              ;   in Loop: Header=BB4_358 Depth=4
	s_or_b32 exec_lo, exec_lo, s62
	s_and_saveexec_b32 s62, s16
	s_cbranch_execz .LBB4_850
.LBB4_849:                              ;   in Loop: Header=BB4_358 Depth=4
	v_and_b32_e32 v26, 3, v10
	v_bfe_u32 v108, v10, 2, 5
	v_lshlrev_b32_e32 v109, 24, v10
	v_ffbh_u32_e32 v27, v26
	v_cmp_eq_u32_e32 vcc_lo, 0, v108
	v_min_u32_e32 v27, 32, v27
	v_subrev_nc_u32_e32 v107, 29, v27
	v_sub_nc_u32_e32 v27, 30, v27
	v_lshlrev_b32_e32 v107, v107, v10
	v_cndmask_b32_e32 v27, v108, v27, vcc_lo
	v_and_b32_e32 v107, 3, v107
	v_lshl_add_u32 v27, v27, 23, 0x37800000
	v_cndmask_b32_e32 v26, v26, v107, vcc_lo
	v_and_b32_e32 v107, 0x80000000, v109
	v_lshlrev_b32_e32 v26, 21, v26
	v_or3_b32 v107, v107, v27, v26
.LBB4_850:                              ;   in Loop: Header=BB4_358 Depth=4
	s_or_b32 exec_lo, exec_lo, s62
	v_mul_f32_e32 v107, v13, v107
	v_and_b32_e32 v13, 0x7f800000, v107
	v_cmp_ne_u32_e32 vcc_lo, 0x7f800000, v13
	v_mov_b32_e32 v13, 0x80
	s_and_saveexec_b32 s62, vcc_lo
	s_cbranch_execz .LBB4_858
; %bb.851:                              ;   in Loop: Header=BB4_358 Depth=4
	v_mov_b32_e32 v13, 0
	s_mov_b32 s63, exec_lo
	v_cmpx_ne_u32_e32 0, v107
	s_cbranch_execz .LBB4_857
; %bb.852:                              ;   in Loop: Header=BB4_358 Depth=4
	v_bfe_u32 v13, v107, 23, 8
	v_and_b32_e32 v26, 0x7fffff, v107
	v_sub_nc_u32_e32 v27, 0x70, v13
	v_cmp_gt_u32_e32 vcc_lo, 0x71, v13
	v_or_b32_e32 v108, 0x800000, v26
	v_cndmask_b32_e32 v27, 0, v27, vcc_lo
	v_cmp_eq_u32_e32 vcc_lo, 0, v13
	v_add_nc_u32_e32 v13, 0xffffff91, v13
	v_cndmask_b32_e64 v27, v27, 0x6f, vcc_lo
	v_cndmask_b32_e32 v26, v108, v26, vcc_lo
	v_cndmask_b32_e64 v13, v13, 0xffffff92, vcc_lo
	v_lshl_add_u32 v109, 0x200000, v27, -1
	v_lshrrev_b32_e32 v108, v27, v26
	v_lshlrev_b32_e64 v111, v27, 0x100000
	v_and_b32_e32 v26, v109, v26
	v_bfe_u32 v110, v108, 21, 1
	v_cmp_eq_u32_e64 s16, v26, v111
	v_add_nc_u32_e32 v109, -1, v110
	v_lshrrev_b32_e32 v110, 23, v108
	v_cndmask_b32_e64 v26, 0, v109, s16
	v_add_nc_u32_e32 v109, v27, v13
	v_xor_b32_e32 v110, 1, v110
	s_mov_b32 s16, exec_lo
	v_add_nc_u32_e32 v26, v26, v108
	v_and_b32_e32 v13, 0x1fffff, v26
	v_add_nc_u32_e32 v108, v13, v108
                                        ; implicit-def: $vgpr13
	v_cmpx_ne_u32_e64 v109, v110
	s_xor_b32 s16, exec_lo, s16
; %bb.853:                              ;   in Loop: Header=BB4_358 Depth=4
	v_cmp_lt_u32_e32 vcc_lo, 0xffffff, v108
	v_sub_nc_u32_e32 v13, v109, v110
	v_cndmask_b32_e64 v26, 0, 1, vcc_lo
	v_add_co_ci_u32_e64 v13, null, 0, v13, vcc_lo
	v_lshrrev_b32_e32 v108, v26, v108
; %bb.854:                              ;   in Loop: Header=BB4_358 Depth=4
	s_andn2_saveexec_b32 s16, s16
; %bb.855:                              ;   in Loop: Header=BB4_358 Depth=4
	v_bfe_u32 v13, v108, 23, 1
; %bb.856:                              ;   in Loop: Header=BB4_358 Depth=4
	s_or_b32 exec_lo, exec_lo, s16
	v_lshrrev_b32_e32 v26, 21, v108
	v_min_i32_e32 v27, 31, v13
	v_cmp_gt_i32_e32 vcc_lo, 32, v13
	v_and_b32_sdwa v107, v107, v116 dst_sel:DWORD dst_unused:UNUSED_PAD src0_sel:BYTE_3 src1_sel:DWORD
	v_lshlrev_b32_e32 v27, 2, v27
	v_cndmask_b32_e32 v26, 3, v26, vcc_lo
	v_and_b32_e32 v27, 0xfc, v27
	v_and_b32_e32 v108, 3, v26
	v_or_b32_e32 v13, v13, v26
	v_or3_b32 v26, v27, v107, v108
	v_cmp_ne_u32_e32 vcc_lo, 0, v13
	v_cndmask_b32_e32 v13, 0, v26, vcc_lo
.LBB4_857:                              ;   in Loop: Header=BB4_358 Depth=4
	s_or_b32 exec_lo, exec_lo, s63
.LBB4_858:                              ;   in Loop: Header=BB4_358 Depth=4
	s_or_b32 exec_lo, exec_lo, s62
	v_cmp_gt_i16_sdwa s62, v14, v115 src0_sel:BYTE_1 src1_sel:DWORD
	s_mov_b32 s16, 0
	s_and_saveexec_b32 s63, s62
	s_xor_b32 s62, exec_lo, s63
	s_cbranch_execz .LBB4_1096
; %bb.859:                              ;   in Loop: Header=BB4_358 Depth=4
	v_cmp_eq_u16_sdwa s72, v14, v116 src0_sel:BYTE_1 src1_sel:DWORD
	s_mov_b32 s16, -1
	s_and_saveexec_b32 s63, s72
; %bb.860:                              ;   in Loop: Header=BB4_358 Depth=4
	s_xor_b32 s16, exec_lo, -1
; %bb.861:                              ;   in Loop: Header=BB4_358 Depth=4
	s_or_b32 exec_lo, exec_lo, s63
	s_and_b32 s16, s16, exec_lo
	s_or_saveexec_b32 s62, s62
	v_mov_b32_e32 v107, 0x7f800001
	s_xor_b32 exec_lo, exec_lo, s62
	s_cbranch_execnz .LBB4_1097
.LBB4_862:                              ;   in Loop: Header=BB4_358 Depth=4
	s_or_b32 exec_lo, exec_lo, s62
	s_and_saveexec_b32 s62, s16
	s_cbranch_execz .LBB4_864
.LBB4_863:                              ;   in Loop: Header=BB4_358 Depth=4
	v_and_b32_sdwa v26, v117, v14 dst_sel:DWORD dst_unused:UNUSED_PAD src0_sel:DWORD src1_sel:BYTE_1
	v_and_b32_e32 v27, 3, v26
	v_bfe_u32 v109, v26, 2, 5
	v_ffbh_u32_e32 v107, v27
	v_cmp_eq_u32_e32 vcc_lo, 0, v109
	v_min_u32_e32 v107, 32, v107
	v_subrev_nc_u32_e32 v108, 29, v107
	v_sub_nc_u32_e32 v107, 30, v107
	v_lshlrev_b32_e32 v26, v108, v26
	v_lshlrev_b32_sdwa v108, v118, v14 dst_sel:DWORD dst_unused:UNUSED_PAD src0_sel:DWORD src1_sel:BYTE_1
	v_cndmask_b32_e32 v107, v109, v107, vcc_lo
	v_and_b32_e32 v26, 3, v26
	v_lshl_add_u32 v107, v107, 23, 0x37800000
	v_cndmask_b32_e32 v26, v27, v26, vcc_lo
	v_and_b32_e32 v27, 0x80000000, v108
	v_lshlrev_b32_e32 v26, 21, v26
	v_or3_b32 v107, v27, v107, v26
.LBB4_864:                              ;   in Loop: Header=BB4_358 Depth=4
	s_or_b32 exec_lo, exec_lo, s62
	v_cmp_gt_i16_sdwa s62, v10, v115 src0_sel:BYTE_1 src1_sel:DWORD
	s_mov_b32 s16, 0
	s_and_saveexec_b32 s63, s62
	s_xor_b32 s62, exec_lo, s63
	s_cbranch_execz .LBB4_1098
; %bb.865:                              ;   in Loop: Header=BB4_358 Depth=4
	v_cmp_eq_u16_sdwa s72, v10, v116 src0_sel:BYTE_1 src1_sel:DWORD
	s_mov_b32 s16, -1
	s_and_saveexec_b32 s63, s72
; %bb.866:                              ;   in Loop: Header=BB4_358 Depth=4
	s_xor_b32 s16, exec_lo, -1
; %bb.867:                              ;   in Loop: Header=BB4_358 Depth=4
	s_or_b32 exec_lo, exec_lo, s63
	s_and_b32 s16, s16, exec_lo
	s_or_saveexec_b32 s62, s62
	v_mov_b32_e32 v108, 0x7f800001
	s_xor_b32 exec_lo, exec_lo, s62
	s_cbranch_execnz .LBB4_1099
.LBB4_868:                              ;   in Loop: Header=BB4_358 Depth=4
	s_or_b32 exec_lo, exec_lo, s62
	s_and_saveexec_b32 s62, s16
	s_cbranch_execz .LBB4_870
.LBB4_869:                              ;   in Loop: Header=BB4_358 Depth=4
	v_and_b32_sdwa v26, v117, v10 dst_sel:DWORD dst_unused:UNUSED_PAD src0_sel:DWORD src1_sel:BYTE_1
	v_and_b32_e32 v27, 3, v26
	v_bfe_u32 v110, v26, 2, 5
	v_ffbh_u32_e32 v108, v27
	v_cmp_eq_u32_e32 vcc_lo, 0, v110
	v_min_u32_e32 v108, 32, v108
	v_subrev_nc_u32_e32 v109, 29, v108
	v_sub_nc_u32_e32 v108, 30, v108
	v_lshlrev_b32_e32 v26, v109, v26
	v_lshlrev_b32_sdwa v109, v118, v10 dst_sel:DWORD dst_unused:UNUSED_PAD src0_sel:DWORD src1_sel:BYTE_1
	v_cndmask_b32_e32 v108, v110, v108, vcc_lo
	v_and_b32_e32 v26, 3, v26
	v_lshl_add_u32 v108, v108, 23, 0x37800000
	v_cndmask_b32_e32 v26, v27, v26, vcc_lo
	v_and_b32_e32 v27, 0x80000000, v109
	v_lshlrev_b32_e32 v26, 21, v26
	v_or3_b32 v108, v27, v108, v26
.LBB4_870:                              ;   in Loop: Header=BB4_358 Depth=4
	s_or_b32 exec_lo, exec_lo, s62
	v_mul_f32_e32 v108, v107, v108
	v_mov_b32_e32 v107, 0x8000
	s_mov_b32 s62, exec_lo
	v_and_b32_e32 v26, 0x7f800000, v108
	v_cmpx_ne_u32_e32 0x7f800000, v26
	s_cbranch_execz .LBB4_878
; %bb.871:                              ;   in Loop: Header=BB4_358 Depth=4
	v_mov_b32_e32 v107, 0
	s_mov_b32 s63, exec_lo
	v_cmpx_ne_u32_e32 0, v108
	s_cbranch_execz .LBB4_877
; %bb.872:                              ;   in Loop: Header=BB4_358 Depth=4
	v_bfe_u32 v26, v108, 23, 8
	v_and_b32_e32 v27, 0x7fffff, v108
	v_sub_nc_u32_e32 v107, 0x70, v26
	v_cmp_gt_u32_e32 vcc_lo, 0x71, v26
	v_or_b32_e32 v109, 0x800000, v27
	v_cndmask_b32_e32 v107, 0, v107, vcc_lo
	v_cmp_eq_u32_e32 vcc_lo, 0, v26
	v_add_nc_u32_e32 v26, 0xffffff91, v26
	v_cndmask_b32_e64 v107, v107, 0x6f, vcc_lo
	v_cndmask_b32_e32 v27, v109, v27, vcc_lo
	v_cndmask_b32_e64 v26, v26, 0xffffff92, vcc_lo
	v_lshl_add_u32 v110, 0x200000, v107, -1
	v_lshrrev_b32_e32 v109, v107, v27
	v_lshlrev_b32_e64 v120, v107, 0x100000
	v_and_b32_e32 v27, v110, v27
	v_bfe_u32 v111, v109, 21, 1
	v_cmp_eq_u32_e64 s16, v27, v120
	v_add_nc_u32_e32 v110, -1, v111
	v_lshrrev_b32_e32 v111, 23, v109
	v_cndmask_b32_e64 v27, 0, v110, s16
	v_add_nc_u32_e32 v110, v107, v26
	v_xor_b32_e32 v111, 1, v111
	s_mov_b32 s16, exec_lo
                                        ; implicit-def: $vgpr107
	v_add_nc_u32_e32 v27, v27, v109
	v_and_b32_e32 v26, 0x1fffff, v27
	v_add_nc_u32_e32 v109, v26, v109
	v_cmpx_ne_u32_e64 v110, v111
	s_xor_b32 s16, exec_lo, s16
; %bb.873:                              ;   in Loop: Header=BB4_358 Depth=4
	v_cmp_lt_u32_e32 vcc_lo, 0xffffff, v109
	v_sub_nc_u32_e32 v26, v110, v111
	v_cndmask_b32_e64 v27, 0, 1, vcc_lo
	v_add_co_ci_u32_e64 v107, null, 0, v26, vcc_lo
	v_lshrrev_b32_e32 v109, v27, v109
; %bb.874:                              ;   in Loop: Header=BB4_358 Depth=4
	s_andn2_saveexec_b32 s16, s16
; %bb.875:                              ;   in Loop: Header=BB4_358 Depth=4
	v_bfe_u32 v107, v109, 23, 1
; %bb.876:                              ;   in Loop: Header=BB4_358 Depth=4
	s_or_b32 exec_lo, exec_lo, s16
	v_lshrrev_b32_e32 v26, 21, v109
	v_min_i32_e32 v27, 31, v107
	v_cmp_gt_i32_e32 vcc_lo, 32, v107
	v_and_b32_sdwa v108, v108, v116 dst_sel:DWORD dst_unused:UNUSED_PAD src0_sel:BYTE_3 src1_sel:DWORD
	v_lshlrev_b32_e32 v27, 2, v27
	v_cndmask_b32_e32 v26, 3, v26, vcc_lo
	v_and_b32_e32 v27, 0xfc, v27
	v_and_b32_e32 v109, 3, v26
	v_or_b32_e32 v26, v107, v26
	v_or3_b32 v27, v108, v27, v109
	v_cmp_ne_u32_e32 vcc_lo, 0, v26
	v_lshlrev_b32_e32 v27, 8, v27
	v_cndmask_b32_e32 v107, 0, v27, vcc_lo
.LBB4_877:                              ;   in Loop: Header=BB4_358 Depth=4
	s_or_b32 exec_lo, exec_lo, s63
.LBB4_878:                              ;   in Loop: Header=BB4_358 Depth=4
	s_or_b32 exec_lo, exec_lo, s62
	v_and_b32_sdwa v109, v14, v119 dst_sel:DWORD dst_unused:UNUSED_PAD src0_sel:WORD_1 src1_sel:DWORD
	s_mov_b32 s16, 0
	s_mov_b32 s62, exec_lo
	v_cmpx_lt_i16_e32 0x7f, v109
	s_xor_b32 s62, exec_lo, s62
	s_cbranch_execz .LBB4_1100
; %bb.879:                              ;   in Loop: Header=BB4_358 Depth=4
	s_mov_b32 s16, -1
	s_mov_b32 s63, exec_lo
	v_cmpx_eq_u16_e32 0x80, v109
; %bb.880:                              ;   in Loop: Header=BB4_358 Depth=4
	s_xor_b32 s16, exec_lo, -1
; %bb.881:                              ;   in Loop: Header=BB4_358 Depth=4
	s_or_b32 exec_lo, exec_lo, s63
	s_and_b32 s16, s16, exec_lo
                                        ; implicit-def: $vgpr109
	s_or_saveexec_b32 s62, s62
	v_mov_b32_e32 v108, 0x7f800001
	s_xor_b32 exec_lo, exec_lo, s62
	s_cbranch_execnz .LBB4_1101
.LBB4_882:                              ;   in Loop: Header=BB4_358 Depth=4
	s_or_b32 exec_lo, exec_lo, s62
	s_and_saveexec_b32 s62, s16
	s_cbranch_execz .LBB4_884
.LBB4_883:                              ;   in Loop: Header=BB4_358 Depth=4
	v_bfe_u32 v26, v14, 16, 2
	v_bfe_u32 v109, v14, 18, 5
	v_lshlrev_b32_e32 v110, 8, v14
	v_ffbh_u32_e32 v27, v26
	v_cmp_eq_u32_e32 vcc_lo, 0, v109
	v_min_u32_e32 v27, 32, v27
	v_subrev_nc_u32_e32 v108, 29, v27
	v_sub_nc_u32_e32 v27, 30, v27
	v_lshlrev_b32_sdwa v108, v108, v14 dst_sel:DWORD dst_unused:UNUSED_PAD src0_sel:DWORD src1_sel:WORD_1
	v_cndmask_b32_e32 v27, v109, v27, vcc_lo
	v_and_b32_e32 v108, 3, v108
	v_lshl_add_u32 v27, v27, 23, 0x37800000
	v_cndmask_b32_e32 v26, v26, v108, vcc_lo
	v_and_b32_e32 v108, 0x80000000, v110
	v_lshlrev_b32_e32 v26, 21, v26
	v_or3_b32 v108, v108, v27, v26
.LBB4_884:                              ;   in Loop: Header=BB4_358 Depth=4
	s_or_b32 exec_lo, exec_lo, s62
	v_and_b32_sdwa v110, v10, v119 dst_sel:DWORD dst_unused:UNUSED_PAD src0_sel:WORD_1 src1_sel:DWORD
	s_mov_b32 s16, 0
	s_mov_b32 s62, exec_lo
	v_cmpx_lt_i16_e32 0x7f, v110
	s_xor_b32 s62, exec_lo, s62
	s_cbranch_execz .LBB4_1102
; %bb.885:                              ;   in Loop: Header=BB4_358 Depth=4
	s_mov_b32 s16, -1
	s_mov_b32 s63, exec_lo
	v_cmpx_eq_u16_e32 0x80, v110
; %bb.886:                              ;   in Loop: Header=BB4_358 Depth=4
	s_xor_b32 s16, exec_lo, -1
; %bb.887:                              ;   in Loop: Header=BB4_358 Depth=4
	s_or_b32 exec_lo, exec_lo, s63
	s_and_b32 s16, s16, exec_lo
                                        ; implicit-def: $vgpr110
	s_or_saveexec_b32 s62, s62
	v_mov_b32_e32 v109, 0x7f800001
	s_xor_b32 exec_lo, exec_lo, s62
	s_cbranch_execnz .LBB4_1103
.LBB4_888:                              ;   in Loop: Header=BB4_358 Depth=4
	s_or_b32 exec_lo, exec_lo, s62
	s_and_saveexec_b32 s62, s16
	s_cbranch_execz .LBB4_890
.LBB4_889:                              ;   in Loop: Header=BB4_358 Depth=4
	v_bfe_u32 v26, v10, 16, 2
	v_bfe_u32 v110, v10, 18, 5
	v_lshlrev_b32_e32 v111, 8, v10
	v_ffbh_u32_e32 v27, v26
	v_cmp_eq_u32_e32 vcc_lo, 0, v110
	v_min_u32_e32 v27, 32, v27
	v_subrev_nc_u32_e32 v109, 29, v27
	v_sub_nc_u32_e32 v27, 30, v27
	v_lshlrev_b32_sdwa v109, v109, v10 dst_sel:DWORD dst_unused:UNUSED_PAD src0_sel:DWORD src1_sel:WORD_1
	v_cndmask_b32_e32 v27, v110, v27, vcc_lo
	v_and_b32_e32 v109, 3, v109
	v_lshl_add_u32 v27, v27, 23, 0x37800000
	v_cndmask_b32_e32 v26, v26, v109, vcc_lo
	v_and_b32_e32 v109, 0x80000000, v111
	v_lshlrev_b32_e32 v26, 21, v26
	v_or3_b32 v109, v109, v27, v26
.LBB4_890:                              ;   in Loop: Header=BB4_358 Depth=4
	s_or_b32 exec_lo, exec_lo, s62
	v_mul_f32_e32 v109, v108, v109
	v_mov_b32_e32 v108, 0x80
	s_mov_b32 s62, exec_lo
	v_and_b32_e32 v26, 0x7f800000, v109
	v_cmpx_ne_u32_e32 0x7f800000, v26
	s_cbranch_execz .LBB4_898
; %bb.891:                              ;   in Loop: Header=BB4_358 Depth=4
	v_mov_b32_e32 v108, 0
	s_mov_b32 s63, exec_lo
	v_cmpx_ne_u32_e32 0, v109
	s_cbranch_execz .LBB4_897
; %bb.892:                              ;   in Loop: Header=BB4_358 Depth=4
	v_bfe_u32 v26, v109, 23, 8
	v_and_b32_e32 v27, 0x7fffff, v109
	v_sub_nc_u32_e32 v108, 0x70, v26
	v_cmp_gt_u32_e32 vcc_lo, 0x71, v26
	v_or_b32_e32 v110, 0x800000, v27
	v_cndmask_b32_e32 v108, 0, v108, vcc_lo
	v_cmp_eq_u32_e32 vcc_lo, 0, v26
	v_add_nc_u32_e32 v26, 0xffffff91, v26
	v_cndmask_b32_e64 v108, v108, 0x6f, vcc_lo
	v_cndmask_b32_e32 v27, v110, v27, vcc_lo
	v_cndmask_b32_e64 v26, v26, 0xffffff92, vcc_lo
	v_lshl_add_u32 v111, 0x200000, v108, -1
	v_lshrrev_b32_e32 v110, v108, v27
	v_lshlrev_b32_e64 v121, v108, 0x100000
	v_and_b32_e32 v27, v111, v27
	v_bfe_u32 v120, v110, 21, 1
	v_cmp_eq_u32_e64 s16, v27, v121
	v_add_nc_u32_e32 v111, -1, v120
	v_lshrrev_b32_e32 v120, 23, v110
	v_cndmask_b32_e64 v27, 0, v111, s16
	v_add_nc_u32_e32 v111, v108, v26
	v_xor_b32_e32 v120, 1, v120
	s_mov_b32 s16, exec_lo
                                        ; implicit-def: $vgpr108
	v_add_nc_u32_e32 v27, v27, v110
	v_and_b32_e32 v26, 0x1fffff, v27
	v_add_nc_u32_e32 v110, v26, v110
	v_cmpx_ne_u32_e64 v111, v120
	s_xor_b32 s16, exec_lo, s16
; %bb.893:                              ;   in Loop: Header=BB4_358 Depth=4
	v_cmp_lt_u32_e32 vcc_lo, 0xffffff, v110
	v_sub_nc_u32_e32 v26, v111, v120
	v_cndmask_b32_e64 v27, 0, 1, vcc_lo
	v_add_co_ci_u32_e64 v108, null, 0, v26, vcc_lo
	v_lshrrev_b32_e32 v110, v27, v110
; %bb.894:                              ;   in Loop: Header=BB4_358 Depth=4
	s_andn2_saveexec_b32 s16, s16
; %bb.895:                              ;   in Loop: Header=BB4_358 Depth=4
	v_bfe_u32 v108, v110, 23, 1
; %bb.896:                              ;   in Loop: Header=BB4_358 Depth=4
	s_or_b32 exec_lo, exec_lo, s16
	v_lshrrev_b32_e32 v26, 21, v110
	v_min_i32_e32 v27, 31, v108
	v_cmp_gt_i32_e32 vcc_lo, 32, v108
	v_and_b32_sdwa v109, v109, v116 dst_sel:DWORD dst_unused:UNUSED_PAD src0_sel:BYTE_3 src1_sel:DWORD
	v_lshlrev_b32_e32 v27, 2, v27
	v_cndmask_b32_e32 v26, 3, v26, vcc_lo
	v_and_b32_e32 v27, 0xfc, v27
	v_and_b32_e32 v110, 3, v26
	v_or_b32_e32 v26, v108, v26
	v_or3_b32 v27, v27, v109, v110
	v_cmp_ne_u32_e32 vcc_lo, 0, v26
	v_cndmask_b32_e32 v108, 0, v27, vcc_lo
.LBB4_897:                              ;   in Loop: Header=BB4_358 Depth=4
	s_or_b32 exec_lo, exec_lo, s63
.LBB4_898:                              ;   in Loop: Header=BB4_358 Depth=4
	s_or_b32 exec_lo, exec_lo, s62
	v_cmp_gt_i16_sdwa s62, v14, v115 src0_sel:BYTE_3 src1_sel:DWORD
	s_mov_b32 s16, 0
	s_and_saveexec_b32 s63, s62
	s_xor_b32 s62, exec_lo, s63
	s_cbranch_execz .LBB4_1104
; %bb.899:                              ;   in Loop: Header=BB4_358 Depth=4
	v_cmp_eq_u16_sdwa s72, v14, v116 src0_sel:BYTE_3 src1_sel:DWORD
	s_mov_b32 s16, -1
	s_and_saveexec_b32 s63, s72
; %bb.900:                              ;   in Loop: Header=BB4_358 Depth=4
	s_xor_b32 s16, exec_lo, -1
; %bb.901:                              ;   in Loop: Header=BB4_358 Depth=4
	s_or_b32 exec_lo, exec_lo, s63
	s_and_b32 s16, s16, exec_lo
	s_or_saveexec_b32 s62, s62
	v_mov_b32_e32 v109, 0x7f800001
	s_xor_b32 exec_lo, exec_lo, s62
	s_cbranch_execnz .LBB4_1105
.LBB4_902:                              ;   in Loop: Header=BB4_358 Depth=4
	s_or_b32 exec_lo, exec_lo, s62
	s_and_saveexec_b32 s62, s16
	s_cbranch_execz .LBB4_904
.LBB4_903:                              ;   in Loop: Header=BB4_358 Depth=4
	v_bfe_u32 v26, v14, 24, 2
	v_bfe_u32 v110, v14, 26, 5
	v_ffbh_u32_e32 v27, v26
	v_cmp_eq_u32_e32 vcc_lo, 0, v110
	v_min_u32_e32 v27, 32, v27
	v_subrev_nc_u32_e32 v109, 29, v27
	v_sub_nc_u32_e32 v27, 30, v27
	v_lshlrev_b32_sdwa v109, v109, v14 dst_sel:DWORD dst_unused:UNUSED_PAD src0_sel:DWORD src1_sel:BYTE_3
	v_cndmask_b32_e32 v27, v110, v27, vcc_lo
	v_and_b32_e32 v14, 0x80000000, v14
	v_and_b32_e32 v109, 3, v109
	v_lshl_add_u32 v27, v27, 23, 0x37800000
	v_cndmask_b32_e32 v26, v26, v109, vcc_lo
	v_lshlrev_b32_e32 v26, 21, v26
	v_or3_b32 v109, v14, v27, v26
.LBB4_904:                              ;   in Loop: Header=BB4_358 Depth=4
	s_or_b32 exec_lo, exec_lo, s62
	v_cmp_gt_i16_sdwa s62, v10, v115 src0_sel:BYTE_3 src1_sel:DWORD
	s_mov_b32 s16, 0
	s_and_saveexec_b32 s63, s62
	s_xor_b32 s62, exec_lo, s63
	s_cbranch_execz .LBB4_1106
; %bb.905:                              ;   in Loop: Header=BB4_358 Depth=4
	v_cmp_eq_u16_sdwa s72, v10, v116 src0_sel:BYTE_3 src1_sel:DWORD
	s_mov_b32 s16, -1
	s_and_saveexec_b32 s63, s72
; %bb.906:                              ;   in Loop: Header=BB4_358 Depth=4
	s_xor_b32 s16, exec_lo, -1
; %bb.907:                              ;   in Loop: Header=BB4_358 Depth=4
	s_or_b32 exec_lo, exec_lo, s63
	s_and_b32 s16, s16, exec_lo
	s_or_saveexec_b32 s62, s62
	v_mov_b32_e32 v14, 0x7f800001
	s_xor_b32 exec_lo, exec_lo, s62
	s_cbranch_execnz .LBB4_1107
.LBB4_908:                              ;   in Loop: Header=BB4_358 Depth=4
	s_or_b32 exec_lo, exec_lo, s62
	s_and_saveexec_b32 s62, s16
	s_cbranch_execz .LBB4_910
.LBB4_909:                              ;   in Loop: Header=BB4_358 Depth=4
	v_bfe_u32 v14, v10, 24, 2
	v_bfe_u32 v110, v10, 26, 5
	v_ffbh_u32_e32 v26, v14
	v_cmp_eq_u32_e32 vcc_lo, 0, v110
	v_min_u32_e32 v26, 32, v26
	v_subrev_nc_u32_e32 v27, 29, v26
	v_sub_nc_u32_e32 v26, 30, v26
	v_lshlrev_b32_sdwa v27, v27, v10 dst_sel:DWORD dst_unused:UNUSED_PAD src0_sel:DWORD src1_sel:BYTE_3
	v_cndmask_b32_e32 v26, v110, v26, vcc_lo
	v_and_b32_e32 v10, 0x80000000, v10
	v_and_b32_e32 v27, 3, v27
	v_lshl_add_u32 v26, v26, 23, 0x37800000
	v_cndmask_b32_e32 v14, v14, v27, vcc_lo
	v_lshlrev_b32_e32 v14, 21, v14
	v_or3_b32 v14, v10, v26, v14
.LBB4_910:                              ;   in Loop: Header=BB4_358 Depth=4
	s_or_b32 exec_lo, exec_lo, s62
	v_mul_f32_e32 v14, v109, v14
	v_and_b32_e32 v10, 0x7f800000, v14
	v_cmp_ne_u32_e32 vcc_lo, 0x7f800000, v10
	v_mov_b32_e32 v10, 0x8000
	s_and_saveexec_b32 s62, vcc_lo
	s_cbranch_execz .LBB4_918
; %bb.911:                              ;   in Loop: Header=BB4_358 Depth=4
	v_mov_b32_e32 v10, 0
	s_mov_b32 s63, exec_lo
	v_cmpx_ne_u32_e32 0, v14
	s_cbranch_execz .LBB4_917
; %bb.912:                              ;   in Loop: Header=BB4_358 Depth=4
	v_bfe_u32 v10, v14, 23, 8
	v_and_b32_e32 v26, 0x7fffff, v14
	v_sub_nc_u32_e32 v27, 0x70, v10
	v_cmp_gt_u32_e32 vcc_lo, 0x71, v10
	v_or_b32_e32 v109, 0x800000, v26
	v_cndmask_b32_e32 v27, 0, v27, vcc_lo
	v_cmp_eq_u32_e32 vcc_lo, 0, v10
	v_add_nc_u32_e32 v10, 0xffffff91, v10
	v_cndmask_b32_e64 v27, v27, 0x6f, vcc_lo
	v_cndmask_b32_e32 v26, v109, v26, vcc_lo
	v_cndmask_b32_e64 v10, v10, 0xffffff92, vcc_lo
	v_lshl_add_u32 v110, 0x200000, v27, -1
	v_lshrrev_b32_e32 v109, v27, v26
	v_lshlrev_b32_e64 v120, v27, 0x100000
	v_and_b32_e32 v26, v110, v26
	v_bfe_u32 v111, v109, 21, 1
	v_cmp_eq_u32_e64 s16, v26, v120
	v_add_nc_u32_e32 v110, -1, v111
	v_lshrrev_b32_e32 v111, 23, v109
	v_cndmask_b32_e64 v26, 0, v110, s16
	v_add_nc_u32_e32 v110, v27, v10
	v_xor_b32_e32 v111, 1, v111
	s_mov_b32 s16, exec_lo
	v_add_nc_u32_e32 v26, v26, v109
	v_and_b32_e32 v10, 0x1fffff, v26
	v_add_nc_u32_e32 v109, v10, v109
                                        ; implicit-def: $vgpr10
	v_cmpx_ne_u32_e64 v110, v111
	s_xor_b32 s16, exec_lo, s16
; %bb.913:                              ;   in Loop: Header=BB4_358 Depth=4
	v_cmp_lt_u32_e32 vcc_lo, 0xffffff, v109
	v_sub_nc_u32_e32 v10, v110, v111
	v_cndmask_b32_e64 v26, 0, 1, vcc_lo
	v_add_co_ci_u32_e64 v10, null, 0, v10, vcc_lo
	v_lshrrev_b32_e32 v109, v26, v109
; %bb.914:                              ;   in Loop: Header=BB4_358 Depth=4
	s_andn2_saveexec_b32 s16, s16
; %bb.915:                              ;   in Loop: Header=BB4_358 Depth=4
	v_bfe_u32 v10, v109, 23, 1
; %bb.916:                              ;   in Loop: Header=BB4_358 Depth=4
	s_or_b32 exec_lo, exec_lo, s16
	v_lshrrev_b32_e32 v26, 21, v109
	v_min_i32_e32 v27, 31, v10
	v_cmp_gt_i32_e32 vcc_lo, 32, v10
	v_and_b32_sdwa v14, v14, v116 dst_sel:DWORD dst_unused:UNUSED_PAD src0_sel:BYTE_3 src1_sel:DWORD
	v_lshlrev_b32_e32 v27, 2, v27
	v_cndmask_b32_e32 v26, 3, v26, vcc_lo
	v_and_b32_e32 v27, 0xfc, v27
	v_and_b32_e32 v109, 3, v26
	v_or_b32_e32 v10, v10, v26
	v_or3_b32 v14, v14, v27, v109
	v_cmp_ne_u32_e32 vcc_lo, 0, v10
	v_lshlrev_b32_e32 v14, 8, v14
	v_cndmask_b32_e32 v10, 0, v14, vcc_lo
.LBB4_917:                              ;   in Loop: Header=BB4_358 Depth=4
	s_or_b32 exec_lo, exec_lo, s63
.LBB4_918:                              ;   in Loop: Header=BB4_358 Depth=4
	s_or_b32 exec_lo, exec_lo, s62
	v_cmp_gt_i16_sdwa s62, v15, v115 src0_sel:BYTE_0 src1_sel:DWORD
	s_mov_b32 s16, 0
	s_and_saveexec_b32 s63, s62
	s_xor_b32 s62, exec_lo, s63
	s_cbranch_execz .LBB4_1108
; %bb.919:                              ;   in Loop: Header=BB4_358 Depth=4
	v_cmp_eq_u16_sdwa s72, v15, v116 src0_sel:BYTE_0 src1_sel:DWORD
	s_mov_b32 s16, -1
	s_and_saveexec_b32 s63, s72
; %bb.920:                              ;   in Loop: Header=BB4_358 Depth=4
	s_xor_b32 s16, exec_lo, -1
; %bb.921:                              ;   in Loop: Header=BB4_358 Depth=4
	s_or_b32 exec_lo, exec_lo, s63
	s_and_b32 s16, s16, exec_lo
	s_or_saveexec_b32 s62, s62
	v_mov_b32_e32 v14, 0x7f800001
	s_xor_b32 exec_lo, exec_lo, s62
	s_cbranch_execnz .LBB4_1109
.LBB4_922:                              ;   in Loop: Header=BB4_358 Depth=4
	s_or_b32 exec_lo, exec_lo, s62
	s_and_saveexec_b32 s62, s16
	s_cbranch_execz .LBB4_924
.LBB4_923:                              ;   in Loop: Header=BB4_358 Depth=4
	v_and_b32_e32 v14, 3, v15
	v_bfe_u32 v109, v15, 2, 5
	v_lshlrev_b32_e32 v110, 24, v15
	v_ffbh_u32_e32 v26, v14
	v_cmp_eq_u32_e32 vcc_lo, 0, v109
	v_min_u32_e32 v26, 32, v26
	v_subrev_nc_u32_e32 v27, 29, v26
	v_sub_nc_u32_e32 v26, 30, v26
	v_lshlrev_b32_e32 v27, v27, v15
	v_cndmask_b32_e32 v26, v109, v26, vcc_lo
	v_and_b32_e32 v27, 3, v27
	v_lshl_add_u32 v26, v26, 23, 0x37800000
	v_cndmask_b32_e32 v14, v14, v27, vcc_lo
	v_and_b32_e32 v27, 0x80000000, v110
	v_lshlrev_b32_e32 v14, 21, v14
	v_or3_b32 v14, v27, v26, v14
.LBB4_924:                              ;   in Loop: Header=BB4_358 Depth=4
	s_or_b32 exec_lo, exec_lo, s62
	v_cmp_gt_i16_sdwa s62, v11, v115 src0_sel:BYTE_0 src1_sel:DWORD
	s_mov_b32 s16, 0
	s_and_saveexec_b32 s63, s62
	s_xor_b32 s62, exec_lo, s63
	s_cbranch_execz .LBB4_1110
; %bb.925:                              ;   in Loop: Header=BB4_358 Depth=4
	v_cmp_eq_u16_sdwa s72, v11, v116 src0_sel:BYTE_0 src1_sel:DWORD
	s_mov_b32 s16, -1
	s_and_saveexec_b32 s63, s72
; %bb.926:                              ;   in Loop: Header=BB4_358 Depth=4
	s_xor_b32 s16, exec_lo, -1
; %bb.927:                              ;   in Loop: Header=BB4_358 Depth=4
	s_or_b32 exec_lo, exec_lo, s63
	s_and_b32 s16, s16, exec_lo
	s_or_saveexec_b32 s62, s62
	v_mov_b32_e32 v109, 0x7f800001
	s_xor_b32 exec_lo, exec_lo, s62
	s_cbranch_execnz .LBB4_1111
.LBB4_928:                              ;   in Loop: Header=BB4_358 Depth=4
	s_or_b32 exec_lo, exec_lo, s62
	s_and_saveexec_b32 s62, s16
	s_cbranch_execz .LBB4_930
.LBB4_929:                              ;   in Loop: Header=BB4_358 Depth=4
	v_and_b32_e32 v26, 3, v11
	v_bfe_u32 v110, v11, 2, 5
	v_lshlrev_b32_e32 v111, 24, v11
	v_ffbh_u32_e32 v27, v26
	v_cmp_eq_u32_e32 vcc_lo, 0, v110
	v_min_u32_e32 v27, 32, v27
	v_subrev_nc_u32_e32 v109, 29, v27
	v_sub_nc_u32_e32 v27, 30, v27
	v_lshlrev_b32_e32 v109, v109, v11
	v_cndmask_b32_e32 v27, v110, v27, vcc_lo
	v_and_b32_e32 v109, 3, v109
	v_lshl_add_u32 v27, v27, 23, 0x37800000
	v_cndmask_b32_e32 v26, v26, v109, vcc_lo
	v_and_b32_e32 v109, 0x80000000, v111
	v_lshlrev_b32_e32 v26, 21, v26
	v_or3_b32 v109, v109, v27, v26
.LBB4_930:                              ;   in Loop: Header=BB4_358 Depth=4
	s_or_b32 exec_lo, exec_lo, s62
	v_mul_f32_e32 v109, v14, v109
	v_and_b32_e32 v14, 0x7f800000, v109
	v_cmp_ne_u32_e32 vcc_lo, 0x7f800000, v14
	v_mov_b32_e32 v14, 0x80
	s_and_saveexec_b32 s62, vcc_lo
	s_cbranch_execz .LBB4_938
; %bb.931:                              ;   in Loop: Header=BB4_358 Depth=4
	v_mov_b32_e32 v14, 0
	s_mov_b32 s63, exec_lo
	v_cmpx_ne_u32_e32 0, v109
	s_cbranch_execz .LBB4_937
; %bb.932:                              ;   in Loop: Header=BB4_358 Depth=4
	v_bfe_u32 v14, v109, 23, 8
	v_and_b32_e32 v26, 0x7fffff, v109
	v_sub_nc_u32_e32 v27, 0x70, v14
	v_cmp_gt_u32_e32 vcc_lo, 0x71, v14
	v_or_b32_e32 v110, 0x800000, v26
	v_cndmask_b32_e32 v27, 0, v27, vcc_lo
	v_cmp_eq_u32_e32 vcc_lo, 0, v14
	v_add_nc_u32_e32 v14, 0xffffff91, v14
	v_cndmask_b32_e64 v27, v27, 0x6f, vcc_lo
	v_cndmask_b32_e32 v26, v110, v26, vcc_lo
	v_cndmask_b32_e64 v14, v14, 0xffffff92, vcc_lo
	v_lshl_add_u32 v111, 0x200000, v27, -1
	v_lshrrev_b32_e32 v110, v27, v26
	v_lshlrev_b32_e64 v121, v27, 0x100000
	v_and_b32_e32 v26, v111, v26
	v_bfe_u32 v120, v110, 21, 1
	v_cmp_eq_u32_e64 s16, v26, v121
	v_add_nc_u32_e32 v111, -1, v120
	v_lshrrev_b32_e32 v120, 23, v110
	v_cndmask_b32_e64 v26, 0, v111, s16
	v_add_nc_u32_e32 v111, v27, v14
	v_xor_b32_e32 v120, 1, v120
	s_mov_b32 s16, exec_lo
	v_add_nc_u32_e32 v26, v26, v110
	v_and_b32_e32 v14, 0x1fffff, v26
	v_add_nc_u32_e32 v110, v14, v110
                                        ; implicit-def: $vgpr14
	v_cmpx_ne_u32_e64 v111, v120
	s_xor_b32 s16, exec_lo, s16
; %bb.933:                              ;   in Loop: Header=BB4_358 Depth=4
	v_cmp_lt_u32_e32 vcc_lo, 0xffffff, v110
	v_sub_nc_u32_e32 v14, v111, v120
	v_cndmask_b32_e64 v26, 0, 1, vcc_lo
	v_add_co_ci_u32_e64 v14, null, 0, v14, vcc_lo
	v_lshrrev_b32_e32 v110, v26, v110
; %bb.934:                              ;   in Loop: Header=BB4_358 Depth=4
	s_andn2_saveexec_b32 s16, s16
; %bb.935:                              ;   in Loop: Header=BB4_358 Depth=4
	v_bfe_u32 v14, v110, 23, 1
; %bb.936:                              ;   in Loop: Header=BB4_358 Depth=4
	s_or_b32 exec_lo, exec_lo, s16
	v_lshrrev_b32_e32 v26, 21, v110
	v_min_i32_e32 v27, 31, v14
	v_cmp_gt_i32_e32 vcc_lo, 32, v14
	v_and_b32_sdwa v109, v109, v116 dst_sel:DWORD dst_unused:UNUSED_PAD src0_sel:BYTE_3 src1_sel:DWORD
	v_lshlrev_b32_e32 v27, 2, v27
	v_cndmask_b32_e32 v26, 3, v26, vcc_lo
	v_and_b32_e32 v27, 0xfc, v27
	v_and_b32_e32 v110, 3, v26
	v_or_b32_e32 v14, v14, v26
	v_or3_b32 v26, v27, v109, v110
	v_cmp_ne_u32_e32 vcc_lo, 0, v14
	v_cndmask_b32_e32 v14, 0, v26, vcc_lo
.LBB4_937:                              ;   in Loop: Header=BB4_358 Depth=4
	s_or_b32 exec_lo, exec_lo, s63
.LBB4_938:                              ;   in Loop: Header=BB4_358 Depth=4
	s_or_b32 exec_lo, exec_lo, s62
	v_cmp_gt_i16_sdwa s62, v15, v115 src0_sel:BYTE_1 src1_sel:DWORD
	s_mov_b32 s16, 0
	s_and_saveexec_b32 s63, s62
	s_xor_b32 s62, exec_lo, s63
	s_cbranch_execz .LBB4_1112
; %bb.939:                              ;   in Loop: Header=BB4_358 Depth=4
	v_cmp_eq_u16_sdwa s72, v15, v116 src0_sel:BYTE_1 src1_sel:DWORD
	s_mov_b32 s16, -1
	s_and_saveexec_b32 s63, s72
; %bb.940:                              ;   in Loop: Header=BB4_358 Depth=4
	s_xor_b32 s16, exec_lo, -1
; %bb.941:                              ;   in Loop: Header=BB4_358 Depth=4
	s_or_b32 exec_lo, exec_lo, s63
	s_and_b32 s16, s16, exec_lo
	s_or_saveexec_b32 s62, s62
	v_mov_b32_e32 v109, 0x7f800001
	s_xor_b32 exec_lo, exec_lo, s62
	s_cbranch_execnz .LBB4_1113
.LBB4_942:                              ;   in Loop: Header=BB4_358 Depth=4
	s_or_b32 exec_lo, exec_lo, s62
	s_and_saveexec_b32 s62, s16
	s_cbranch_execz .LBB4_944
.LBB4_943:                              ;   in Loop: Header=BB4_358 Depth=4
	v_and_b32_sdwa v26, v117, v15 dst_sel:DWORD dst_unused:UNUSED_PAD src0_sel:DWORD src1_sel:BYTE_1
	v_and_b32_e32 v27, 3, v26
	v_bfe_u32 v111, v26, 2, 5
	v_ffbh_u32_e32 v109, v27
	v_cmp_eq_u32_e32 vcc_lo, 0, v111
	v_min_u32_e32 v109, 32, v109
	v_subrev_nc_u32_e32 v110, 29, v109
	v_sub_nc_u32_e32 v109, 30, v109
	v_lshlrev_b32_e32 v26, v110, v26
	v_lshlrev_b32_sdwa v110, v118, v15 dst_sel:DWORD dst_unused:UNUSED_PAD src0_sel:DWORD src1_sel:BYTE_1
	v_cndmask_b32_e32 v109, v111, v109, vcc_lo
	v_and_b32_e32 v26, 3, v26
	v_lshl_add_u32 v109, v109, 23, 0x37800000
	v_cndmask_b32_e32 v26, v27, v26, vcc_lo
	v_and_b32_e32 v27, 0x80000000, v110
	v_lshlrev_b32_e32 v26, 21, v26
	v_or3_b32 v109, v27, v109, v26
.LBB4_944:                              ;   in Loop: Header=BB4_358 Depth=4
	s_or_b32 exec_lo, exec_lo, s62
	v_cmp_gt_i16_sdwa s62, v11, v115 src0_sel:BYTE_1 src1_sel:DWORD
	s_mov_b32 s16, 0
	s_and_saveexec_b32 s63, s62
	s_xor_b32 s62, exec_lo, s63
	s_cbranch_execz .LBB4_1114
; %bb.945:                              ;   in Loop: Header=BB4_358 Depth=4
	v_cmp_eq_u16_sdwa s72, v11, v116 src0_sel:BYTE_1 src1_sel:DWORD
	s_mov_b32 s16, -1
	s_and_saveexec_b32 s63, s72
; %bb.946:                              ;   in Loop: Header=BB4_358 Depth=4
	s_xor_b32 s16, exec_lo, -1
; %bb.947:                              ;   in Loop: Header=BB4_358 Depth=4
	s_or_b32 exec_lo, exec_lo, s63
	s_and_b32 s16, s16, exec_lo
	s_or_saveexec_b32 s62, s62
	v_mov_b32_e32 v110, 0x7f800001
	s_xor_b32 exec_lo, exec_lo, s62
	s_cbranch_execnz .LBB4_1115
.LBB4_948:                              ;   in Loop: Header=BB4_358 Depth=4
	s_or_b32 exec_lo, exec_lo, s62
	s_and_saveexec_b32 s62, s16
	s_cbranch_execz .LBB4_950
.LBB4_949:                              ;   in Loop: Header=BB4_358 Depth=4
	v_and_b32_sdwa v26, v117, v11 dst_sel:DWORD dst_unused:UNUSED_PAD src0_sel:DWORD src1_sel:BYTE_1
	v_and_b32_e32 v27, 3, v26
	v_bfe_u32 v120, v26, 2, 5
	v_ffbh_u32_e32 v110, v27
	v_cmp_eq_u32_e32 vcc_lo, 0, v120
	v_min_u32_e32 v110, 32, v110
	v_subrev_nc_u32_e32 v111, 29, v110
	v_sub_nc_u32_e32 v110, 30, v110
	v_lshlrev_b32_e32 v26, v111, v26
	v_lshlrev_b32_sdwa v111, v118, v11 dst_sel:DWORD dst_unused:UNUSED_PAD src0_sel:DWORD src1_sel:BYTE_1
	v_cndmask_b32_e32 v110, v120, v110, vcc_lo
	v_and_b32_e32 v26, 3, v26
	v_lshl_add_u32 v110, v110, 23, 0x37800000
	v_cndmask_b32_e32 v26, v27, v26, vcc_lo
	v_and_b32_e32 v27, 0x80000000, v111
	v_lshlrev_b32_e32 v26, 21, v26
	v_or3_b32 v110, v27, v110, v26
.LBB4_950:                              ;   in Loop: Header=BB4_358 Depth=4
	s_or_b32 exec_lo, exec_lo, s62
	v_mul_f32_e32 v110, v109, v110
	v_mov_b32_e32 v109, 0x8000
	s_mov_b32 s62, exec_lo
	v_and_b32_e32 v26, 0x7f800000, v110
	v_cmpx_ne_u32_e32 0x7f800000, v26
	s_cbranch_execz .LBB4_958
; %bb.951:                              ;   in Loop: Header=BB4_358 Depth=4
	v_mov_b32_e32 v109, 0
	s_mov_b32 s63, exec_lo
	v_cmpx_ne_u32_e32 0, v110
	s_cbranch_execz .LBB4_957
; %bb.952:                              ;   in Loop: Header=BB4_358 Depth=4
	v_bfe_u32 v26, v110, 23, 8
	v_and_b32_e32 v27, 0x7fffff, v110
	v_sub_nc_u32_e32 v109, 0x70, v26
	v_cmp_gt_u32_e32 vcc_lo, 0x71, v26
	v_or_b32_e32 v111, 0x800000, v27
	v_cndmask_b32_e32 v109, 0, v109, vcc_lo
	v_cmp_eq_u32_e32 vcc_lo, 0, v26
	v_add_nc_u32_e32 v26, 0xffffff91, v26
	v_cndmask_b32_e64 v109, v109, 0x6f, vcc_lo
	v_cndmask_b32_e32 v27, v111, v27, vcc_lo
	v_cndmask_b32_e64 v26, v26, 0xffffff92, vcc_lo
	v_lshl_add_u32 v120, 0x200000, v109, -1
	v_lshrrev_b32_e32 v111, v109, v27
	v_lshlrev_b32_e64 v122, v109, 0x100000
	v_and_b32_e32 v27, v120, v27
	v_bfe_u32 v121, v111, 21, 1
	v_cmp_eq_u32_e64 s16, v27, v122
	v_add_nc_u32_e32 v120, -1, v121
	v_lshrrev_b32_e32 v121, 23, v111
	v_cndmask_b32_e64 v27, 0, v120, s16
	v_add_nc_u32_e32 v120, v109, v26
	v_xor_b32_e32 v121, 1, v121
	s_mov_b32 s16, exec_lo
                                        ; implicit-def: $vgpr109
	v_add_nc_u32_e32 v27, v27, v111
	v_and_b32_e32 v26, 0x1fffff, v27
	v_add_nc_u32_e32 v111, v26, v111
	v_cmpx_ne_u32_e64 v120, v121
	s_xor_b32 s16, exec_lo, s16
; %bb.953:                              ;   in Loop: Header=BB4_358 Depth=4
	v_cmp_lt_u32_e32 vcc_lo, 0xffffff, v111
	v_sub_nc_u32_e32 v26, v120, v121
	v_cndmask_b32_e64 v27, 0, 1, vcc_lo
	v_add_co_ci_u32_e64 v109, null, 0, v26, vcc_lo
	v_lshrrev_b32_e32 v111, v27, v111
; %bb.954:                              ;   in Loop: Header=BB4_358 Depth=4
	s_andn2_saveexec_b32 s16, s16
; %bb.955:                              ;   in Loop: Header=BB4_358 Depth=4
	v_bfe_u32 v109, v111, 23, 1
; %bb.956:                              ;   in Loop: Header=BB4_358 Depth=4
	s_or_b32 exec_lo, exec_lo, s16
	v_lshrrev_b32_e32 v26, 21, v111
	v_min_i32_e32 v27, 31, v109
	v_cmp_gt_i32_e32 vcc_lo, 32, v109
	v_and_b32_sdwa v110, v110, v116 dst_sel:DWORD dst_unused:UNUSED_PAD src0_sel:BYTE_3 src1_sel:DWORD
	v_lshlrev_b32_e32 v27, 2, v27
	v_cndmask_b32_e32 v26, 3, v26, vcc_lo
	v_and_b32_e32 v27, 0xfc, v27
	v_and_b32_e32 v111, 3, v26
	v_or_b32_e32 v26, v109, v26
	v_or3_b32 v27, v110, v27, v111
	v_cmp_ne_u32_e32 vcc_lo, 0, v26
	v_lshlrev_b32_e32 v27, 8, v27
	v_cndmask_b32_e32 v109, 0, v27, vcc_lo
.LBB4_957:                              ;   in Loop: Header=BB4_358 Depth=4
	s_or_b32 exec_lo, exec_lo, s63
.LBB4_958:                              ;   in Loop: Header=BB4_358 Depth=4
	s_or_b32 exec_lo, exec_lo, s62
	v_and_b32_sdwa v111, v15, v119 dst_sel:DWORD dst_unused:UNUSED_PAD src0_sel:WORD_1 src1_sel:DWORD
	s_mov_b32 s16, 0
	s_mov_b32 s62, exec_lo
	v_cmpx_lt_i16_e32 0x7f, v111
	s_xor_b32 s62, exec_lo, s62
	s_cbranch_execz .LBB4_1116
; %bb.959:                              ;   in Loop: Header=BB4_358 Depth=4
	s_mov_b32 s16, -1
	s_mov_b32 s63, exec_lo
	v_cmpx_eq_u16_e32 0x80, v111
; %bb.960:                              ;   in Loop: Header=BB4_358 Depth=4
	s_xor_b32 s16, exec_lo, -1
; %bb.961:                              ;   in Loop: Header=BB4_358 Depth=4
	s_or_b32 exec_lo, exec_lo, s63
	s_and_b32 s16, s16, exec_lo
                                        ; implicit-def: $vgpr111
	s_or_saveexec_b32 s62, s62
	v_mov_b32_e32 v110, 0x7f800001
	s_xor_b32 exec_lo, exec_lo, s62
	s_cbranch_execnz .LBB4_1117
.LBB4_962:                              ;   in Loop: Header=BB4_358 Depth=4
	s_or_b32 exec_lo, exec_lo, s62
	s_and_saveexec_b32 s62, s16
	s_cbranch_execz .LBB4_964
.LBB4_963:                              ;   in Loop: Header=BB4_358 Depth=4
	v_bfe_u32 v26, v15, 16, 2
	v_bfe_u32 v111, v15, 18, 5
	v_lshlrev_b32_e32 v120, 8, v15
	v_ffbh_u32_e32 v27, v26
	v_cmp_eq_u32_e32 vcc_lo, 0, v111
	v_min_u32_e32 v27, 32, v27
	v_subrev_nc_u32_e32 v110, 29, v27
	v_sub_nc_u32_e32 v27, 30, v27
	v_lshlrev_b32_sdwa v110, v110, v15 dst_sel:DWORD dst_unused:UNUSED_PAD src0_sel:DWORD src1_sel:WORD_1
	v_cndmask_b32_e32 v27, v111, v27, vcc_lo
	v_and_b32_e32 v110, 3, v110
	v_lshl_add_u32 v27, v27, 23, 0x37800000
	v_cndmask_b32_e32 v26, v26, v110, vcc_lo
	v_and_b32_e32 v110, 0x80000000, v120
	v_lshlrev_b32_e32 v26, 21, v26
	v_or3_b32 v110, v110, v27, v26
.LBB4_964:                              ;   in Loop: Header=BB4_358 Depth=4
	s_or_b32 exec_lo, exec_lo, s62
	v_and_b32_sdwa v120, v11, v119 dst_sel:DWORD dst_unused:UNUSED_PAD src0_sel:WORD_1 src1_sel:DWORD
	s_mov_b32 s16, 0
	s_mov_b32 s62, exec_lo
	v_cmpx_lt_i16_e32 0x7f, v120
	s_xor_b32 s62, exec_lo, s62
	s_cbranch_execz .LBB4_1118
; %bb.965:                              ;   in Loop: Header=BB4_358 Depth=4
	s_mov_b32 s16, -1
	s_mov_b32 s63, exec_lo
	v_cmpx_eq_u16_e32 0x80, v120
; %bb.966:                              ;   in Loop: Header=BB4_358 Depth=4
	s_xor_b32 s16, exec_lo, -1
; %bb.967:                              ;   in Loop: Header=BB4_358 Depth=4
	s_or_b32 exec_lo, exec_lo, s63
	s_and_b32 s16, s16, exec_lo
                                        ; implicit-def: $vgpr120
	s_or_saveexec_b32 s62, s62
	v_mov_b32_e32 v111, 0x7f800001
	s_xor_b32 exec_lo, exec_lo, s62
	s_cbranch_execnz .LBB4_1119
.LBB4_968:                              ;   in Loop: Header=BB4_358 Depth=4
	s_or_b32 exec_lo, exec_lo, s62
	s_and_saveexec_b32 s62, s16
	s_cbranch_execz .LBB4_970
.LBB4_969:                              ;   in Loop: Header=BB4_358 Depth=4
	v_bfe_u32 v26, v11, 16, 2
	v_bfe_u32 v120, v11, 18, 5
	v_lshlrev_b32_e32 v121, 8, v11
	v_ffbh_u32_e32 v27, v26
	v_cmp_eq_u32_e32 vcc_lo, 0, v120
	v_min_u32_e32 v27, 32, v27
	v_subrev_nc_u32_e32 v111, 29, v27
	v_sub_nc_u32_e32 v27, 30, v27
	v_lshlrev_b32_sdwa v111, v111, v11 dst_sel:DWORD dst_unused:UNUSED_PAD src0_sel:DWORD src1_sel:WORD_1
	v_cndmask_b32_e32 v27, v120, v27, vcc_lo
	v_and_b32_e32 v111, 3, v111
	v_lshl_add_u32 v27, v27, 23, 0x37800000
	v_cndmask_b32_e32 v26, v26, v111, vcc_lo
	v_and_b32_e32 v111, 0x80000000, v121
	v_lshlrev_b32_e32 v26, 21, v26
	v_or3_b32 v111, v111, v27, v26
.LBB4_970:                              ;   in Loop: Header=BB4_358 Depth=4
	s_or_b32 exec_lo, exec_lo, s62
	v_mul_f32_e32 v111, v110, v111
	v_mov_b32_e32 v110, 0x80
	s_mov_b32 s62, exec_lo
	v_and_b32_e32 v26, 0x7f800000, v111
	v_cmpx_ne_u32_e32 0x7f800000, v26
	s_cbranch_execz .LBB4_978
; %bb.971:                              ;   in Loop: Header=BB4_358 Depth=4
	v_mov_b32_e32 v110, 0
	s_mov_b32 s63, exec_lo
	v_cmpx_ne_u32_e32 0, v111
	s_cbranch_execz .LBB4_977
; %bb.972:                              ;   in Loop: Header=BB4_358 Depth=4
	v_bfe_u32 v26, v111, 23, 8
	v_and_b32_e32 v27, 0x7fffff, v111
	v_sub_nc_u32_e32 v110, 0x70, v26
	v_cmp_gt_u32_e32 vcc_lo, 0x71, v26
	v_or_b32_e32 v120, 0x800000, v27
	v_cndmask_b32_e32 v110, 0, v110, vcc_lo
	v_cmp_eq_u32_e32 vcc_lo, 0, v26
	v_add_nc_u32_e32 v26, 0xffffff91, v26
	v_cndmask_b32_e64 v110, v110, 0x6f, vcc_lo
	v_cndmask_b32_e32 v27, v120, v27, vcc_lo
	v_cndmask_b32_e64 v26, v26, 0xffffff92, vcc_lo
	v_lshl_add_u32 v121, 0x200000, v110, -1
	v_lshrrev_b32_e32 v120, v110, v27
	v_lshlrev_b32_e64 v123, v110, 0x100000
	v_and_b32_e32 v27, v121, v27
	v_bfe_u32 v122, v120, 21, 1
	v_cmp_eq_u32_e64 s16, v27, v123
	v_add_nc_u32_e32 v121, -1, v122
	v_lshrrev_b32_e32 v122, 23, v120
	v_cndmask_b32_e64 v27, 0, v121, s16
	v_add_nc_u32_e32 v121, v110, v26
	v_xor_b32_e32 v122, 1, v122
	s_mov_b32 s16, exec_lo
                                        ; implicit-def: $vgpr110
	v_add_nc_u32_e32 v27, v27, v120
	v_and_b32_e32 v26, 0x1fffff, v27
	v_add_nc_u32_e32 v120, v26, v120
	v_cmpx_ne_u32_e64 v121, v122
	s_xor_b32 s16, exec_lo, s16
; %bb.973:                              ;   in Loop: Header=BB4_358 Depth=4
	v_cmp_lt_u32_e32 vcc_lo, 0xffffff, v120
	v_sub_nc_u32_e32 v26, v121, v122
	v_cndmask_b32_e64 v27, 0, 1, vcc_lo
	v_add_co_ci_u32_e64 v110, null, 0, v26, vcc_lo
	v_lshrrev_b32_e32 v120, v27, v120
; %bb.974:                              ;   in Loop: Header=BB4_358 Depth=4
	s_andn2_saveexec_b32 s16, s16
; %bb.975:                              ;   in Loop: Header=BB4_358 Depth=4
	v_bfe_u32 v110, v120, 23, 1
; %bb.976:                              ;   in Loop: Header=BB4_358 Depth=4
	s_or_b32 exec_lo, exec_lo, s16
	v_lshrrev_b32_e32 v26, 21, v120
	v_min_i32_e32 v27, 31, v110
	v_cmp_gt_i32_e32 vcc_lo, 32, v110
	v_and_b32_sdwa v111, v111, v116 dst_sel:DWORD dst_unused:UNUSED_PAD src0_sel:BYTE_3 src1_sel:DWORD
	v_lshlrev_b32_e32 v27, 2, v27
	v_cndmask_b32_e32 v26, 3, v26, vcc_lo
	v_and_b32_e32 v27, 0xfc, v27
	v_and_b32_e32 v120, 3, v26
	v_or_b32_e32 v26, v110, v26
	v_or3_b32 v27, v27, v111, v120
	v_cmp_ne_u32_e32 vcc_lo, 0, v26
	v_cndmask_b32_e32 v110, 0, v27, vcc_lo
.LBB4_977:                              ;   in Loop: Header=BB4_358 Depth=4
	s_or_b32 exec_lo, exec_lo, s63
.LBB4_978:                              ;   in Loop: Header=BB4_358 Depth=4
	s_or_b32 exec_lo, exec_lo, s62
	v_cmp_gt_i16_sdwa s62, v15, v115 src0_sel:BYTE_3 src1_sel:DWORD
	s_mov_b32 s16, 0
	s_and_saveexec_b32 s63, s62
	s_xor_b32 s62, exec_lo, s63
	s_cbranch_execz .LBB4_1120
; %bb.979:                              ;   in Loop: Header=BB4_358 Depth=4
	v_cmp_eq_u16_sdwa s72, v15, v116 src0_sel:BYTE_3 src1_sel:DWORD
	s_mov_b32 s16, -1
	s_and_saveexec_b32 s63, s72
; %bb.980:                              ;   in Loop: Header=BB4_358 Depth=4
	s_xor_b32 s16, exec_lo, -1
; %bb.981:                              ;   in Loop: Header=BB4_358 Depth=4
	s_or_b32 exec_lo, exec_lo, s63
	s_and_b32 s16, s16, exec_lo
	s_or_saveexec_b32 s62, s62
	v_mov_b32_e32 v111, 0x7f800001
	s_xor_b32 exec_lo, exec_lo, s62
	s_cbranch_execnz .LBB4_1121
.LBB4_982:                              ;   in Loop: Header=BB4_358 Depth=4
	s_or_b32 exec_lo, exec_lo, s62
	s_and_saveexec_b32 s62, s16
	s_cbranch_execz .LBB4_984
.LBB4_983:                              ;   in Loop: Header=BB4_358 Depth=4
	v_bfe_u32 v26, v15, 24, 2
	v_bfe_u32 v120, v15, 26, 5
	v_ffbh_u32_e32 v27, v26
	v_cmp_eq_u32_e32 vcc_lo, 0, v120
	v_min_u32_e32 v27, 32, v27
	v_subrev_nc_u32_e32 v111, 29, v27
	v_sub_nc_u32_e32 v27, 30, v27
	v_lshlrev_b32_sdwa v111, v111, v15 dst_sel:DWORD dst_unused:UNUSED_PAD src0_sel:DWORD src1_sel:BYTE_3
	v_cndmask_b32_e32 v27, v120, v27, vcc_lo
	v_and_b32_e32 v15, 0x80000000, v15
	v_and_b32_e32 v111, 3, v111
	v_lshl_add_u32 v27, v27, 23, 0x37800000
	v_cndmask_b32_e32 v26, v26, v111, vcc_lo
	v_lshlrev_b32_e32 v26, 21, v26
	v_or3_b32 v111, v15, v27, v26
.LBB4_984:                              ;   in Loop: Header=BB4_358 Depth=4
	s_or_b32 exec_lo, exec_lo, s62
	v_cmp_gt_i16_sdwa s62, v11, v115 src0_sel:BYTE_3 src1_sel:DWORD
	s_mov_b32 s16, 0
	s_and_saveexec_b32 s63, s62
	s_xor_b32 s62, exec_lo, s63
	s_cbranch_execz .LBB4_1122
; %bb.985:                              ;   in Loop: Header=BB4_358 Depth=4
	v_cmp_eq_u16_sdwa s72, v11, v116 src0_sel:BYTE_3 src1_sel:DWORD
	s_mov_b32 s16, -1
	s_and_saveexec_b32 s63, s72
; %bb.986:                              ;   in Loop: Header=BB4_358 Depth=4
	s_xor_b32 s16, exec_lo, -1
; %bb.987:                              ;   in Loop: Header=BB4_358 Depth=4
	s_or_b32 exec_lo, exec_lo, s63
	s_and_b32 s16, s16, exec_lo
	s_or_saveexec_b32 s62, s62
	v_mov_b32_e32 v15, 0x7f800001
	s_xor_b32 exec_lo, exec_lo, s62
	s_cbranch_execnz .LBB4_1123
.LBB4_988:                              ;   in Loop: Header=BB4_358 Depth=4
	s_or_b32 exec_lo, exec_lo, s62
	s_and_saveexec_b32 s62, s16
	s_cbranch_execz .LBB4_990
.LBB4_989:                              ;   in Loop: Header=BB4_358 Depth=4
	v_bfe_u32 v15, v11, 24, 2
	v_bfe_u32 v120, v11, 26, 5
	v_ffbh_u32_e32 v26, v15
	v_cmp_eq_u32_e32 vcc_lo, 0, v120
	v_min_u32_e32 v26, 32, v26
	v_subrev_nc_u32_e32 v27, 29, v26
	v_sub_nc_u32_e32 v26, 30, v26
	v_lshlrev_b32_sdwa v27, v27, v11 dst_sel:DWORD dst_unused:UNUSED_PAD src0_sel:DWORD src1_sel:BYTE_3
	v_cndmask_b32_e32 v26, v120, v26, vcc_lo
	v_and_b32_e32 v11, 0x80000000, v11
	v_and_b32_e32 v27, 3, v27
	v_lshl_add_u32 v26, v26, 23, 0x37800000
	v_cndmask_b32_e32 v15, v15, v27, vcc_lo
	v_lshlrev_b32_e32 v15, 21, v15
	v_or3_b32 v15, v11, v26, v15
.LBB4_990:                              ;   in Loop: Header=BB4_358 Depth=4
	s_or_b32 exec_lo, exec_lo, s62
	v_mul_f32_e32 v11, v111, v15
	v_and_b32_e32 v15, 0x7f800000, v11
	v_cmp_ne_u32_e32 vcc_lo, 0x7f800000, v15
	v_mov_b32_e32 v15, 0x8000
	s_and_saveexec_b32 s62, vcc_lo
	s_cbranch_execz .LBB4_357
; %bb.991:                              ;   in Loop: Header=BB4_358 Depth=4
	v_mov_b32_e32 v15, 0
	s_mov_b32 s63, exec_lo
	v_cmpx_ne_u32_e32 0, v11
	s_cbranch_execz .LBB4_356
; %bb.992:                              ;   in Loop: Header=BB4_358 Depth=4
	v_bfe_u32 v15, v11, 23, 8
	v_and_b32_e32 v26, 0x7fffff, v11
	v_sub_nc_u32_e32 v27, 0x70, v15
	v_cmp_gt_u32_e32 vcc_lo, 0x71, v15
	v_or_b32_e32 v111, 0x800000, v26
	v_cndmask_b32_e32 v27, 0, v27, vcc_lo
	v_cmp_eq_u32_e32 vcc_lo, 0, v15
	v_add_nc_u32_e32 v15, 0xffffff91, v15
	v_cndmask_b32_e64 v27, v27, 0x6f, vcc_lo
	v_cndmask_b32_e32 v26, v111, v26, vcc_lo
	v_cndmask_b32_e64 v15, v15, 0xffffff92, vcc_lo
	v_lshl_add_u32 v120, 0x200000, v27, -1
	v_lshrrev_b32_e32 v111, v27, v26
	v_lshlrev_b32_e64 v122, v27, 0x100000
	v_and_b32_e32 v26, v120, v26
	v_bfe_u32 v121, v111, 21, 1
	v_cmp_eq_u32_e64 s16, v26, v122
	v_add_nc_u32_e32 v120, -1, v121
	v_lshrrev_b32_e32 v121, 23, v111
	v_cndmask_b32_e64 v26, 0, v120, s16
	v_add_nc_u32_e32 v120, v27, v15
	v_xor_b32_e32 v121, 1, v121
	s_mov_b32 s16, exec_lo
	v_add_nc_u32_e32 v26, v26, v111
	v_and_b32_e32 v15, 0x1fffff, v26
	v_add_nc_u32_e32 v111, v15, v111
                                        ; implicit-def: $vgpr15
	v_cmpx_ne_u32_e64 v120, v121
	s_xor_b32 s16, exec_lo, s16
; %bb.993:                              ;   in Loop: Header=BB4_358 Depth=4
	v_cmp_lt_u32_e32 vcc_lo, 0xffffff, v111
	v_sub_nc_u32_e32 v15, v120, v121
	v_cndmask_b32_e64 v26, 0, 1, vcc_lo
	v_add_co_ci_u32_e64 v15, null, 0, v15, vcc_lo
	v_lshrrev_b32_e32 v111, v26, v111
; %bb.994:                              ;   in Loop: Header=BB4_358 Depth=4
	s_andn2_saveexec_b32 s16, s16
	s_cbranch_execz .LBB4_355
; %bb.995:                              ;   in Loop: Header=BB4_358 Depth=4
	v_bfe_u32 v15, v111, 23, 1
	s_branch .LBB4_355
.LBB4_996:                              ;   in Loop: Header=BB4_358 Depth=4
	s_or_saveexec_b32 s62, s62
	v_mov_b32_e32 v78, 0x7f800001
	s_xor_b32 exec_lo, exec_lo, s62
	s_cbranch_execz .LBB4_362
.LBB4_997:                              ;   in Loop: Header=BB4_358 Depth=4
	v_cmp_ne_u16_sdwa s63, v20, v2 src0_sel:BYTE_0 src1_sel:DWORD
	v_mov_b32_e32 v78, 0
	s_andn2_b32 s16, s16, exec_lo
	s_and_b32 s63, s63, exec_lo
	s_or_b32 s16, s16, s63
	s_or_b32 exec_lo, exec_lo, s62
	s_and_saveexec_b32 s62, s16
	s_cbranch_execnz .LBB4_363
	s_branch .LBB4_364
.LBB4_998:                              ;   in Loop: Header=BB4_358 Depth=4
	s_or_saveexec_b32 s62, s62
	v_mov_b32_e32 v79, 0x7f800001
	s_xor_b32 exec_lo, exec_lo, s62
	s_cbranch_execz .LBB4_368
.LBB4_999:                              ;   in Loop: Header=BB4_358 Depth=4
	v_cmp_ne_u16_sdwa s63, v16, v2 src0_sel:BYTE_0 src1_sel:DWORD
	v_mov_b32_e32 v79, 0
	s_andn2_b32 s16, s16, exec_lo
	s_and_b32 s63, s63, exec_lo
	s_or_b32 s16, s16, s63
	s_or_b32 exec_lo, exec_lo, s62
	s_and_saveexec_b32 s62, s16
	s_cbranch_execnz .LBB4_369
	s_branch .LBB4_370
.LBB4_1000:                             ;   in Loop: Header=BB4_358 Depth=4
	s_or_saveexec_b32 s62, s62
	v_mov_b32_e32 v79, 0x7f800001
	s_xor_b32 exec_lo, exec_lo, s62
	s_cbranch_execz .LBB4_382
.LBB4_1001:                             ;   in Loop: Header=BB4_358 Depth=4
	v_cmp_ne_u16_sdwa s63, v20, v2 src0_sel:BYTE_1 src1_sel:DWORD
	v_mov_b32_e32 v79, 0
	s_andn2_b32 s16, s16, exec_lo
	s_and_b32 s63, s63, exec_lo
	s_or_b32 s16, s16, s63
	s_or_b32 exec_lo, exec_lo, s62
	s_and_saveexec_b32 s62, s16
	s_cbranch_execnz .LBB4_383
	s_branch .LBB4_384
.LBB4_1002:                             ;   in Loop: Header=BB4_358 Depth=4
	s_or_saveexec_b32 s62, s62
	v_mov_b32_e32 v88, 0x7f800001
	s_xor_b32 exec_lo, exec_lo, s62
	s_cbranch_execz .LBB4_388
.LBB4_1003:                             ;   in Loop: Header=BB4_358 Depth=4
	v_cmp_ne_u16_sdwa s63, v16, v2 src0_sel:BYTE_1 src1_sel:DWORD
	v_mov_b32_e32 v88, 0
	s_andn2_b32 s16, s16, exec_lo
	s_and_b32 s63, s63, exec_lo
	s_or_b32 s16, s16, s63
	s_or_b32 exec_lo, exec_lo, s62
	s_and_saveexec_b32 s62, s16
	s_cbranch_execnz .LBB4_389
	s_branch .LBB4_390
.LBB4_1004:                             ;   in Loop: Header=BB4_358 Depth=4
	s_or_saveexec_b32 s62, s62
	v_mov_b32_e32 v88, 0x7f800001
	s_xor_b32 exec_lo, exec_lo, s62
	s_cbranch_execz .LBB4_402
.LBB4_1005:                             ;   in Loop: Header=BB4_358 Depth=4
	v_cmp_ne_u16_e32 vcc_lo, 0, v89
	v_mov_b32_e32 v88, 0
	s_andn2_b32 s16, s16, exec_lo
	s_and_b32 s63, vcc_lo, exec_lo
	s_or_b32 s16, s16, s63
	s_or_b32 exec_lo, exec_lo, s62
	s_and_saveexec_b32 s62, s16
	s_cbranch_execnz .LBB4_403
	s_branch .LBB4_404
.LBB4_1006:                             ;   in Loop: Header=BB4_358 Depth=4
	s_or_saveexec_b32 s62, s62
	v_mov_b32_e32 v89, 0x7f800001
	s_xor_b32 exec_lo, exec_lo, s62
	s_cbranch_execz .LBB4_408
.LBB4_1007:                             ;   in Loop: Header=BB4_358 Depth=4
	v_cmp_ne_u16_e32 vcc_lo, 0, v90
	v_mov_b32_e32 v89, 0
	s_andn2_b32 s16, s16, exec_lo
	s_and_b32 s63, vcc_lo, exec_lo
	s_or_b32 s16, s16, s63
	s_or_b32 exec_lo, exec_lo, s62
	s_and_saveexec_b32 s62, s16
	s_cbranch_execnz .LBB4_409
	s_branch .LBB4_410
.LBB4_1008:                             ;   in Loop: Header=BB4_358 Depth=4
	s_or_saveexec_b32 s62, s62
	v_mov_b32_e32 v89, 0x7f800001
	s_xor_b32 exec_lo, exec_lo, s62
	s_cbranch_execz .LBB4_422
.LBB4_1009:                             ;   in Loop: Header=BB4_358 Depth=4
	v_cmp_ne_u16_sdwa s63, v20, v2 src0_sel:BYTE_3 src1_sel:DWORD
	v_mov_b32_e32 v89, 0
	s_andn2_b32 s16, s16, exec_lo
	s_and_b32 s63, s63, exec_lo
	s_or_b32 s16, s16, s63
	s_or_b32 exec_lo, exec_lo, s62
	s_and_saveexec_b32 s62, s16
	s_cbranch_execnz .LBB4_423
	s_branch .LBB4_424
.LBB4_1010:                             ;   in Loop: Header=BB4_358 Depth=4
	s_or_saveexec_b32 s62, s62
	v_mov_b32_e32 v20, 0x7f800001
	s_xor_b32 exec_lo, exec_lo, s62
	s_cbranch_execz .LBB4_428
.LBB4_1011:                             ;   in Loop: Header=BB4_358 Depth=4
	v_cmp_ne_u16_sdwa s63, v16, v2 src0_sel:BYTE_3 src1_sel:DWORD
	v_mov_b32_e32 v20, 0
	s_andn2_b32 s16, s16, exec_lo
	s_and_b32 s63, s63, exec_lo
	s_or_b32 s16, s16, s63
	s_or_b32 exec_lo, exec_lo, s62
	s_and_saveexec_b32 s62, s16
	s_cbranch_execnz .LBB4_429
	s_branch .LBB4_430
.LBB4_1012:                             ;   in Loop: Header=BB4_358 Depth=4
	s_or_saveexec_b32 s62, s62
	v_mov_b32_e32 v20, 0x7f800001
	s_xor_b32 exec_lo, exec_lo, s62
	s_cbranch_execz .LBB4_442
.LBB4_1013:                             ;   in Loop: Header=BB4_358 Depth=4
	v_cmp_ne_u16_sdwa s63, v21, v2 src0_sel:BYTE_0 src1_sel:DWORD
	v_mov_b32_e32 v20, 0
	s_andn2_b32 s16, s16, exec_lo
	s_and_b32 s63, s63, exec_lo
	s_or_b32 s16, s16, s63
	s_or_b32 exec_lo, exec_lo, s62
	s_and_saveexec_b32 s62, s16
	s_cbranch_execnz .LBB4_443
	s_branch .LBB4_444
.LBB4_1014:                             ;   in Loop: Header=BB4_358 Depth=4
	s_or_saveexec_b32 s62, s62
	v_mov_b32_e32 v89, 0x7f800001
	s_xor_b32 exec_lo, exec_lo, s62
	s_cbranch_execz .LBB4_448
.LBB4_1015:                             ;   in Loop: Header=BB4_358 Depth=4
	v_cmp_ne_u16_sdwa s63, v17, v2 src0_sel:BYTE_0 src1_sel:DWORD
	v_mov_b32_e32 v89, 0
	s_andn2_b32 s16, s16, exec_lo
	s_and_b32 s63, s63, exec_lo
	s_or_b32 s16, s16, s63
	s_or_b32 exec_lo, exec_lo, s62
	s_and_saveexec_b32 s62, s16
	s_cbranch_execnz .LBB4_449
	s_branch .LBB4_450
.LBB4_1016:                             ;   in Loop: Header=BB4_358 Depth=4
	s_or_saveexec_b32 s62, s62
	v_mov_b32_e32 v89, 0x7f800001
	s_xor_b32 exec_lo, exec_lo, s62
	s_cbranch_execz .LBB4_462
.LBB4_1017:                             ;   in Loop: Header=BB4_358 Depth=4
	v_cmp_ne_u16_sdwa s63, v21, v2 src0_sel:BYTE_1 src1_sel:DWORD
	v_mov_b32_e32 v89, 0
	s_andn2_b32 s16, s16, exec_lo
	s_and_b32 s63, s63, exec_lo
	s_or_b32 s16, s16, s63
	s_or_b32 exec_lo, exec_lo, s62
	s_and_saveexec_b32 s62, s16
	s_cbranch_execnz .LBB4_463
	s_branch .LBB4_464
.LBB4_1018:                             ;   in Loop: Header=BB4_358 Depth=4
	s_or_saveexec_b32 s62, s62
	v_mov_b32_e32 v90, 0x7f800001
	s_xor_b32 exec_lo, exec_lo, s62
	s_cbranch_execz .LBB4_468
.LBB4_1019:                             ;   in Loop: Header=BB4_358 Depth=4
	v_cmp_ne_u16_sdwa s63, v17, v2 src0_sel:BYTE_1 src1_sel:DWORD
	v_mov_b32_e32 v90, 0
	s_andn2_b32 s16, s16, exec_lo
	s_and_b32 s63, s63, exec_lo
	s_or_b32 s16, s16, s63
	s_or_b32 exec_lo, exec_lo, s62
	s_and_saveexec_b32 s62, s16
	s_cbranch_execnz .LBB4_469
	s_branch .LBB4_470
.LBB4_1020:                             ;   in Loop: Header=BB4_358 Depth=4
	s_or_saveexec_b32 s62, s62
	v_mov_b32_e32 v90, 0x7f800001
	s_xor_b32 exec_lo, exec_lo, s62
	s_cbranch_execz .LBB4_482
.LBB4_1021:                             ;   in Loop: Header=BB4_358 Depth=4
	v_cmp_ne_u16_e32 vcc_lo, 0, v91
	v_mov_b32_e32 v90, 0
	s_andn2_b32 s16, s16, exec_lo
	s_and_b32 s63, vcc_lo, exec_lo
	s_or_b32 s16, s16, s63
	s_or_b32 exec_lo, exec_lo, s62
	s_and_saveexec_b32 s62, s16
	s_cbranch_execnz .LBB4_483
	s_branch .LBB4_484
.LBB4_1022:                             ;   in Loop: Header=BB4_358 Depth=4
	s_or_saveexec_b32 s62, s62
	v_mov_b32_e32 v91, 0x7f800001
	s_xor_b32 exec_lo, exec_lo, s62
	s_cbranch_execz .LBB4_488
.LBB4_1023:                             ;   in Loop: Header=BB4_358 Depth=4
	v_cmp_ne_u16_e32 vcc_lo, 0, v92
	v_mov_b32_e32 v91, 0
	s_andn2_b32 s16, s16, exec_lo
	s_and_b32 s63, vcc_lo, exec_lo
	s_or_b32 s16, s16, s63
	s_or_b32 exec_lo, exec_lo, s62
	s_and_saveexec_b32 s62, s16
	s_cbranch_execnz .LBB4_489
	s_branch .LBB4_490
.LBB4_1024:                             ;   in Loop: Header=BB4_358 Depth=4
	s_or_saveexec_b32 s62, s62
	v_mov_b32_e32 v91, 0x7f800001
	s_xor_b32 exec_lo, exec_lo, s62
	s_cbranch_execz .LBB4_502
.LBB4_1025:                             ;   in Loop: Header=BB4_358 Depth=4
	v_cmp_ne_u16_sdwa s63, v21, v2 src0_sel:BYTE_3 src1_sel:DWORD
	v_mov_b32_e32 v91, 0
	s_andn2_b32 s16, s16, exec_lo
	s_and_b32 s63, s63, exec_lo
	s_or_b32 s16, s16, s63
	s_or_b32 exec_lo, exec_lo, s62
	s_and_saveexec_b32 s62, s16
	s_cbranch_execnz .LBB4_503
	s_branch .LBB4_504
.LBB4_1026:                             ;   in Loop: Header=BB4_358 Depth=4
	s_or_saveexec_b32 s62, s62
	v_mov_b32_e32 v21, 0x7f800001
	s_xor_b32 exec_lo, exec_lo, s62
	s_cbranch_execz .LBB4_508
.LBB4_1027:                             ;   in Loop: Header=BB4_358 Depth=4
	v_cmp_ne_u16_sdwa s63, v17, v2 src0_sel:BYTE_3 src1_sel:DWORD
	v_mov_b32_e32 v21, 0
	s_andn2_b32 s16, s16, exec_lo
	s_and_b32 s63, s63, exec_lo
	s_or_b32 s16, s16, s63
	s_or_b32 exec_lo, exec_lo, s62
	s_and_saveexec_b32 s62, s16
	s_cbranch_execnz .LBB4_509
	s_branch .LBB4_510
.LBB4_1028:                             ;   in Loop: Header=BB4_358 Depth=4
	s_or_saveexec_b32 s62, s62
	v_mov_b32_e32 v21, 0x7f800001
	s_xor_b32 exec_lo, exec_lo, s62
	s_cbranch_execz .LBB4_522
.LBB4_1029:                             ;   in Loop: Header=BB4_358 Depth=4
	v_cmp_ne_u16_sdwa s63, v22, v2 src0_sel:BYTE_0 src1_sel:DWORD
	v_mov_b32_e32 v21, 0
	s_andn2_b32 s16, s16, exec_lo
	s_and_b32 s63, s63, exec_lo
	s_or_b32 s16, s16, s63
	s_or_b32 exec_lo, exec_lo, s62
	s_and_saveexec_b32 s62, s16
	s_cbranch_execnz .LBB4_523
	s_branch .LBB4_524
.LBB4_1030:                             ;   in Loop: Header=BB4_358 Depth=4
	s_or_saveexec_b32 s62, s62
	v_mov_b32_e32 v91, 0x7f800001
	s_xor_b32 exec_lo, exec_lo, s62
	s_cbranch_execz .LBB4_528
.LBB4_1031:                             ;   in Loop: Header=BB4_358 Depth=4
	v_cmp_ne_u16_sdwa s63, v18, v2 src0_sel:BYTE_0 src1_sel:DWORD
	v_mov_b32_e32 v91, 0
	s_andn2_b32 s16, s16, exec_lo
	s_and_b32 s63, s63, exec_lo
	s_or_b32 s16, s16, s63
	s_or_b32 exec_lo, exec_lo, s62
	s_and_saveexec_b32 s62, s16
	s_cbranch_execnz .LBB4_529
	s_branch .LBB4_530
.LBB4_1032:                             ;   in Loop: Header=BB4_358 Depth=4
	s_or_saveexec_b32 s62, s62
	v_mov_b32_e32 v91, 0x7f800001
	s_xor_b32 exec_lo, exec_lo, s62
	s_cbranch_execz .LBB4_542
.LBB4_1033:                             ;   in Loop: Header=BB4_358 Depth=4
	v_cmp_ne_u16_sdwa s63, v22, v2 src0_sel:BYTE_1 src1_sel:DWORD
	v_mov_b32_e32 v91, 0
	s_andn2_b32 s16, s16, exec_lo
	s_and_b32 s63, s63, exec_lo
	s_or_b32 s16, s16, s63
	s_or_b32 exec_lo, exec_lo, s62
	s_and_saveexec_b32 s62, s16
	s_cbranch_execnz .LBB4_543
	s_branch .LBB4_544
.LBB4_1034:                             ;   in Loop: Header=BB4_358 Depth=4
	s_or_saveexec_b32 s62, s62
	v_mov_b32_e32 v92, 0x7f800001
	s_xor_b32 exec_lo, exec_lo, s62
	s_cbranch_execz .LBB4_548
.LBB4_1035:                             ;   in Loop: Header=BB4_358 Depth=4
	v_cmp_ne_u16_sdwa s63, v18, v2 src0_sel:BYTE_1 src1_sel:DWORD
	v_mov_b32_e32 v92, 0
	s_andn2_b32 s16, s16, exec_lo
	s_and_b32 s63, s63, exec_lo
	s_or_b32 s16, s16, s63
	s_or_b32 exec_lo, exec_lo, s62
	s_and_saveexec_b32 s62, s16
	s_cbranch_execnz .LBB4_549
	s_branch .LBB4_550
.LBB4_1036:                             ;   in Loop: Header=BB4_358 Depth=4
	s_or_saveexec_b32 s62, s62
	v_mov_b32_e32 v92, 0x7f800001
	s_xor_b32 exec_lo, exec_lo, s62
	s_cbranch_execz .LBB4_562
.LBB4_1037:                             ;   in Loop: Header=BB4_358 Depth=4
	v_cmp_ne_u16_e32 vcc_lo, 0, v93
	v_mov_b32_e32 v92, 0
	s_andn2_b32 s16, s16, exec_lo
	s_and_b32 s63, vcc_lo, exec_lo
	s_or_b32 s16, s16, s63
	s_or_b32 exec_lo, exec_lo, s62
	s_and_saveexec_b32 s62, s16
	s_cbranch_execnz .LBB4_563
	s_branch .LBB4_564
.LBB4_1038:                             ;   in Loop: Header=BB4_358 Depth=4
	s_or_saveexec_b32 s62, s62
	v_mov_b32_e32 v93, 0x7f800001
	s_xor_b32 exec_lo, exec_lo, s62
	s_cbranch_execz .LBB4_568
.LBB4_1039:                             ;   in Loop: Header=BB4_358 Depth=4
	v_cmp_ne_u16_e32 vcc_lo, 0, v94
	v_mov_b32_e32 v93, 0
	s_andn2_b32 s16, s16, exec_lo
	s_and_b32 s63, vcc_lo, exec_lo
	s_or_b32 s16, s16, s63
	s_or_b32 exec_lo, exec_lo, s62
	s_and_saveexec_b32 s62, s16
	s_cbranch_execnz .LBB4_569
	s_branch .LBB4_570
.LBB4_1040:                             ;   in Loop: Header=BB4_358 Depth=4
	s_or_saveexec_b32 s62, s62
	v_mov_b32_e32 v93, 0x7f800001
	s_xor_b32 exec_lo, exec_lo, s62
	s_cbranch_execz .LBB4_582
.LBB4_1041:                             ;   in Loop: Header=BB4_358 Depth=4
	v_cmp_ne_u16_sdwa s63, v22, v2 src0_sel:BYTE_3 src1_sel:DWORD
	v_mov_b32_e32 v93, 0
	s_andn2_b32 s16, s16, exec_lo
	s_and_b32 s63, s63, exec_lo
	s_or_b32 s16, s16, s63
	s_or_b32 exec_lo, exec_lo, s62
	s_and_saveexec_b32 s62, s16
	s_cbranch_execnz .LBB4_583
	s_branch .LBB4_584
.LBB4_1042:                             ;   in Loop: Header=BB4_358 Depth=4
	s_or_saveexec_b32 s62, s62
	v_mov_b32_e32 v22, 0x7f800001
	s_xor_b32 exec_lo, exec_lo, s62
	s_cbranch_execz .LBB4_588
.LBB4_1043:                             ;   in Loop: Header=BB4_358 Depth=4
	v_cmp_ne_u16_sdwa s63, v18, v2 src0_sel:BYTE_3 src1_sel:DWORD
	v_mov_b32_e32 v22, 0
	s_andn2_b32 s16, s16, exec_lo
	s_and_b32 s63, s63, exec_lo
	s_or_b32 s16, s16, s63
	s_or_b32 exec_lo, exec_lo, s62
	s_and_saveexec_b32 s62, s16
	s_cbranch_execnz .LBB4_589
	s_branch .LBB4_590
.LBB4_1044:                             ;   in Loop: Header=BB4_358 Depth=4
	s_or_saveexec_b32 s62, s62
	v_mov_b32_e32 v22, 0x7f800001
	s_xor_b32 exec_lo, exec_lo, s62
	s_cbranch_execz .LBB4_602
.LBB4_1045:                             ;   in Loop: Header=BB4_358 Depth=4
	v_cmp_ne_u16_sdwa s63, v23, v2 src0_sel:BYTE_0 src1_sel:DWORD
	v_mov_b32_e32 v22, 0
	s_andn2_b32 s16, s16, exec_lo
	s_and_b32 s63, s63, exec_lo
	s_or_b32 s16, s16, s63
	s_or_b32 exec_lo, exec_lo, s62
	s_and_saveexec_b32 s62, s16
	s_cbranch_execnz .LBB4_603
	s_branch .LBB4_604
.LBB4_1046:                             ;   in Loop: Header=BB4_358 Depth=4
	s_or_saveexec_b32 s62, s62
	v_mov_b32_e32 v93, 0x7f800001
	s_xor_b32 exec_lo, exec_lo, s62
	s_cbranch_execz .LBB4_608
.LBB4_1047:                             ;   in Loop: Header=BB4_358 Depth=4
	v_cmp_ne_u16_sdwa s63, v19, v2 src0_sel:BYTE_0 src1_sel:DWORD
	v_mov_b32_e32 v93, 0
	s_andn2_b32 s16, s16, exec_lo
	s_and_b32 s63, s63, exec_lo
	s_or_b32 s16, s16, s63
	s_or_b32 exec_lo, exec_lo, s62
	s_and_saveexec_b32 s62, s16
	s_cbranch_execnz .LBB4_609
	s_branch .LBB4_610
.LBB4_1048:                             ;   in Loop: Header=BB4_358 Depth=4
	s_or_saveexec_b32 s62, s62
	v_mov_b32_e32 v93, 0x7f800001
	s_xor_b32 exec_lo, exec_lo, s62
	s_cbranch_execz .LBB4_622
.LBB4_1049:                             ;   in Loop: Header=BB4_358 Depth=4
	v_cmp_ne_u16_sdwa s63, v23, v2 src0_sel:BYTE_1 src1_sel:DWORD
	v_mov_b32_e32 v93, 0
	s_andn2_b32 s16, s16, exec_lo
	s_and_b32 s63, s63, exec_lo
	s_or_b32 s16, s16, s63
	s_or_b32 exec_lo, exec_lo, s62
	s_and_saveexec_b32 s62, s16
	s_cbranch_execnz .LBB4_623
	s_branch .LBB4_624
.LBB4_1050:                             ;   in Loop: Header=BB4_358 Depth=4
	s_or_saveexec_b32 s62, s62
	v_mov_b32_e32 v94, 0x7f800001
	s_xor_b32 exec_lo, exec_lo, s62
	s_cbranch_execz .LBB4_628
.LBB4_1051:                             ;   in Loop: Header=BB4_358 Depth=4
	v_cmp_ne_u16_sdwa s63, v19, v2 src0_sel:BYTE_1 src1_sel:DWORD
	v_mov_b32_e32 v94, 0
	s_andn2_b32 s16, s16, exec_lo
	s_and_b32 s63, s63, exec_lo
	s_or_b32 s16, s16, s63
	s_or_b32 exec_lo, exec_lo, s62
	s_and_saveexec_b32 s62, s16
	s_cbranch_execnz .LBB4_629
	s_branch .LBB4_630
.LBB4_1052:                             ;   in Loop: Header=BB4_358 Depth=4
	s_or_saveexec_b32 s62, s62
	v_mov_b32_e32 v94, 0x7f800001
	s_xor_b32 exec_lo, exec_lo, s62
	s_cbranch_execz .LBB4_642
.LBB4_1053:                             ;   in Loop: Header=BB4_358 Depth=4
	v_cmp_ne_u16_e32 vcc_lo, 0, v95
	v_mov_b32_e32 v94, 0
	s_andn2_b32 s16, s16, exec_lo
	s_and_b32 s63, vcc_lo, exec_lo
	s_or_b32 s16, s16, s63
	s_or_b32 exec_lo, exec_lo, s62
	s_and_saveexec_b32 s62, s16
	s_cbranch_execnz .LBB4_643
	s_branch .LBB4_644
.LBB4_1054:                             ;   in Loop: Header=BB4_358 Depth=4
	s_or_saveexec_b32 s62, s62
	v_mov_b32_e32 v95, 0x7f800001
	s_xor_b32 exec_lo, exec_lo, s62
	s_cbranch_execz .LBB4_648
.LBB4_1055:                             ;   in Loop: Header=BB4_358 Depth=4
	v_cmp_ne_u16_e32 vcc_lo, 0, v104
	v_mov_b32_e32 v95, 0
	s_andn2_b32 s16, s16, exec_lo
	s_and_b32 s63, vcc_lo, exec_lo
	s_or_b32 s16, s16, s63
	s_or_b32 exec_lo, exec_lo, s62
	s_and_saveexec_b32 s62, s16
	s_cbranch_execnz .LBB4_649
	s_branch .LBB4_650
.LBB4_1056:                             ;   in Loop: Header=BB4_358 Depth=4
	s_or_saveexec_b32 s62, s62
	v_mov_b32_e32 v95, 0x7f800001
	s_xor_b32 exec_lo, exec_lo, s62
	s_cbranch_execz .LBB4_662
.LBB4_1057:                             ;   in Loop: Header=BB4_358 Depth=4
	v_cmp_ne_u16_sdwa s63, v23, v2 src0_sel:BYTE_3 src1_sel:DWORD
	v_mov_b32_e32 v95, 0
	s_andn2_b32 s16, s16, exec_lo
	s_and_b32 s63, s63, exec_lo
	s_or_b32 s16, s16, s63
	s_or_b32 exec_lo, exec_lo, s62
	s_and_saveexec_b32 s62, s16
	s_cbranch_execnz .LBB4_663
	s_branch .LBB4_664
.LBB4_1058:                             ;   in Loop: Header=BB4_358 Depth=4
	s_or_saveexec_b32 s62, s62
	v_mov_b32_e32 v23, 0x7f800001
	s_xor_b32 exec_lo, exec_lo, s62
	s_cbranch_execz .LBB4_668
.LBB4_1059:                             ;   in Loop: Header=BB4_358 Depth=4
	v_cmp_ne_u16_sdwa s63, v19, v2 src0_sel:BYTE_3 src1_sel:DWORD
	v_mov_b32_e32 v23, 0
	s_andn2_b32 s16, s16, exec_lo
	s_and_b32 s63, s63, exec_lo
	s_or_b32 s16, s16, s63
	s_or_b32 exec_lo, exec_lo, s62
	s_and_saveexec_b32 s62, s16
	s_cbranch_execnz .LBB4_669
	s_branch .LBB4_670
.LBB4_1060:                             ;   in Loop: Header=BB4_358 Depth=4
	s_or_saveexec_b32 s62, s62
	v_mov_b32_e32 v23, 0x7f800001
	s_xor_b32 exec_lo, exec_lo, s62
	s_cbranch_execz .LBB4_682
.LBB4_1061:                             ;   in Loop: Header=BB4_358 Depth=4
	v_cmp_ne_u16_sdwa s63, v12, v2 src0_sel:BYTE_0 src1_sel:DWORD
	v_mov_b32_e32 v23, 0
	s_andn2_b32 s16, s16, exec_lo
	s_and_b32 s63, s63, exec_lo
	s_or_b32 s16, s16, s63
	s_or_b32 exec_lo, exec_lo, s62
	s_and_saveexec_b32 s62, s16
	s_cbranch_execnz .LBB4_683
	s_branch .LBB4_684
.LBB4_1062:                             ;   in Loop: Header=BB4_358 Depth=4
	s_or_saveexec_b32 s62, s62
	v_mov_b32_e32 v95, 0x7f800001
	s_xor_b32 exec_lo, exec_lo, s62
	s_cbranch_execz .LBB4_688
.LBB4_1063:                             ;   in Loop: Header=BB4_358 Depth=4
	v_cmp_ne_u16_sdwa s63, v8, v2 src0_sel:BYTE_0 src1_sel:DWORD
	v_mov_b32_e32 v95, 0
	s_andn2_b32 s16, s16, exec_lo
	s_and_b32 s63, s63, exec_lo
	s_or_b32 s16, s16, s63
	s_or_b32 exec_lo, exec_lo, s62
	s_and_saveexec_b32 s62, s16
	s_cbranch_execnz .LBB4_689
	s_branch .LBB4_690
.LBB4_1064:                             ;   in Loop: Header=BB4_358 Depth=4
	s_or_saveexec_b32 s62, s62
	v_mov_b32_e32 v95, 0x7f800001
	s_xor_b32 exec_lo, exec_lo, s62
	s_cbranch_execz .LBB4_702
.LBB4_1065:                             ;   in Loop: Header=BB4_358 Depth=4
	v_cmp_ne_u16_sdwa s63, v12, v2 src0_sel:BYTE_1 src1_sel:DWORD
	v_mov_b32_e32 v95, 0
	s_andn2_b32 s16, s16, exec_lo
	s_and_b32 s63, s63, exec_lo
	s_or_b32 s16, s16, s63
	s_or_b32 exec_lo, exec_lo, s62
	s_and_saveexec_b32 s62, s16
	s_cbranch_execnz .LBB4_703
	s_branch .LBB4_704
.LBB4_1066:                             ;   in Loop: Header=BB4_358 Depth=4
	s_or_saveexec_b32 s62, s62
	v_mov_b32_e32 v104, 0x7f800001
	s_xor_b32 exec_lo, exec_lo, s62
	s_cbranch_execz .LBB4_708
.LBB4_1067:                             ;   in Loop: Header=BB4_358 Depth=4
	v_cmp_ne_u16_sdwa s63, v8, v2 src0_sel:BYTE_1 src1_sel:DWORD
	v_mov_b32_e32 v104, 0
	s_andn2_b32 s16, s16, exec_lo
	s_and_b32 s63, s63, exec_lo
	s_or_b32 s16, s16, s63
	s_or_b32 exec_lo, exec_lo, s62
	s_and_saveexec_b32 s62, s16
	s_cbranch_execnz .LBB4_709
	s_branch .LBB4_710
.LBB4_1068:                             ;   in Loop: Header=BB4_358 Depth=4
	s_or_saveexec_b32 s62, s62
	v_mov_b32_e32 v104, 0x7f800001
	s_xor_b32 exec_lo, exec_lo, s62
	s_cbranch_execz .LBB4_722
.LBB4_1069:                             ;   in Loop: Header=BB4_358 Depth=4
	v_cmp_ne_u16_e32 vcc_lo, 0, v105
	v_mov_b32_e32 v104, 0
	s_andn2_b32 s16, s16, exec_lo
	s_and_b32 s63, vcc_lo, exec_lo
	s_or_b32 s16, s16, s63
	s_or_b32 exec_lo, exec_lo, s62
	s_and_saveexec_b32 s62, s16
	s_cbranch_execnz .LBB4_723
	s_branch .LBB4_724
.LBB4_1070:                             ;   in Loop: Header=BB4_358 Depth=4
	s_or_saveexec_b32 s62, s62
	v_mov_b32_e32 v105, 0x7f800001
	s_xor_b32 exec_lo, exec_lo, s62
	s_cbranch_execz .LBB4_728
.LBB4_1071:                             ;   in Loop: Header=BB4_358 Depth=4
	v_cmp_ne_u16_e32 vcc_lo, 0, v106
	v_mov_b32_e32 v105, 0
	s_andn2_b32 s16, s16, exec_lo
	s_and_b32 s63, vcc_lo, exec_lo
	s_or_b32 s16, s16, s63
	s_or_b32 exec_lo, exec_lo, s62
	s_and_saveexec_b32 s62, s16
	s_cbranch_execnz .LBB4_729
	s_branch .LBB4_730
.LBB4_1072:                             ;   in Loop: Header=BB4_358 Depth=4
	s_or_saveexec_b32 s62, s62
	v_mov_b32_e32 v105, 0x7f800001
	s_xor_b32 exec_lo, exec_lo, s62
	s_cbranch_execz .LBB4_742
.LBB4_1073:                             ;   in Loop: Header=BB4_358 Depth=4
	v_cmp_ne_u16_sdwa s63, v12, v2 src0_sel:BYTE_3 src1_sel:DWORD
	v_mov_b32_e32 v105, 0
	s_andn2_b32 s16, s16, exec_lo
	s_and_b32 s63, s63, exec_lo
	s_or_b32 s16, s16, s63
	s_or_b32 exec_lo, exec_lo, s62
	s_and_saveexec_b32 s62, s16
	s_cbranch_execnz .LBB4_743
	s_branch .LBB4_744
.LBB4_1074:                             ;   in Loop: Header=BB4_358 Depth=4
	s_or_saveexec_b32 s62, s62
	v_mov_b32_e32 v12, 0x7f800001
	s_xor_b32 exec_lo, exec_lo, s62
	s_cbranch_execz .LBB4_748
.LBB4_1075:                             ;   in Loop: Header=BB4_358 Depth=4
	v_cmp_ne_u16_sdwa s63, v8, v2 src0_sel:BYTE_3 src1_sel:DWORD
	v_mov_b32_e32 v12, 0
	s_andn2_b32 s16, s16, exec_lo
	s_and_b32 s63, s63, exec_lo
	s_or_b32 s16, s16, s63
	s_or_b32 exec_lo, exec_lo, s62
	s_and_saveexec_b32 s62, s16
	s_cbranch_execnz .LBB4_749
	s_branch .LBB4_750
.LBB4_1076:                             ;   in Loop: Header=BB4_358 Depth=4
	s_or_saveexec_b32 s62, s62
	v_mov_b32_e32 v12, 0x7f800001
	s_xor_b32 exec_lo, exec_lo, s62
	s_cbranch_execz .LBB4_762
.LBB4_1077:                             ;   in Loop: Header=BB4_358 Depth=4
	v_cmp_ne_u16_sdwa s63, v13, v2 src0_sel:BYTE_0 src1_sel:DWORD
	v_mov_b32_e32 v12, 0
	s_andn2_b32 s16, s16, exec_lo
	s_and_b32 s63, s63, exec_lo
	s_or_b32 s16, s16, s63
	s_or_b32 exec_lo, exec_lo, s62
	s_and_saveexec_b32 s62, s16
	s_cbranch_execnz .LBB4_763
	s_branch .LBB4_764
.LBB4_1078:                             ;   in Loop: Header=BB4_358 Depth=4
	s_or_saveexec_b32 s62, s62
	v_mov_b32_e32 v105, 0x7f800001
	s_xor_b32 exec_lo, exec_lo, s62
	s_cbranch_execz .LBB4_768
.LBB4_1079:                             ;   in Loop: Header=BB4_358 Depth=4
	v_cmp_ne_u16_sdwa s63, v9, v2 src0_sel:BYTE_0 src1_sel:DWORD
	v_mov_b32_e32 v105, 0
	s_andn2_b32 s16, s16, exec_lo
	s_and_b32 s63, s63, exec_lo
	s_or_b32 s16, s16, s63
	s_or_b32 exec_lo, exec_lo, s62
	s_and_saveexec_b32 s62, s16
	s_cbranch_execnz .LBB4_769
	s_branch .LBB4_770
.LBB4_1080:                             ;   in Loop: Header=BB4_358 Depth=4
	s_or_saveexec_b32 s62, s62
	v_mov_b32_e32 v105, 0x7f800001
	s_xor_b32 exec_lo, exec_lo, s62
	s_cbranch_execz .LBB4_782
.LBB4_1081:                             ;   in Loop: Header=BB4_358 Depth=4
	v_cmp_ne_u16_sdwa s63, v13, v2 src0_sel:BYTE_1 src1_sel:DWORD
	v_mov_b32_e32 v105, 0
	s_andn2_b32 s16, s16, exec_lo
	s_and_b32 s63, s63, exec_lo
	s_or_b32 s16, s16, s63
	s_or_b32 exec_lo, exec_lo, s62
	s_and_saveexec_b32 s62, s16
	s_cbranch_execnz .LBB4_783
	s_branch .LBB4_784
.LBB4_1082:                             ;   in Loop: Header=BB4_358 Depth=4
	s_or_saveexec_b32 s62, s62
	v_mov_b32_e32 v106, 0x7f800001
	s_xor_b32 exec_lo, exec_lo, s62
	s_cbranch_execz .LBB4_788
.LBB4_1083:                             ;   in Loop: Header=BB4_358 Depth=4
	v_cmp_ne_u16_sdwa s63, v9, v2 src0_sel:BYTE_1 src1_sel:DWORD
	v_mov_b32_e32 v106, 0
	s_andn2_b32 s16, s16, exec_lo
	s_and_b32 s63, s63, exec_lo
	s_or_b32 s16, s16, s63
	s_or_b32 exec_lo, exec_lo, s62
	s_and_saveexec_b32 s62, s16
	s_cbranch_execnz .LBB4_789
	s_branch .LBB4_790
.LBB4_1084:                             ;   in Loop: Header=BB4_358 Depth=4
	s_or_saveexec_b32 s62, s62
	v_mov_b32_e32 v106, 0x7f800001
	s_xor_b32 exec_lo, exec_lo, s62
	s_cbranch_execz .LBB4_802
.LBB4_1085:                             ;   in Loop: Header=BB4_358 Depth=4
	v_cmp_ne_u16_e32 vcc_lo, 0, v107
	v_mov_b32_e32 v106, 0
	s_andn2_b32 s16, s16, exec_lo
	s_and_b32 s63, vcc_lo, exec_lo
	s_or_b32 s16, s16, s63
	s_or_b32 exec_lo, exec_lo, s62
	s_and_saveexec_b32 s62, s16
	s_cbranch_execnz .LBB4_803
	s_branch .LBB4_804
.LBB4_1086:                             ;   in Loop: Header=BB4_358 Depth=4
	s_or_saveexec_b32 s62, s62
	v_mov_b32_e32 v107, 0x7f800001
	s_xor_b32 exec_lo, exec_lo, s62
	s_cbranch_execz .LBB4_808
.LBB4_1087:                             ;   in Loop: Header=BB4_358 Depth=4
	v_cmp_ne_u16_e32 vcc_lo, 0, v108
	v_mov_b32_e32 v107, 0
	s_andn2_b32 s16, s16, exec_lo
	s_and_b32 s63, vcc_lo, exec_lo
	s_or_b32 s16, s16, s63
	s_or_b32 exec_lo, exec_lo, s62
	s_and_saveexec_b32 s62, s16
	s_cbranch_execnz .LBB4_809
	s_branch .LBB4_810
.LBB4_1088:                             ;   in Loop: Header=BB4_358 Depth=4
	s_or_saveexec_b32 s62, s62
	v_mov_b32_e32 v107, 0x7f800001
	s_xor_b32 exec_lo, exec_lo, s62
	s_cbranch_execz .LBB4_822
.LBB4_1089:                             ;   in Loop: Header=BB4_358 Depth=4
	v_cmp_ne_u16_sdwa s63, v13, v2 src0_sel:BYTE_3 src1_sel:DWORD
	v_mov_b32_e32 v107, 0
	s_andn2_b32 s16, s16, exec_lo
	s_and_b32 s63, s63, exec_lo
	s_or_b32 s16, s16, s63
	s_or_b32 exec_lo, exec_lo, s62
	s_and_saveexec_b32 s62, s16
	s_cbranch_execnz .LBB4_823
	s_branch .LBB4_824
.LBB4_1090:                             ;   in Loop: Header=BB4_358 Depth=4
	s_or_saveexec_b32 s62, s62
	v_mov_b32_e32 v13, 0x7f800001
	s_xor_b32 exec_lo, exec_lo, s62
	s_cbranch_execz .LBB4_828
.LBB4_1091:                             ;   in Loop: Header=BB4_358 Depth=4
	v_cmp_ne_u16_sdwa s63, v9, v2 src0_sel:BYTE_3 src1_sel:DWORD
	v_mov_b32_e32 v13, 0
	s_andn2_b32 s16, s16, exec_lo
	s_and_b32 s63, s63, exec_lo
	s_or_b32 s16, s16, s63
	s_or_b32 exec_lo, exec_lo, s62
	s_and_saveexec_b32 s62, s16
	s_cbranch_execnz .LBB4_829
	s_branch .LBB4_830
.LBB4_1092:                             ;   in Loop: Header=BB4_358 Depth=4
	s_or_saveexec_b32 s62, s62
	v_mov_b32_e32 v13, 0x7f800001
	s_xor_b32 exec_lo, exec_lo, s62
	s_cbranch_execz .LBB4_842
.LBB4_1093:                             ;   in Loop: Header=BB4_358 Depth=4
	v_cmp_ne_u16_sdwa s63, v14, v2 src0_sel:BYTE_0 src1_sel:DWORD
	v_mov_b32_e32 v13, 0
	s_andn2_b32 s16, s16, exec_lo
	s_and_b32 s63, s63, exec_lo
	s_or_b32 s16, s16, s63
	s_or_b32 exec_lo, exec_lo, s62
	s_and_saveexec_b32 s62, s16
	s_cbranch_execnz .LBB4_843
	s_branch .LBB4_844
.LBB4_1094:                             ;   in Loop: Header=BB4_358 Depth=4
	s_or_saveexec_b32 s62, s62
	v_mov_b32_e32 v107, 0x7f800001
	s_xor_b32 exec_lo, exec_lo, s62
	s_cbranch_execz .LBB4_848
.LBB4_1095:                             ;   in Loop: Header=BB4_358 Depth=4
	v_cmp_ne_u16_sdwa s63, v10, v2 src0_sel:BYTE_0 src1_sel:DWORD
	v_mov_b32_e32 v107, 0
	s_andn2_b32 s16, s16, exec_lo
	s_and_b32 s63, s63, exec_lo
	s_or_b32 s16, s16, s63
	s_or_b32 exec_lo, exec_lo, s62
	s_and_saveexec_b32 s62, s16
	s_cbranch_execnz .LBB4_849
	s_branch .LBB4_850
.LBB4_1096:                             ;   in Loop: Header=BB4_358 Depth=4
	s_or_saveexec_b32 s62, s62
	v_mov_b32_e32 v107, 0x7f800001
	s_xor_b32 exec_lo, exec_lo, s62
	s_cbranch_execz .LBB4_862
.LBB4_1097:                             ;   in Loop: Header=BB4_358 Depth=4
	v_cmp_ne_u16_sdwa s63, v14, v2 src0_sel:BYTE_1 src1_sel:DWORD
	v_mov_b32_e32 v107, 0
	s_andn2_b32 s16, s16, exec_lo
	s_and_b32 s63, s63, exec_lo
	s_or_b32 s16, s16, s63
	s_or_b32 exec_lo, exec_lo, s62
	s_and_saveexec_b32 s62, s16
	s_cbranch_execnz .LBB4_863
	s_branch .LBB4_864
.LBB4_1098:                             ;   in Loop: Header=BB4_358 Depth=4
	s_or_saveexec_b32 s62, s62
	v_mov_b32_e32 v108, 0x7f800001
	s_xor_b32 exec_lo, exec_lo, s62
	s_cbranch_execz .LBB4_868
.LBB4_1099:                             ;   in Loop: Header=BB4_358 Depth=4
	v_cmp_ne_u16_sdwa s63, v10, v2 src0_sel:BYTE_1 src1_sel:DWORD
	v_mov_b32_e32 v108, 0
	s_andn2_b32 s16, s16, exec_lo
	s_and_b32 s63, s63, exec_lo
	s_or_b32 s16, s16, s63
	s_or_b32 exec_lo, exec_lo, s62
	s_and_saveexec_b32 s62, s16
	s_cbranch_execnz .LBB4_869
	s_branch .LBB4_870
.LBB4_1100:                             ;   in Loop: Header=BB4_358 Depth=4
	s_or_saveexec_b32 s62, s62
	v_mov_b32_e32 v108, 0x7f800001
	s_xor_b32 exec_lo, exec_lo, s62
	s_cbranch_execz .LBB4_882
.LBB4_1101:                             ;   in Loop: Header=BB4_358 Depth=4
	v_cmp_ne_u16_e32 vcc_lo, 0, v109
	v_mov_b32_e32 v108, 0
	s_andn2_b32 s16, s16, exec_lo
	s_and_b32 s63, vcc_lo, exec_lo
	s_or_b32 s16, s16, s63
	s_or_b32 exec_lo, exec_lo, s62
	s_and_saveexec_b32 s62, s16
	s_cbranch_execnz .LBB4_883
	s_branch .LBB4_884
.LBB4_1102:                             ;   in Loop: Header=BB4_358 Depth=4
	s_or_saveexec_b32 s62, s62
	v_mov_b32_e32 v109, 0x7f800001
	s_xor_b32 exec_lo, exec_lo, s62
	s_cbranch_execz .LBB4_888
.LBB4_1103:                             ;   in Loop: Header=BB4_358 Depth=4
	v_cmp_ne_u16_e32 vcc_lo, 0, v110
	v_mov_b32_e32 v109, 0
	s_andn2_b32 s16, s16, exec_lo
	s_and_b32 s63, vcc_lo, exec_lo
	s_or_b32 s16, s16, s63
	s_or_b32 exec_lo, exec_lo, s62
	s_and_saveexec_b32 s62, s16
	s_cbranch_execnz .LBB4_889
	s_branch .LBB4_890
.LBB4_1104:                             ;   in Loop: Header=BB4_358 Depth=4
	s_or_saveexec_b32 s62, s62
	v_mov_b32_e32 v109, 0x7f800001
	s_xor_b32 exec_lo, exec_lo, s62
	s_cbranch_execz .LBB4_902
.LBB4_1105:                             ;   in Loop: Header=BB4_358 Depth=4
	v_cmp_ne_u16_sdwa s63, v14, v2 src0_sel:BYTE_3 src1_sel:DWORD
	v_mov_b32_e32 v109, 0
	s_andn2_b32 s16, s16, exec_lo
	s_and_b32 s63, s63, exec_lo
	s_or_b32 s16, s16, s63
	s_or_b32 exec_lo, exec_lo, s62
	s_and_saveexec_b32 s62, s16
	s_cbranch_execnz .LBB4_903
	s_branch .LBB4_904
.LBB4_1106:                             ;   in Loop: Header=BB4_358 Depth=4
	s_or_saveexec_b32 s62, s62
	v_mov_b32_e32 v14, 0x7f800001
	s_xor_b32 exec_lo, exec_lo, s62
	s_cbranch_execz .LBB4_908
.LBB4_1107:                             ;   in Loop: Header=BB4_358 Depth=4
	v_cmp_ne_u16_sdwa s63, v10, v2 src0_sel:BYTE_3 src1_sel:DWORD
	v_mov_b32_e32 v14, 0
	s_andn2_b32 s16, s16, exec_lo
	s_and_b32 s63, s63, exec_lo
	s_or_b32 s16, s16, s63
	s_or_b32 exec_lo, exec_lo, s62
	s_and_saveexec_b32 s62, s16
	s_cbranch_execnz .LBB4_909
	s_branch .LBB4_910
.LBB4_1108:                             ;   in Loop: Header=BB4_358 Depth=4
	s_or_saveexec_b32 s62, s62
	v_mov_b32_e32 v14, 0x7f800001
	s_xor_b32 exec_lo, exec_lo, s62
	s_cbranch_execz .LBB4_922
.LBB4_1109:                             ;   in Loop: Header=BB4_358 Depth=4
	v_cmp_ne_u16_sdwa s63, v15, v2 src0_sel:BYTE_0 src1_sel:DWORD
	v_mov_b32_e32 v14, 0
	s_andn2_b32 s16, s16, exec_lo
	s_and_b32 s63, s63, exec_lo
	s_or_b32 s16, s16, s63
	s_or_b32 exec_lo, exec_lo, s62
	s_and_saveexec_b32 s62, s16
	s_cbranch_execnz .LBB4_923
	s_branch .LBB4_924
.LBB4_1110:                             ;   in Loop: Header=BB4_358 Depth=4
	s_or_saveexec_b32 s62, s62
	v_mov_b32_e32 v109, 0x7f800001
	s_xor_b32 exec_lo, exec_lo, s62
	s_cbranch_execz .LBB4_928
.LBB4_1111:                             ;   in Loop: Header=BB4_358 Depth=4
	v_cmp_ne_u16_sdwa s63, v11, v2 src0_sel:BYTE_0 src1_sel:DWORD
	v_mov_b32_e32 v109, 0
	s_andn2_b32 s16, s16, exec_lo
	s_and_b32 s63, s63, exec_lo
	s_or_b32 s16, s16, s63
	s_or_b32 exec_lo, exec_lo, s62
	s_and_saveexec_b32 s62, s16
	s_cbranch_execnz .LBB4_929
	s_branch .LBB4_930
.LBB4_1112:                             ;   in Loop: Header=BB4_358 Depth=4
	s_or_saveexec_b32 s62, s62
	v_mov_b32_e32 v109, 0x7f800001
	s_xor_b32 exec_lo, exec_lo, s62
	s_cbranch_execz .LBB4_942
.LBB4_1113:                             ;   in Loop: Header=BB4_358 Depth=4
	v_cmp_ne_u16_sdwa s63, v15, v2 src0_sel:BYTE_1 src1_sel:DWORD
	v_mov_b32_e32 v109, 0
	s_andn2_b32 s16, s16, exec_lo
	s_and_b32 s63, s63, exec_lo
	s_or_b32 s16, s16, s63
	s_or_b32 exec_lo, exec_lo, s62
	s_and_saveexec_b32 s62, s16
	s_cbranch_execnz .LBB4_943
	s_branch .LBB4_944
.LBB4_1114:                             ;   in Loop: Header=BB4_358 Depth=4
	s_or_saveexec_b32 s62, s62
	v_mov_b32_e32 v110, 0x7f800001
	s_xor_b32 exec_lo, exec_lo, s62
	s_cbranch_execz .LBB4_948
.LBB4_1115:                             ;   in Loop: Header=BB4_358 Depth=4
	v_cmp_ne_u16_sdwa s63, v11, v2 src0_sel:BYTE_1 src1_sel:DWORD
	v_mov_b32_e32 v110, 0
	s_andn2_b32 s16, s16, exec_lo
	s_and_b32 s63, s63, exec_lo
	s_or_b32 s16, s16, s63
	s_or_b32 exec_lo, exec_lo, s62
	s_and_saveexec_b32 s62, s16
	s_cbranch_execnz .LBB4_949
	s_branch .LBB4_950
.LBB4_1116:                             ;   in Loop: Header=BB4_358 Depth=4
	s_or_saveexec_b32 s62, s62
	v_mov_b32_e32 v110, 0x7f800001
	s_xor_b32 exec_lo, exec_lo, s62
	s_cbranch_execz .LBB4_962
.LBB4_1117:                             ;   in Loop: Header=BB4_358 Depth=4
	v_cmp_ne_u16_e32 vcc_lo, 0, v111
	v_mov_b32_e32 v110, 0
	s_andn2_b32 s16, s16, exec_lo
	s_and_b32 s63, vcc_lo, exec_lo
	s_or_b32 s16, s16, s63
	s_or_b32 exec_lo, exec_lo, s62
	s_and_saveexec_b32 s62, s16
	s_cbranch_execnz .LBB4_963
	s_branch .LBB4_964
.LBB4_1118:                             ;   in Loop: Header=BB4_358 Depth=4
	s_or_saveexec_b32 s62, s62
	v_mov_b32_e32 v111, 0x7f800001
	s_xor_b32 exec_lo, exec_lo, s62
	s_cbranch_execz .LBB4_968
.LBB4_1119:                             ;   in Loop: Header=BB4_358 Depth=4
	v_cmp_ne_u16_e32 vcc_lo, 0, v120
	v_mov_b32_e32 v111, 0
	s_andn2_b32 s16, s16, exec_lo
	s_and_b32 s63, vcc_lo, exec_lo
	s_or_b32 s16, s16, s63
	s_or_b32 exec_lo, exec_lo, s62
	s_and_saveexec_b32 s62, s16
	s_cbranch_execnz .LBB4_969
	s_branch .LBB4_970
.LBB4_1120:                             ;   in Loop: Header=BB4_358 Depth=4
	s_or_saveexec_b32 s62, s62
	v_mov_b32_e32 v111, 0x7f800001
	s_xor_b32 exec_lo, exec_lo, s62
	s_cbranch_execz .LBB4_982
.LBB4_1121:                             ;   in Loop: Header=BB4_358 Depth=4
	v_cmp_ne_u16_sdwa s63, v15, v2 src0_sel:BYTE_3 src1_sel:DWORD
	v_mov_b32_e32 v111, 0
	s_andn2_b32 s16, s16, exec_lo
	s_and_b32 s63, s63, exec_lo
	s_or_b32 s16, s16, s63
	s_or_b32 exec_lo, exec_lo, s62
	s_and_saveexec_b32 s62, s16
	s_cbranch_execnz .LBB4_983
	s_branch .LBB4_984
.LBB4_1122:                             ;   in Loop: Header=BB4_358 Depth=4
	s_or_saveexec_b32 s62, s62
	v_mov_b32_e32 v15, 0x7f800001
	s_xor_b32 exec_lo, exec_lo, s62
	s_cbranch_execz .LBB4_988
.LBB4_1123:                             ;   in Loop: Header=BB4_358 Depth=4
	v_cmp_ne_u16_sdwa s63, v11, v2 src0_sel:BYTE_3 src1_sel:DWORD
	v_mov_b32_e32 v15, 0
	s_andn2_b32 s16, s16, exec_lo
	s_and_b32 s63, s63, exec_lo
	s_or_b32 s16, s16, s63
	s_or_b32 exec_lo, exec_lo, s62
	s_and_saveexec_b32 s62, s16
	s_cbranch_execnz .LBB4_989
	s_branch .LBB4_990
.LBB4_1124:                             ;   in Loop: Header=BB4_274 Depth=3
	s_or_b32 exec_lo, exec_lo, s61
.LBB4_1125:                             ;   in Loop: Header=BB4_274 Depth=3
	s_or_b32 exec_lo, exec_lo, s17
	v_lshlrev_b32_e32 v22, 10, v77
	v_mov_b32_e32 v14, 0
	s_mov_b32 s16, 0
	s_mov_b32 s61, exec_lo
                                        ; implicit-def: $vgpr15
                                        ; implicit-def: $vgpr16
                                        ; implicit-def: $vgpr8
	v_cmpx_ne_u32_e64 v3, v22
	s_cbranch_execz .LBB4_1517
; %bb.1126:                             ;   in Loop: Header=BB4_274 Depth=3
	v_lshlrev_b32_e32 v8, 5, v69
	v_sub_nc_u32_e32 v10, v3, v22
	s_mov_b32 s62, exec_lo
	v_sub_nc_u32_e32 v8, v58, v8
	v_ashrrev_i32_e32 v11, 31, v10
	v_ashrrev_i32_e32 v9, 31, v8
	v_lshrrev_b32_e32 v11, 23, v11
	v_lshrrev_b32_e32 v9, 27, v9
	v_add_nc_u32_e32 v11, v10, v11
	v_add_nc_u32_e32 v9, v8, v9
	v_and_b32_e32 v23, 0xfffffe00, v11
	v_ashrrev_i32_e32 v11, 9, v11
	v_and_b32_e32 v12, 0xffffffe0, v9
	v_sub_nc_u32_e32 v84, v10, v23
	v_ashrrev_i32_e32 v9, 5, v9
	v_sub_nc_u32_e32 v69, v8, v12
	v_cmp_lt_i32_e32 vcc_lo, 15, v84
	v_lshlrev_b32_e32 v8, 4, v69
	v_add_co_ci_u32_e64 v11, null, 0, v11, vcc_lo
	v_lshl_add_u32 v8, v9, 9, v8
	v_sub_nc_u32_e32 v85, v11, v9
	v_sub_nc_u32_e32 v86, v10, v8
	v_cmpx_lt_i32_e32 15, v86
	s_cbranch_execz .LBB4_1514
; %bb.1127:                             ;   in Loop: Header=BB4_274 Depth=3
	s_trap 2
	ds_read_b64 v[9:10], v0
	v_add_nc_u32_e32 v8, v8, v22
	s_mov_b32 s63, 0
	v_ashrrev_i32_e32 v11, 31, v8
	v_add_co_u32 v16, s16, v8, v80
	v_add_co_ci_u32_e64 v17, null, v11, v81, s16
	s_waitcnt lgkmcnt(0)
	v_add_co_u32 v18, s16, v9, v8
	v_add_co_ci_u32_e64 v19, null, v10, v11, s16
	v_add_co_u32 v20, s16, v8, v82
	v_add_co_ci_u32_e64 v21, null, v11, v83, s16
	s_branch .LBB4_1131
.LBB4_1128:                             ;   in Loop: Header=BB4_1131 Depth=4
	s_or_b32 exec_lo, exec_lo, s16
	v_lshrrev_b32_e32 v26, 21, v91
	v_min_i32_e32 v27, 31, v15
	v_cmp_gt_i32_e64 s16, 32, v15
	v_and_b32_sdwa v11, v11, v116 dst_sel:DWORD dst_unused:UNUSED_PAD src0_sel:BYTE_3 src1_sel:DWORD
	v_lshlrev_b32_e32 v27, 2, v27
	v_cndmask_b32_e64 v26, 3, v26, s16
	v_and_b32_e32 v27, 0xfc, v27
	v_and_b32_e32 v91, 3, v26
	v_or_b32_e32 v15, v15, v26
	v_or3_b32 v11, v11, v27, v91
	v_cmp_ne_u32_e64 s16, 0, v15
	v_lshlrev_b32_e32 v11, 8, v11
	v_cndmask_b32_e64 v15, 0, v11, s16
.LBB4_1129:                             ;   in Loop: Header=BB4_1131 Depth=4
	s_or_b32 exec_lo, exec_lo, s73
.LBB4_1130:                             ;   in Loop: Header=BB4_1131 Depth=4
	s_or_b32 exec_lo, exec_lo, s72
	v_or_b32_sdwa v9, v9, v78 dst_sel:WORD_1 dst_unused:UNUSED_PAD src0_sel:DWORD src1_sel:DWORD
	v_or_b32_sdwa v8, v8, v97 dst_sel:WORD_1 dst_unused:UNUSED_PAD src0_sel:DWORD src1_sel:DWORD
	;; [unrolled: 1-line block ×4, first 2 shown]
	v_sub_nc_u32_e32 v86, v86, v43
	v_or3_b32 v9, v77, v12, v9
	v_or3_b32 v8, v96, v87, v8
	v_or3_b32 v10, v79, v13, v10
	v_or3_b32 v11, v89, v14, v11
	v_add_co_u32 v16, s16, v16, v43
	v_add_co_ci_u32_e64 v17, null, 0, v17, s16
	v_add_co_u32 v18, s16, v18, v43
	global_store_dwordx4 v[20:21], v[8:11], off glc slc
	v_add_co_ci_u32_e64 v19, null, 0, v19, s16
	v_cmp_gt_i32_e64 s16, 16, v86
	v_add_co_u32 v20, s17, v20, v43
	v_add_co_ci_u32_e64 v21, null, 0, v21, s17
	v_sub_nc_u32_e32 v85, v85, v103
	s_or_b32 s63, s16, s63
	s_andn2_b32 exec_lo, exec_lo, s63
	s_cbranch_execz .LBB4_1513
.LBB4_1131:                             ;   Parent Loop BB4_47 Depth=1
                                        ;     Parent Loop BB4_271 Depth=2
                                        ;       Parent Loop BB4_274 Depth=3
                                        ; =>      This Inner Loop Header: Depth=4
	global_load_dwordx4 v[12:15], v[16:17], off slc
	global_load_dwordx4 v[8:11], v[18:19], off slc
	s_mov_b32 s16, 0
	s_waitcnt vmcnt(1)
	v_cmp_gt_i16_sdwa s17, v12, v115 src0_sel:BYTE_0 src1_sel:DWORD
	s_and_saveexec_b32 s72, s17
	s_xor_b32 s17, exec_lo, s72
	s_cbranch_execz .LBB4_1449
; %bb.1132:                             ;   in Loop: Header=BB4_1131 Depth=4
	v_cmp_eq_u16_sdwa s73, v12, v116 src0_sel:BYTE_0 src1_sel:DWORD
	s_mov_b32 s16, -1
	s_and_saveexec_b32 s72, s73
; %bb.1133:                             ;   in Loop: Header=BB4_1131 Depth=4
	s_xor_b32 s16, exec_lo, -1
; %bb.1134:                             ;   in Loop: Header=BB4_1131 Depth=4
	s_or_b32 exec_lo, exec_lo, s72
	s_and_b32 s16, s16, exec_lo
	s_or_saveexec_b32 s17, s17
	v_mov_b32_e32 v87, 0x7f800001
	s_xor_b32 exec_lo, exec_lo, s17
	s_cbranch_execnz .LBB4_1450
.LBB4_1135:                             ;   in Loop: Header=BB4_1131 Depth=4
	s_or_b32 exec_lo, exec_lo, s17
	s_and_saveexec_b32 s17, s16
	s_cbranch_execz .LBB4_1137
.LBB4_1136:                             ;   in Loop: Header=BB4_1131 Depth=4
	v_and_b32_e32 v26, 3, v12
	v_bfe_u32 v96, v12, 2, 5
	v_lshlrev_b32_e32 v97, 24, v12
	v_ffbh_u32_e32 v27, v26
	v_cmp_eq_u32_e64 s16, 0, v96
	v_min_u32_e32 v27, 32, v27
	v_subrev_nc_u32_e32 v87, 29, v27
	v_sub_nc_u32_e32 v27, 30, v27
	v_lshlrev_b32_e32 v87, v87, v12
	v_cndmask_b32_e64 v27, v96, v27, s16
	v_and_b32_e32 v87, 3, v87
	v_lshl_add_u32 v27, v27, 23, 0x37800000
	v_cndmask_b32_e64 v26, v26, v87, s16
	v_and_b32_e32 v87, 0x80000000, v97
	v_lshlrev_b32_e32 v26, 21, v26
	v_or3_b32 v87, v87, v27, v26
.LBB4_1137:                             ;   in Loop: Header=BB4_1131 Depth=4
	s_or_b32 exec_lo, exec_lo, s17
	s_waitcnt vmcnt(0)
	v_cmp_gt_i16_sdwa s17, v8, v115 src0_sel:BYTE_0 src1_sel:DWORD
	s_mov_b32 s16, 0
	s_and_saveexec_b32 s72, s17
	s_xor_b32 s17, exec_lo, s72
	s_cbranch_execz .LBB4_1451
; %bb.1138:                             ;   in Loop: Header=BB4_1131 Depth=4
	v_cmp_eq_u16_sdwa s73, v8, v116 src0_sel:BYTE_0 src1_sel:DWORD
	s_mov_b32 s16, -1
	s_and_saveexec_b32 s72, s73
; %bb.1139:                             ;   in Loop: Header=BB4_1131 Depth=4
	s_xor_b32 s16, exec_lo, -1
; %bb.1140:                             ;   in Loop: Header=BB4_1131 Depth=4
	s_or_b32 exec_lo, exec_lo, s72
	s_and_b32 s16, s16, exec_lo
	s_or_saveexec_b32 s17, s17
	v_mov_b32_e32 v96, 0x7f800001
	s_xor_b32 exec_lo, exec_lo, s17
	s_cbranch_execnz .LBB4_1452
.LBB4_1141:                             ;   in Loop: Header=BB4_1131 Depth=4
	s_or_b32 exec_lo, exec_lo, s17
	s_and_saveexec_b32 s17, s16
	s_cbranch_execz .LBB4_1143
.LBB4_1142:                             ;   in Loop: Header=BB4_1131 Depth=4
	v_and_b32_e32 v26, 3, v8
	v_bfe_u32 v97, v8, 2, 5
	v_lshlrev_b32_e32 v77, 24, v8
	v_ffbh_u32_e32 v27, v26
	v_cmp_eq_u32_e64 s16, 0, v97
	v_min_u32_e32 v27, 32, v27
	v_subrev_nc_u32_e32 v96, 29, v27
	v_sub_nc_u32_e32 v27, 30, v27
	v_lshlrev_b32_e32 v96, v96, v8
	v_cndmask_b32_e64 v27, v97, v27, s16
	v_and_b32_e32 v96, 3, v96
	v_lshl_add_u32 v27, v27, 23, 0x37800000
	v_cndmask_b32_e64 v26, v26, v96, s16
	v_and_b32_e32 v96, 0x80000000, v77
	v_lshlrev_b32_e32 v26, 21, v26
	v_or3_b32 v96, v96, v27, v26
.LBB4_1143:                             ;   in Loop: Header=BB4_1131 Depth=4
	s_or_b32 exec_lo, exec_lo, s17
	v_mul_f32_e32 v96, v87, v96
	v_mov_b32_e32 v87, 0x80
	s_mov_b32 s72, exec_lo
	v_and_b32_e32 v26, 0x7f800000, v96
	v_cmpx_ne_u32_e32 0x7f800000, v26
	s_cbranch_execz .LBB4_1151
; %bb.1144:                             ;   in Loop: Header=BB4_1131 Depth=4
	v_mov_b32_e32 v87, 0
	s_mov_b32 s73, exec_lo
	v_cmpx_ne_u32_e32 0, v96
	s_cbranch_execz .LBB4_1150
; %bb.1145:                             ;   in Loop: Header=BB4_1131 Depth=4
	v_bfe_u32 v26, v96, 23, 8
	v_and_b32_e32 v27, 0x7fffff, v96
	v_sub_nc_u32_e32 v87, 0x70, v26
	v_cmp_gt_u32_e64 s16, 0x71, v26
	v_or_b32_e32 v97, 0x800000, v27
	v_cndmask_b32_e64 v87, 0, v87, s16
	v_cmp_eq_u32_e64 s16, 0, v26
	v_add_nc_u32_e32 v26, 0xffffff91, v26
	v_cndmask_b32_e64 v87, v87, 0x6f, s16
	v_cndmask_b32_e64 v27, v97, v27, s16
	v_cndmask_b32_e64 v26, v26, 0xffffff92, s16
	v_lshl_add_u32 v77, 0x200000, v87, -1
	v_lshrrev_b32_e32 v97, v87, v27
	v_lshlrev_b32_e64 v79, v87, 0x100000
	v_and_b32_e32 v27, v77, v27
	v_bfe_u32 v78, v97, 21, 1
	v_cmp_eq_u32_e64 s17, v27, v79
	v_add_nc_u32_e32 v77, -1, v78
	v_lshrrev_b32_e32 v78, 23, v97
	v_cndmask_b32_e64 v27, 0, v77, s17
	v_add_nc_u32_e32 v77, v87, v26
	v_xor_b32_e32 v78, 1, v78
	s_mov_b32 s17, exec_lo
                                        ; implicit-def: $vgpr87
	v_add_nc_u32_e32 v27, v27, v97
	v_and_b32_e32 v26, 0x1fffff, v27
	v_add_nc_u32_e32 v97, v26, v97
	v_cmpx_ne_u32_e64 v77, v78
	s_xor_b32 s17, exec_lo, s17
; %bb.1146:                             ;   in Loop: Header=BB4_1131 Depth=4
	v_cmp_lt_u32_e64 s16, 0xffffff, v97
	v_sub_nc_u32_e32 v26, v77, v78
	v_cndmask_b32_e64 v27, 0, 1, s16
	v_add_co_ci_u32_e64 v87, null, 0, v26, s16
	v_lshrrev_b32_e32 v97, v27, v97
; %bb.1147:                             ;   in Loop: Header=BB4_1131 Depth=4
	s_andn2_saveexec_b32 s16, s17
; %bb.1148:                             ;   in Loop: Header=BB4_1131 Depth=4
	v_bfe_u32 v87, v97, 23, 1
; %bb.1149:                             ;   in Loop: Header=BB4_1131 Depth=4
	s_or_b32 exec_lo, exec_lo, s16
	v_lshrrev_b32_e32 v26, 21, v97
	v_min_i32_e32 v27, 31, v87
	v_cmp_gt_i32_e64 s16, 32, v87
	v_and_b32_sdwa v96, v96, v116 dst_sel:DWORD dst_unused:UNUSED_PAD src0_sel:BYTE_3 src1_sel:DWORD
	v_lshlrev_b32_e32 v27, 2, v27
	v_cndmask_b32_e64 v26, 3, v26, s16
	v_and_b32_e32 v27, 0xfc, v27
	v_and_b32_e32 v97, 3, v26
	v_or_b32_e32 v26, v87, v26
	v_or3_b32 v27, v27, v96, v97
	v_cmp_ne_u32_e64 s16, 0, v26
	v_cndmask_b32_e64 v87, 0, v27, s16
.LBB4_1150:                             ;   in Loop: Header=BB4_1131 Depth=4
	s_or_b32 exec_lo, exec_lo, s73
.LBB4_1151:                             ;   in Loop: Header=BB4_1131 Depth=4
	s_or_b32 exec_lo, exec_lo, s72
	v_cmp_gt_i16_sdwa s17, v12, v115 src0_sel:BYTE_1 src1_sel:DWORD
	s_mov_b32 s16, 0
	s_and_saveexec_b32 s72, s17
	s_xor_b32 s17, exec_lo, s72
	s_cbranch_execz .LBB4_1453
; %bb.1152:                             ;   in Loop: Header=BB4_1131 Depth=4
	v_cmp_eq_u16_sdwa s73, v12, v116 src0_sel:BYTE_1 src1_sel:DWORD
	s_mov_b32 s16, -1
	s_and_saveexec_b32 s72, s73
; %bb.1153:                             ;   in Loop: Header=BB4_1131 Depth=4
	s_xor_b32 s16, exec_lo, -1
; %bb.1154:                             ;   in Loop: Header=BB4_1131 Depth=4
	s_or_b32 exec_lo, exec_lo, s72
	s_and_b32 s16, s16, exec_lo
	s_or_saveexec_b32 s17, s17
	v_mov_b32_e32 v96, 0x7f800001
	s_xor_b32 exec_lo, exec_lo, s17
	s_cbranch_execnz .LBB4_1454
.LBB4_1155:                             ;   in Loop: Header=BB4_1131 Depth=4
	s_or_b32 exec_lo, exec_lo, s17
	s_and_saveexec_b32 s17, s16
	s_cbranch_execz .LBB4_1157
.LBB4_1156:                             ;   in Loop: Header=BB4_1131 Depth=4
	v_and_b32_sdwa v26, v117, v12 dst_sel:DWORD dst_unused:UNUSED_PAD src0_sel:DWORD src1_sel:BYTE_1
	v_and_b32_e32 v27, 3, v26
	v_bfe_u32 v77, v26, 2, 5
	v_ffbh_u32_e32 v96, v27
	v_cmp_eq_u32_e64 s16, 0, v77
	v_min_u32_e32 v96, 32, v96
	v_subrev_nc_u32_e32 v97, 29, v96
	v_sub_nc_u32_e32 v96, 30, v96
	v_lshlrev_b32_e32 v26, v97, v26
	v_lshlrev_b32_sdwa v97, v118, v12 dst_sel:DWORD dst_unused:UNUSED_PAD src0_sel:DWORD src1_sel:BYTE_1
	v_cndmask_b32_e64 v96, v77, v96, s16
	v_and_b32_e32 v26, 3, v26
	v_lshl_add_u32 v96, v96, 23, 0x37800000
	v_cndmask_b32_e64 v26, v27, v26, s16
	v_and_b32_e32 v27, 0x80000000, v97
	v_lshlrev_b32_e32 v26, 21, v26
	v_or3_b32 v96, v27, v96, v26
.LBB4_1157:                             ;   in Loop: Header=BB4_1131 Depth=4
	s_or_b32 exec_lo, exec_lo, s17
	v_cmp_gt_i16_sdwa s17, v8, v115 src0_sel:BYTE_1 src1_sel:DWORD
	s_mov_b32 s16, 0
	s_and_saveexec_b32 s72, s17
	s_xor_b32 s17, exec_lo, s72
	s_cbranch_execz .LBB4_1455
; %bb.1158:                             ;   in Loop: Header=BB4_1131 Depth=4
	v_cmp_eq_u16_sdwa s73, v8, v116 src0_sel:BYTE_1 src1_sel:DWORD
	s_mov_b32 s16, -1
	s_and_saveexec_b32 s72, s73
; %bb.1159:                             ;   in Loop: Header=BB4_1131 Depth=4
	s_xor_b32 s16, exec_lo, -1
; %bb.1160:                             ;   in Loop: Header=BB4_1131 Depth=4
	s_or_b32 exec_lo, exec_lo, s72
	s_and_b32 s16, s16, exec_lo
	s_or_saveexec_b32 s17, s17
	v_mov_b32_e32 v97, 0x7f800001
	s_xor_b32 exec_lo, exec_lo, s17
	s_cbranch_execnz .LBB4_1456
.LBB4_1161:                             ;   in Loop: Header=BB4_1131 Depth=4
	s_or_b32 exec_lo, exec_lo, s17
	s_and_saveexec_b32 s17, s16
	s_cbranch_execz .LBB4_1163
.LBB4_1162:                             ;   in Loop: Header=BB4_1131 Depth=4
	v_and_b32_sdwa v26, v117, v8 dst_sel:DWORD dst_unused:UNUSED_PAD src0_sel:DWORD src1_sel:BYTE_1
	v_and_b32_e32 v27, 3, v26
	v_bfe_u32 v78, v26, 2, 5
	v_ffbh_u32_e32 v97, v27
	v_cmp_eq_u32_e64 s16, 0, v78
	v_min_u32_e32 v97, 32, v97
	v_subrev_nc_u32_e32 v77, 29, v97
	v_sub_nc_u32_e32 v97, 30, v97
	v_lshlrev_b32_e32 v26, v77, v26
	v_lshlrev_b32_sdwa v77, v118, v8 dst_sel:DWORD dst_unused:UNUSED_PAD src0_sel:DWORD src1_sel:BYTE_1
	v_cndmask_b32_e64 v97, v78, v97, s16
	v_and_b32_e32 v26, 3, v26
	v_lshl_add_u32 v97, v97, 23, 0x37800000
	v_cndmask_b32_e64 v26, v27, v26, s16
	v_and_b32_e32 v27, 0x80000000, v77
	v_lshlrev_b32_e32 v26, 21, v26
	v_or3_b32 v97, v27, v97, v26
.LBB4_1163:                             ;   in Loop: Header=BB4_1131 Depth=4
	s_or_b32 exec_lo, exec_lo, s17
	v_mul_f32_e32 v97, v96, v97
	v_mov_b32_e32 v96, 0x8000
	s_mov_b32 s72, exec_lo
	v_and_b32_e32 v26, 0x7f800000, v97
	v_cmpx_ne_u32_e32 0x7f800000, v26
	s_cbranch_execz .LBB4_1171
; %bb.1164:                             ;   in Loop: Header=BB4_1131 Depth=4
	v_mov_b32_e32 v96, 0
	s_mov_b32 s73, exec_lo
	v_cmpx_ne_u32_e32 0, v97
	s_cbranch_execz .LBB4_1170
; %bb.1165:                             ;   in Loop: Header=BB4_1131 Depth=4
	v_bfe_u32 v26, v97, 23, 8
	v_and_b32_e32 v27, 0x7fffff, v97
	v_sub_nc_u32_e32 v96, 0x70, v26
	v_cmp_gt_u32_e64 s16, 0x71, v26
	v_or_b32_e32 v77, 0x800000, v27
	v_cndmask_b32_e64 v96, 0, v96, s16
	v_cmp_eq_u32_e64 s16, 0, v26
	v_add_nc_u32_e32 v26, 0xffffff91, v26
	v_cndmask_b32_e64 v96, v96, 0x6f, s16
	v_cndmask_b32_e64 v27, v77, v27, s16
	;; [unrolled: 1-line block ×3, first 2 shown]
	v_lshl_add_u32 v78, 0x200000, v96, -1
	v_lshrrev_b32_e32 v77, v96, v27
	v_lshlrev_b32_e64 v88, v96, 0x100000
	v_and_b32_e32 v27, v78, v27
	v_bfe_u32 v79, v77, 21, 1
	v_cmp_eq_u32_e64 s17, v27, v88
	v_add_nc_u32_e32 v78, -1, v79
	v_lshrrev_b32_e32 v79, 23, v77
	v_cndmask_b32_e64 v27, 0, v78, s17
	v_add_nc_u32_e32 v78, v96, v26
	v_xor_b32_e32 v79, 1, v79
	s_mov_b32 s17, exec_lo
                                        ; implicit-def: $vgpr96
	v_add_nc_u32_e32 v27, v27, v77
	v_and_b32_e32 v26, 0x1fffff, v27
	v_add_nc_u32_e32 v77, v26, v77
	v_cmpx_ne_u32_e64 v78, v79
	s_xor_b32 s17, exec_lo, s17
; %bb.1166:                             ;   in Loop: Header=BB4_1131 Depth=4
	v_cmp_lt_u32_e64 s16, 0xffffff, v77
	v_sub_nc_u32_e32 v26, v78, v79
	v_cndmask_b32_e64 v27, 0, 1, s16
	v_add_co_ci_u32_e64 v96, null, 0, v26, s16
	v_lshrrev_b32_e32 v77, v27, v77
; %bb.1167:                             ;   in Loop: Header=BB4_1131 Depth=4
	s_andn2_saveexec_b32 s16, s17
; %bb.1168:                             ;   in Loop: Header=BB4_1131 Depth=4
	v_bfe_u32 v96, v77, 23, 1
; %bb.1169:                             ;   in Loop: Header=BB4_1131 Depth=4
	s_or_b32 exec_lo, exec_lo, s16
	v_lshrrev_b32_e32 v26, 21, v77
	v_min_i32_e32 v27, 31, v96
	v_cmp_gt_i32_e64 s16, 32, v96
	v_and_b32_sdwa v97, v97, v116 dst_sel:DWORD dst_unused:UNUSED_PAD src0_sel:BYTE_3 src1_sel:DWORD
	v_lshlrev_b32_e32 v27, 2, v27
	v_cndmask_b32_e64 v26, 3, v26, s16
	v_and_b32_e32 v27, 0xfc, v27
	v_and_b32_e32 v77, 3, v26
	v_or_b32_e32 v26, v96, v26
	v_or3_b32 v27, v97, v27, v77
	v_cmp_ne_u32_e64 s16, 0, v26
	v_lshlrev_b32_e32 v27, 8, v27
	v_cndmask_b32_e64 v96, 0, v27, s16
.LBB4_1170:                             ;   in Loop: Header=BB4_1131 Depth=4
	s_or_b32 exec_lo, exec_lo, s73
.LBB4_1171:                             ;   in Loop: Header=BB4_1131 Depth=4
	s_or_b32 exec_lo, exec_lo, s72
	v_and_b32_sdwa v77, v12, v119 dst_sel:DWORD dst_unused:UNUSED_PAD src0_sel:WORD_1 src1_sel:DWORD
	s_mov_b32 s17, 0
	s_mov_b32 s72, exec_lo
	v_cmpx_lt_i16_e32 0x7f, v77
	s_xor_b32 s72, exec_lo, s72
	s_cbranch_execz .LBB4_1457
; %bb.1172:                             ;   in Loop: Header=BB4_1131 Depth=4
	s_mov_b32 s17, -1
	s_mov_b32 s73, exec_lo
	v_cmpx_eq_u16_e32 0x80, v77
; %bb.1173:                             ;   in Loop: Header=BB4_1131 Depth=4
	s_xor_b32 s17, exec_lo, -1
; %bb.1174:                             ;   in Loop: Header=BB4_1131 Depth=4
	s_or_b32 exec_lo, exec_lo, s73
	s_and_b32 s17, s17, exec_lo
                                        ; implicit-def: $vgpr77
	s_or_saveexec_b32 s72, s72
	v_mov_b32_e32 v97, 0x7f800001
	s_xor_b32 exec_lo, exec_lo, s72
	s_cbranch_execnz .LBB4_1458
.LBB4_1175:                             ;   in Loop: Header=BB4_1131 Depth=4
	s_or_b32 exec_lo, exec_lo, s72
	s_and_saveexec_b32 s72, s17
	s_cbranch_execz .LBB4_1177
.LBB4_1176:                             ;   in Loop: Header=BB4_1131 Depth=4
	v_bfe_u32 v26, v12, 16, 2
	v_bfe_u32 v77, v12, 18, 5
	v_lshlrev_b32_e32 v78, 8, v12
	v_ffbh_u32_e32 v27, v26
	v_cmp_eq_u32_e64 s16, 0, v77
	v_min_u32_e32 v27, 32, v27
	v_subrev_nc_u32_e32 v97, 29, v27
	v_sub_nc_u32_e32 v27, 30, v27
	v_lshlrev_b32_sdwa v97, v97, v12 dst_sel:DWORD dst_unused:UNUSED_PAD src0_sel:DWORD src1_sel:WORD_1
	v_cndmask_b32_e64 v27, v77, v27, s16
	v_and_b32_e32 v97, 3, v97
	v_lshl_add_u32 v27, v27, 23, 0x37800000
	v_cndmask_b32_e64 v26, v26, v97, s16
	v_and_b32_e32 v97, 0x80000000, v78
	v_lshlrev_b32_e32 v26, 21, v26
	v_or3_b32 v97, v97, v27, v26
.LBB4_1177:                             ;   in Loop: Header=BB4_1131 Depth=4
	s_or_b32 exec_lo, exec_lo, s72
	v_and_b32_sdwa v78, v8, v119 dst_sel:DWORD dst_unused:UNUSED_PAD src0_sel:WORD_1 src1_sel:DWORD
	s_mov_b32 s17, 0
	s_mov_b32 s72, exec_lo
	v_cmpx_lt_i16_e32 0x7f, v78
	s_xor_b32 s72, exec_lo, s72
	s_cbranch_execz .LBB4_1459
; %bb.1178:                             ;   in Loop: Header=BB4_1131 Depth=4
	s_mov_b32 s17, -1
	s_mov_b32 s73, exec_lo
	v_cmpx_eq_u16_e32 0x80, v78
; %bb.1179:                             ;   in Loop: Header=BB4_1131 Depth=4
	s_xor_b32 s17, exec_lo, -1
; %bb.1180:                             ;   in Loop: Header=BB4_1131 Depth=4
	s_or_b32 exec_lo, exec_lo, s73
	s_and_b32 s17, s17, exec_lo
                                        ; implicit-def: $vgpr78
	s_or_saveexec_b32 s72, s72
	v_mov_b32_e32 v77, 0x7f800001
	s_xor_b32 exec_lo, exec_lo, s72
	s_cbranch_execnz .LBB4_1460
.LBB4_1181:                             ;   in Loop: Header=BB4_1131 Depth=4
	s_or_b32 exec_lo, exec_lo, s72
	s_and_saveexec_b32 s72, s17
	s_cbranch_execz .LBB4_1183
.LBB4_1182:                             ;   in Loop: Header=BB4_1131 Depth=4
	v_and_b32_sdwa v26, v8, v40 dst_sel:DWORD dst_unused:UNUSED_PAD src0_sel:WORD_1 src1_sel:DWORD
	v_bfe_u32 v78, v8, 18, 5
	v_lshlrev_b32_sdwa v79, v118, v8 dst_sel:DWORD dst_unused:UNUSED_PAD src0_sel:DWORD src1_sel:WORD_1
	v_ffbh_u32_e32 v27, v26
	v_cmp_eq_u32_e64 s16, 0, v78
	v_min_u32_e32 v27, 32, v27
	v_subrev_nc_u32_e32 v77, 29, v27
	v_sub_nc_u32_e32 v27, 30, v27
	v_lshlrev_b32_sdwa v77, v77, v8 dst_sel:DWORD dst_unused:UNUSED_PAD src0_sel:DWORD src1_sel:WORD_1
	v_cndmask_b32_e64 v27, v78, v27, s16
	v_and_b32_e32 v77, 3, v77
	v_lshl_add_u32 v27, v27, 23, 0x37800000
	v_cndmask_b32_e64 v26, v26, v77, s16
	v_and_b32_e32 v77, 0x80000000, v79
	v_lshlrev_b32_e32 v26, 21, v26
	v_or3_b32 v77, v77, v27, v26
.LBB4_1183:                             ;   in Loop: Header=BB4_1131 Depth=4
	s_or_b32 exec_lo, exec_lo, s72
	v_mul_f32_e32 v77, v97, v77
	v_mov_b32_e32 v97, 0x80
	s_mov_b32 s72, exec_lo
	v_and_b32_e32 v26, 0x7f800000, v77
	v_cmpx_ne_u32_e32 0x7f800000, v26
	s_cbranch_execz .LBB4_1191
; %bb.1184:                             ;   in Loop: Header=BB4_1131 Depth=4
	v_mov_b32_e32 v97, 0
	s_mov_b32 s73, exec_lo
	v_cmpx_ne_u32_e32 0, v77
	s_cbranch_execz .LBB4_1190
; %bb.1185:                             ;   in Loop: Header=BB4_1131 Depth=4
	v_bfe_u32 v26, v77, 23, 8
	v_and_b32_e32 v27, 0x7fffff, v77
	v_sub_nc_u32_e32 v97, 0x70, v26
	v_cmp_gt_u32_e64 s16, 0x71, v26
	v_or_b32_e32 v78, 0x800000, v27
	v_cndmask_b32_e64 v97, 0, v97, s16
	v_cmp_eq_u32_e64 s16, 0, v26
	v_add_nc_u32_e32 v26, 0xffffff91, v26
	v_cndmask_b32_e64 v97, v97, 0x6f, s16
	v_cndmask_b32_e64 v27, v78, v27, s16
	;; [unrolled: 1-line block ×3, first 2 shown]
	v_lshl_add_u32 v79, 0x200000, v97, -1
	v_lshrrev_b32_e32 v78, v97, v27
	v_lshlrev_b32_e64 v89, v97, 0x100000
	v_and_b32_e32 v27, v79, v27
	v_bfe_u32 v88, v78, 21, 1
	v_cmp_eq_u32_e64 s17, v27, v89
	v_add_nc_u32_e32 v79, -1, v88
	v_lshrrev_b32_e32 v88, 23, v78
	v_cndmask_b32_e64 v27, 0, v79, s17
	v_add_nc_u32_e32 v79, v97, v26
	v_xor_b32_e32 v88, 1, v88
	s_mov_b32 s17, exec_lo
                                        ; implicit-def: $vgpr97
	v_add_nc_u32_e32 v27, v27, v78
	v_and_b32_e32 v26, 0x1fffff, v27
	v_add_nc_u32_e32 v78, v26, v78
	v_cmpx_ne_u32_e64 v79, v88
	s_xor_b32 s17, exec_lo, s17
; %bb.1186:                             ;   in Loop: Header=BB4_1131 Depth=4
	v_cmp_lt_u32_e64 s16, 0xffffff, v78
	v_sub_nc_u32_e32 v26, v79, v88
	v_cndmask_b32_e64 v27, 0, 1, s16
	v_add_co_ci_u32_e64 v97, null, 0, v26, s16
	v_lshrrev_b32_e32 v78, v27, v78
; %bb.1187:                             ;   in Loop: Header=BB4_1131 Depth=4
	s_andn2_saveexec_b32 s16, s17
; %bb.1188:                             ;   in Loop: Header=BB4_1131 Depth=4
	v_bfe_u32 v97, v78, 23, 1
; %bb.1189:                             ;   in Loop: Header=BB4_1131 Depth=4
	s_or_b32 exec_lo, exec_lo, s16
	v_lshrrev_b32_e32 v26, 21, v78
	v_min_i32_e32 v27, 31, v97
	v_cmp_gt_i32_e64 s16, 32, v97
	v_and_b32_sdwa v77, v77, v116 dst_sel:DWORD dst_unused:UNUSED_PAD src0_sel:BYTE_3 src1_sel:DWORD
	v_lshlrev_b32_e32 v27, 2, v27
	v_cndmask_b32_e64 v26, 3, v26, s16
	v_and_b32_e32 v27, 0xfc, v27
	v_and_b32_e32 v78, 3, v26
	v_or_b32_e32 v26, v97, v26
	v_or3_b32 v27, v27, v77, v78
	v_cmp_ne_u32_e64 s16, 0, v26
	v_cndmask_b32_e64 v97, 0, v27, s16
.LBB4_1190:                             ;   in Loop: Header=BB4_1131 Depth=4
	s_or_b32 exec_lo, exec_lo, s73
.LBB4_1191:                             ;   in Loop: Header=BB4_1131 Depth=4
	s_or_b32 exec_lo, exec_lo, s72
	v_cmp_gt_i16_sdwa s17, v12, v115 src0_sel:BYTE_3 src1_sel:DWORD
	s_mov_b32 s16, 0
	s_and_saveexec_b32 s72, s17
	s_xor_b32 s17, exec_lo, s72
	s_cbranch_execz .LBB4_1461
; %bb.1192:                             ;   in Loop: Header=BB4_1131 Depth=4
	v_cmp_eq_u16_sdwa s73, v12, v116 src0_sel:BYTE_3 src1_sel:DWORD
	s_mov_b32 s16, -1
	s_and_saveexec_b32 s72, s73
; %bb.1193:                             ;   in Loop: Header=BB4_1131 Depth=4
	s_xor_b32 s16, exec_lo, -1
; %bb.1194:                             ;   in Loop: Header=BB4_1131 Depth=4
	s_or_b32 exec_lo, exec_lo, s72
	s_and_b32 s16, s16, exec_lo
	s_or_saveexec_b32 s17, s17
	v_mov_b32_e32 v77, 0x7f800001
	s_xor_b32 exec_lo, exec_lo, s17
	s_cbranch_execnz .LBB4_1462
.LBB4_1195:                             ;   in Loop: Header=BB4_1131 Depth=4
	s_or_b32 exec_lo, exec_lo, s17
	s_and_saveexec_b32 s17, s16
	s_cbranch_execz .LBB4_1197
.LBB4_1196:                             ;   in Loop: Header=BB4_1131 Depth=4
	v_bfe_u32 v26, v12, 24, 2
	v_bfe_u32 v78, v12, 26, 5
	v_ffbh_u32_e32 v27, v26
	v_cmp_eq_u32_e64 s16, 0, v78
	v_min_u32_e32 v27, 32, v27
	v_subrev_nc_u32_e32 v77, 29, v27
	v_sub_nc_u32_e32 v27, 30, v27
	v_lshlrev_b32_sdwa v77, v77, v12 dst_sel:DWORD dst_unused:UNUSED_PAD src0_sel:DWORD src1_sel:BYTE_3
	v_cndmask_b32_e64 v27, v78, v27, s16
	v_and_b32_e32 v12, 0x80000000, v12
	v_and_b32_e32 v77, 3, v77
	v_lshl_add_u32 v27, v27, 23, 0x37800000
	v_cndmask_b32_e64 v26, v26, v77, s16
	v_lshlrev_b32_e32 v26, 21, v26
	v_or3_b32 v77, v12, v27, v26
.LBB4_1197:                             ;   in Loop: Header=BB4_1131 Depth=4
	s_or_b32 exec_lo, exec_lo, s17
	v_cmp_gt_i16_sdwa s17, v8, v115 src0_sel:BYTE_3 src1_sel:DWORD
	s_mov_b32 s16, 0
	s_and_saveexec_b32 s72, s17
	s_xor_b32 s17, exec_lo, s72
	s_cbranch_execz .LBB4_1463
; %bb.1198:                             ;   in Loop: Header=BB4_1131 Depth=4
	v_cmp_eq_u16_sdwa s73, v8, v116 src0_sel:BYTE_3 src1_sel:DWORD
	s_mov_b32 s16, -1
	s_and_saveexec_b32 s72, s73
; %bb.1199:                             ;   in Loop: Header=BB4_1131 Depth=4
	s_xor_b32 s16, exec_lo, -1
; %bb.1200:                             ;   in Loop: Header=BB4_1131 Depth=4
	s_or_b32 exec_lo, exec_lo, s72
	s_and_b32 s16, s16, exec_lo
	s_or_saveexec_b32 s17, s17
	v_mov_b32_e32 v12, 0x7f800001
	s_xor_b32 exec_lo, exec_lo, s17
	s_cbranch_execnz .LBB4_1464
.LBB4_1201:                             ;   in Loop: Header=BB4_1131 Depth=4
	s_or_b32 exec_lo, exec_lo, s17
	s_and_saveexec_b32 s17, s16
	s_cbranch_execz .LBB4_1203
.LBB4_1202:                             ;   in Loop: Header=BB4_1131 Depth=4
	v_and_b32_sdwa v12, v8, v40 dst_sel:DWORD dst_unused:UNUSED_PAD src0_sel:BYTE_3 src1_sel:DWORD
	v_bfe_u32 v78, v8, 26, 5
	v_ffbh_u32_e32 v26, v12
	v_cmp_eq_u32_e64 s16, 0, v78
	v_min_u32_e32 v26, 32, v26
	v_subrev_nc_u32_e32 v27, 29, v26
	v_sub_nc_u32_e32 v26, 30, v26
	v_lshlrev_b32_sdwa v27, v27, v8 dst_sel:DWORD dst_unused:UNUSED_PAD src0_sel:DWORD src1_sel:BYTE_3
	v_cndmask_b32_e64 v26, v78, v26, s16
	v_and_b32_e32 v8, 0x80000000, v8
	v_and_b32_e32 v27, 3, v27
	v_lshl_add_u32 v26, v26, 23, 0x37800000
	v_cndmask_b32_e64 v12, v12, v27, s16
	v_lshlrev_b32_e32 v12, 21, v12
	v_or3_b32 v12, v8, v26, v12
.LBB4_1203:                             ;   in Loop: Header=BB4_1131 Depth=4
	s_or_b32 exec_lo, exec_lo, s17
	v_mul_f32_e32 v12, v77, v12
	v_and_b32_e32 v8, 0x7f800000, v12
	v_cmp_ne_u32_e64 s16, 0x7f800000, v8
	v_mov_b32_e32 v8, 0x8000
	s_and_saveexec_b32 s72, s16
	s_cbranch_execz .LBB4_1211
; %bb.1204:                             ;   in Loop: Header=BB4_1131 Depth=4
	v_mov_b32_e32 v8, 0
	s_mov_b32 s73, exec_lo
	v_cmpx_ne_u32_e32 0, v12
	s_cbranch_execz .LBB4_1210
; %bb.1205:                             ;   in Loop: Header=BB4_1131 Depth=4
	v_bfe_u32 v8, v12, 23, 8
	v_and_b32_e32 v26, 0x7fffff, v12
	v_sub_nc_u32_e32 v27, 0x70, v8
	v_cmp_gt_u32_e64 s16, 0x71, v8
	v_or_b32_e32 v77, 0x800000, v26
	v_cndmask_b32_e64 v27, 0, v27, s16
	v_cmp_eq_u32_e64 s16, 0, v8
	v_add_nc_u32_e32 v8, 0xffffff91, v8
	v_cndmask_b32_e64 v27, v27, 0x6f, s16
	v_cndmask_b32_e64 v26, v77, v26, s16
	;; [unrolled: 1-line block ×3, first 2 shown]
	v_lshl_add_u32 v78, 0x200000, v27, -1
	v_lshrrev_b32_e32 v77, v27, v26
	v_lshlrev_b32_e64 v88, v27, 0x100000
	v_and_b32_e32 v26, v78, v26
	v_bfe_u32 v79, v77, 21, 1
	v_cmp_eq_u32_e64 s17, v26, v88
	v_add_nc_u32_e32 v78, -1, v79
	v_lshrrev_b32_e32 v79, 23, v77
	v_cndmask_b32_e64 v26, 0, v78, s17
	v_add_nc_u32_e32 v78, v27, v8
	v_xor_b32_e32 v79, 1, v79
	s_mov_b32 s17, exec_lo
	v_add_nc_u32_e32 v26, v26, v77
	v_and_b32_e32 v8, 0x1fffff, v26
	v_add_nc_u32_e32 v77, v8, v77
                                        ; implicit-def: $vgpr8
	v_cmpx_ne_u32_e64 v78, v79
	s_xor_b32 s17, exec_lo, s17
; %bb.1206:                             ;   in Loop: Header=BB4_1131 Depth=4
	v_cmp_lt_u32_e64 s16, 0xffffff, v77
	v_sub_nc_u32_e32 v8, v78, v79
	v_cndmask_b32_e64 v26, 0, 1, s16
	v_add_co_ci_u32_e64 v8, null, 0, v8, s16
	v_lshrrev_b32_e32 v77, v26, v77
; %bb.1207:                             ;   in Loop: Header=BB4_1131 Depth=4
	s_andn2_saveexec_b32 s16, s17
; %bb.1208:                             ;   in Loop: Header=BB4_1131 Depth=4
	v_bfe_u32 v8, v77, 23, 1
; %bb.1209:                             ;   in Loop: Header=BB4_1131 Depth=4
	s_or_b32 exec_lo, exec_lo, s16
	v_lshrrev_b32_e32 v26, 21, v77
	v_min_i32_e32 v27, 31, v8
	v_cmp_gt_i32_e64 s16, 32, v8
	v_and_b32_sdwa v12, v12, v116 dst_sel:DWORD dst_unused:UNUSED_PAD src0_sel:BYTE_3 src1_sel:DWORD
	v_lshlrev_b32_e32 v27, 2, v27
	v_cndmask_b32_e64 v26, 3, v26, s16
	v_and_b32_e32 v27, 0xfc, v27
	v_and_b32_e32 v77, 3, v26
	v_or_b32_e32 v8, v8, v26
	v_or3_b32 v12, v12, v27, v77
	v_cmp_ne_u32_e64 s16, 0, v8
	v_lshlrev_b32_e32 v12, 8, v12
	v_cndmask_b32_e64 v8, 0, v12, s16
.LBB4_1210:                             ;   in Loop: Header=BB4_1131 Depth=4
	s_or_b32 exec_lo, exec_lo, s73
.LBB4_1211:                             ;   in Loop: Header=BB4_1131 Depth=4
	s_or_b32 exec_lo, exec_lo, s72
	v_cmp_gt_i16_sdwa s17, v13, v115 src0_sel:BYTE_0 src1_sel:DWORD
	s_mov_b32 s16, 0
	s_and_saveexec_b32 s72, s17
	s_xor_b32 s17, exec_lo, s72
	s_cbranch_execz .LBB4_1465
; %bb.1212:                             ;   in Loop: Header=BB4_1131 Depth=4
	v_cmp_eq_u16_sdwa s73, v13, v116 src0_sel:BYTE_0 src1_sel:DWORD
	s_mov_b32 s16, -1
	s_and_saveexec_b32 s72, s73
; %bb.1213:                             ;   in Loop: Header=BB4_1131 Depth=4
	s_xor_b32 s16, exec_lo, -1
; %bb.1214:                             ;   in Loop: Header=BB4_1131 Depth=4
	s_or_b32 exec_lo, exec_lo, s72
	s_and_b32 s16, s16, exec_lo
	s_or_saveexec_b32 s17, s17
	v_mov_b32_e32 v12, 0x7f800001
	s_xor_b32 exec_lo, exec_lo, s17
	s_cbranch_execnz .LBB4_1466
.LBB4_1215:                             ;   in Loop: Header=BB4_1131 Depth=4
	s_or_b32 exec_lo, exec_lo, s17
	s_and_saveexec_b32 s17, s16
	s_cbranch_execz .LBB4_1217
.LBB4_1216:                             ;   in Loop: Header=BB4_1131 Depth=4
	v_and_b32_e32 v12, 3, v13
	v_bfe_u32 v77, v13, 2, 5
	v_lshlrev_b32_e32 v78, 24, v13
	v_ffbh_u32_e32 v26, v12
	v_cmp_eq_u32_e64 s16, 0, v77
	v_min_u32_e32 v26, 32, v26
	v_subrev_nc_u32_e32 v27, 29, v26
	v_sub_nc_u32_e32 v26, 30, v26
	v_lshlrev_b32_e32 v27, v27, v13
	v_cndmask_b32_e64 v26, v77, v26, s16
	v_and_b32_e32 v27, 3, v27
	v_lshl_add_u32 v26, v26, 23, 0x37800000
	v_cndmask_b32_e64 v12, v12, v27, s16
	v_and_b32_e32 v27, 0x80000000, v78
	v_lshlrev_b32_e32 v12, 21, v12
	v_or3_b32 v12, v27, v26, v12
.LBB4_1217:                             ;   in Loop: Header=BB4_1131 Depth=4
	s_or_b32 exec_lo, exec_lo, s17
	v_cmp_gt_i16_sdwa s17, v9, v115 src0_sel:BYTE_0 src1_sel:DWORD
	s_mov_b32 s16, 0
	s_and_saveexec_b32 s72, s17
	s_xor_b32 s17, exec_lo, s72
	s_cbranch_execz .LBB4_1467
; %bb.1218:                             ;   in Loop: Header=BB4_1131 Depth=4
	v_cmp_eq_u16_sdwa s73, v9, v116 src0_sel:BYTE_0 src1_sel:DWORD
	s_mov_b32 s16, -1
	s_and_saveexec_b32 s72, s73
; %bb.1219:                             ;   in Loop: Header=BB4_1131 Depth=4
	s_xor_b32 s16, exec_lo, -1
; %bb.1220:                             ;   in Loop: Header=BB4_1131 Depth=4
	s_or_b32 exec_lo, exec_lo, s72
	s_and_b32 s16, s16, exec_lo
	s_or_saveexec_b32 s17, s17
	v_mov_b32_e32 v77, 0x7f800001
	s_xor_b32 exec_lo, exec_lo, s17
	s_cbranch_execnz .LBB4_1468
.LBB4_1221:                             ;   in Loop: Header=BB4_1131 Depth=4
	s_or_b32 exec_lo, exec_lo, s17
	s_and_saveexec_b32 s17, s16
	s_cbranch_execz .LBB4_1223
.LBB4_1222:                             ;   in Loop: Header=BB4_1131 Depth=4
	v_and_b32_e32 v26, 3, v9
	v_bfe_u32 v78, v9, 2, 5
	v_lshlrev_b32_e32 v79, 24, v9
	v_ffbh_u32_e32 v27, v26
	v_cmp_eq_u32_e64 s16, 0, v78
	v_min_u32_e32 v27, 32, v27
	v_subrev_nc_u32_e32 v77, 29, v27
	v_sub_nc_u32_e32 v27, 30, v27
	v_lshlrev_b32_e32 v77, v77, v9
	v_cndmask_b32_e64 v27, v78, v27, s16
	v_and_b32_e32 v77, 3, v77
	v_lshl_add_u32 v27, v27, 23, 0x37800000
	v_cndmask_b32_e64 v26, v26, v77, s16
	v_and_b32_e32 v77, 0x80000000, v79
	v_lshlrev_b32_e32 v26, 21, v26
	v_or3_b32 v77, v77, v27, v26
.LBB4_1223:                             ;   in Loop: Header=BB4_1131 Depth=4
	s_or_b32 exec_lo, exec_lo, s17
	v_mul_f32_e32 v77, v12, v77
	v_and_b32_e32 v12, 0x7f800000, v77
	v_cmp_ne_u32_e64 s16, 0x7f800000, v12
	v_mov_b32_e32 v12, 0x80
	s_and_saveexec_b32 s72, s16
	s_cbranch_execz .LBB4_1231
; %bb.1224:                             ;   in Loop: Header=BB4_1131 Depth=4
	v_mov_b32_e32 v12, 0
	s_mov_b32 s73, exec_lo
	v_cmpx_ne_u32_e32 0, v77
	s_cbranch_execz .LBB4_1230
; %bb.1225:                             ;   in Loop: Header=BB4_1131 Depth=4
	v_bfe_u32 v12, v77, 23, 8
	v_and_b32_e32 v26, 0x7fffff, v77
	v_sub_nc_u32_e32 v27, 0x70, v12
	v_cmp_gt_u32_e64 s16, 0x71, v12
	v_or_b32_e32 v78, 0x800000, v26
	v_cndmask_b32_e64 v27, 0, v27, s16
	v_cmp_eq_u32_e64 s16, 0, v12
	v_add_nc_u32_e32 v12, 0xffffff91, v12
	v_cndmask_b32_e64 v27, v27, 0x6f, s16
	v_cndmask_b32_e64 v26, v78, v26, s16
	;; [unrolled: 1-line block ×3, first 2 shown]
	v_lshl_add_u32 v79, 0x200000, v27, -1
	v_lshrrev_b32_e32 v78, v27, v26
	v_lshlrev_b32_e64 v89, v27, 0x100000
	v_and_b32_e32 v26, v79, v26
	v_bfe_u32 v88, v78, 21, 1
	v_cmp_eq_u32_e64 s17, v26, v89
	v_add_nc_u32_e32 v79, -1, v88
	v_lshrrev_b32_e32 v88, 23, v78
	v_cndmask_b32_e64 v26, 0, v79, s17
	v_add_nc_u32_e32 v79, v27, v12
	v_xor_b32_e32 v88, 1, v88
	s_mov_b32 s17, exec_lo
	v_add_nc_u32_e32 v26, v26, v78
	v_and_b32_e32 v12, 0x1fffff, v26
	v_add_nc_u32_e32 v78, v12, v78
                                        ; implicit-def: $vgpr12
	v_cmpx_ne_u32_e64 v79, v88
	s_xor_b32 s17, exec_lo, s17
; %bb.1226:                             ;   in Loop: Header=BB4_1131 Depth=4
	v_cmp_lt_u32_e64 s16, 0xffffff, v78
	v_sub_nc_u32_e32 v12, v79, v88
	v_cndmask_b32_e64 v26, 0, 1, s16
	v_add_co_ci_u32_e64 v12, null, 0, v12, s16
	v_lshrrev_b32_e32 v78, v26, v78
; %bb.1227:                             ;   in Loop: Header=BB4_1131 Depth=4
	s_andn2_saveexec_b32 s16, s17
; %bb.1228:                             ;   in Loop: Header=BB4_1131 Depth=4
	v_bfe_u32 v12, v78, 23, 1
; %bb.1229:                             ;   in Loop: Header=BB4_1131 Depth=4
	s_or_b32 exec_lo, exec_lo, s16
	v_lshrrev_b32_e32 v26, 21, v78
	v_min_i32_e32 v27, 31, v12
	v_cmp_gt_i32_e64 s16, 32, v12
	v_and_b32_sdwa v77, v77, v116 dst_sel:DWORD dst_unused:UNUSED_PAD src0_sel:BYTE_3 src1_sel:DWORD
	v_lshlrev_b32_e32 v27, 2, v27
	v_cndmask_b32_e64 v26, 3, v26, s16
	v_and_b32_e32 v27, 0xfc, v27
	v_and_b32_e32 v78, 3, v26
	v_or_b32_e32 v12, v12, v26
	v_or3_b32 v26, v27, v77, v78
	v_cmp_ne_u32_e64 s16, 0, v12
	v_cndmask_b32_e64 v12, 0, v26, s16
.LBB4_1230:                             ;   in Loop: Header=BB4_1131 Depth=4
	s_or_b32 exec_lo, exec_lo, s73
.LBB4_1231:                             ;   in Loop: Header=BB4_1131 Depth=4
	s_or_b32 exec_lo, exec_lo, s72
	v_cmp_gt_i16_sdwa s17, v13, v115 src0_sel:BYTE_1 src1_sel:DWORD
	s_mov_b32 s16, 0
	s_and_saveexec_b32 s72, s17
	s_xor_b32 s17, exec_lo, s72
	s_cbranch_execz .LBB4_1469
; %bb.1232:                             ;   in Loop: Header=BB4_1131 Depth=4
	v_cmp_eq_u16_sdwa s73, v13, v116 src0_sel:BYTE_1 src1_sel:DWORD
	s_mov_b32 s16, -1
	s_and_saveexec_b32 s72, s73
; %bb.1233:                             ;   in Loop: Header=BB4_1131 Depth=4
	s_xor_b32 s16, exec_lo, -1
; %bb.1234:                             ;   in Loop: Header=BB4_1131 Depth=4
	s_or_b32 exec_lo, exec_lo, s72
	s_and_b32 s16, s16, exec_lo
	s_or_saveexec_b32 s17, s17
	v_mov_b32_e32 v77, 0x7f800001
	s_xor_b32 exec_lo, exec_lo, s17
	s_cbranch_execnz .LBB4_1470
.LBB4_1235:                             ;   in Loop: Header=BB4_1131 Depth=4
	s_or_b32 exec_lo, exec_lo, s17
	s_and_saveexec_b32 s17, s16
	s_cbranch_execz .LBB4_1237
.LBB4_1236:                             ;   in Loop: Header=BB4_1131 Depth=4
	v_and_b32_sdwa v26, v117, v13 dst_sel:DWORD dst_unused:UNUSED_PAD src0_sel:DWORD src1_sel:BYTE_1
	v_and_b32_e32 v27, 3, v26
	v_bfe_u32 v79, v26, 2, 5
	v_ffbh_u32_e32 v77, v27
	v_cmp_eq_u32_e64 s16, 0, v79
	v_min_u32_e32 v77, 32, v77
	v_subrev_nc_u32_e32 v78, 29, v77
	v_sub_nc_u32_e32 v77, 30, v77
	v_lshlrev_b32_e32 v26, v78, v26
	v_lshlrev_b32_sdwa v78, v118, v13 dst_sel:DWORD dst_unused:UNUSED_PAD src0_sel:DWORD src1_sel:BYTE_1
	v_cndmask_b32_e64 v77, v79, v77, s16
	v_and_b32_e32 v26, 3, v26
	v_lshl_add_u32 v77, v77, 23, 0x37800000
	v_cndmask_b32_e64 v26, v27, v26, s16
	v_and_b32_e32 v27, 0x80000000, v78
	v_lshlrev_b32_e32 v26, 21, v26
	v_or3_b32 v77, v27, v77, v26
.LBB4_1237:                             ;   in Loop: Header=BB4_1131 Depth=4
	s_or_b32 exec_lo, exec_lo, s17
	v_cmp_gt_i16_sdwa s17, v9, v115 src0_sel:BYTE_1 src1_sel:DWORD
	s_mov_b32 s16, 0
	s_and_saveexec_b32 s72, s17
	s_xor_b32 s17, exec_lo, s72
	s_cbranch_execz .LBB4_1471
; %bb.1238:                             ;   in Loop: Header=BB4_1131 Depth=4
	v_cmp_eq_u16_sdwa s73, v9, v116 src0_sel:BYTE_1 src1_sel:DWORD
	s_mov_b32 s16, -1
	s_and_saveexec_b32 s72, s73
; %bb.1239:                             ;   in Loop: Header=BB4_1131 Depth=4
	s_xor_b32 s16, exec_lo, -1
; %bb.1240:                             ;   in Loop: Header=BB4_1131 Depth=4
	s_or_b32 exec_lo, exec_lo, s72
	s_and_b32 s16, s16, exec_lo
	s_or_saveexec_b32 s17, s17
	v_mov_b32_e32 v78, 0x7f800001
	s_xor_b32 exec_lo, exec_lo, s17
	s_cbranch_execnz .LBB4_1472
.LBB4_1241:                             ;   in Loop: Header=BB4_1131 Depth=4
	s_or_b32 exec_lo, exec_lo, s17
	s_and_saveexec_b32 s17, s16
	s_cbranch_execz .LBB4_1243
.LBB4_1242:                             ;   in Loop: Header=BB4_1131 Depth=4
	v_and_b32_sdwa v26, v117, v9 dst_sel:DWORD dst_unused:UNUSED_PAD src0_sel:DWORD src1_sel:BYTE_1
	v_and_b32_e32 v27, 3, v26
	v_bfe_u32 v88, v26, 2, 5
	v_ffbh_u32_e32 v78, v27
	v_cmp_eq_u32_e64 s16, 0, v88
	v_min_u32_e32 v78, 32, v78
	v_subrev_nc_u32_e32 v79, 29, v78
	v_sub_nc_u32_e32 v78, 30, v78
	v_lshlrev_b32_e32 v26, v79, v26
	v_lshlrev_b32_sdwa v79, v118, v9 dst_sel:DWORD dst_unused:UNUSED_PAD src0_sel:DWORD src1_sel:BYTE_1
	v_cndmask_b32_e64 v78, v88, v78, s16
	v_and_b32_e32 v26, 3, v26
	v_lshl_add_u32 v78, v78, 23, 0x37800000
	v_cndmask_b32_e64 v26, v27, v26, s16
	v_and_b32_e32 v27, 0x80000000, v79
	v_lshlrev_b32_e32 v26, 21, v26
	v_or3_b32 v78, v27, v78, v26
.LBB4_1243:                             ;   in Loop: Header=BB4_1131 Depth=4
	s_or_b32 exec_lo, exec_lo, s17
	v_mul_f32_e32 v78, v77, v78
	v_mov_b32_e32 v77, 0x8000
	s_mov_b32 s72, exec_lo
	v_and_b32_e32 v26, 0x7f800000, v78
	v_cmpx_ne_u32_e32 0x7f800000, v26
	s_cbranch_execz .LBB4_1251
; %bb.1244:                             ;   in Loop: Header=BB4_1131 Depth=4
	v_mov_b32_e32 v77, 0
	s_mov_b32 s73, exec_lo
	v_cmpx_ne_u32_e32 0, v78
	s_cbranch_execz .LBB4_1250
; %bb.1245:                             ;   in Loop: Header=BB4_1131 Depth=4
	v_bfe_u32 v26, v78, 23, 8
	v_and_b32_e32 v27, 0x7fffff, v78
	v_sub_nc_u32_e32 v77, 0x70, v26
	v_cmp_gt_u32_e64 s16, 0x71, v26
	v_or_b32_e32 v79, 0x800000, v27
	v_cndmask_b32_e64 v77, 0, v77, s16
	v_cmp_eq_u32_e64 s16, 0, v26
	v_add_nc_u32_e32 v26, 0xffffff91, v26
	v_cndmask_b32_e64 v77, v77, 0x6f, s16
	v_cndmask_b32_e64 v27, v79, v27, s16
	;; [unrolled: 1-line block ×3, first 2 shown]
	v_lshl_add_u32 v88, 0x200000, v77, -1
	v_lshrrev_b32_e32 v79, v77, v27
	v_lshlrev_b32_e64 v90, v77, 0x100000
	v_and_b32_e32 v27, v88, v27
	v_bfe_u32 v89, v79, 21, 1
	v_cmp_eq_u32_e64 s17, v27, v90
	v_add_nc_u32_e32 v88, -1, v89
	v_lshrrev_b32_e32 v89, 23, v79
	v_cndmask_b32_e64 v27, 0, v88, s17
	v_add_nc_u32_e32 v88, v77, v26
	v_xor_b32_e32 v89, 1, v89
	s_mov_b32 s17, exec_lo
                                        ; implicit-def: $vgpr77
	v_add_nc_u32_e32 v27, v27, v79
	v_and_b32_e32 v26, 0x1fffff, v27
	v_add_nc_u32_e32 v79, v26, v79
	v_cmpx_ne_u32_e64 v88, v89
	s_xor_b32 s17, exec_lo, s17
; %bb.1246:                             ;   in Loop: Header=BB4_1131 Depth=4
	v_cmp_lt_u32_e64 s16, 0xffffff, v79
	v_sub_nc_u32_e32 v26, v88, v89
	v_cndmask_b32_e64 v27, 0, 1, s16
	v_add_co_ci_u32_e64 v77, null, 0, v26, s16
	v_lshrrev_b32_e32 v79, v27, v79
; %bb.1247:                             ;   in Loop: Header=BB4_1131 Depth=4
	s_andn2_saveexec_b32 s16, s17
; %bb.1248:                             ;   in Loop: Header=BB4_1131 Depth=4
	v_bfe_u32 v77, v79, 23, 1
; %bb.1249:                             ;   in Loop: Header=BB4_1131 Depth=4
	s_or_b32 exec_lo, exec_lo, s16
	v_lshrrev_b32_e32 v26, 21, v79
	v_min_i32_e32 v27, 31, v77
	v_cmp_gt_i32_e64 s16, 32, v77
	v_and_b32_sdwa v78, v78, v116 dst_sel:DWORD dst_unused:UNUSED_PAD src0_sel:BYTE_3 src1_sel:DWORD
	v_lshlrev_b32_e32 v27, 2, v27
	v_cndmask_b32_e64 v26, 3, v26, s16
	v_and_b32_e32 v27, 0xfc, v27
	v_and_b32_e32 v79, 3, v26
	v_or_b32_e32 v26, v77, v26
	v_or3_b32 v27, v78, v27, v79
	v_cmp_ne_u32_e64 s16, 0, v26
	v_lshlrev_b32_e32 v27, 8, v27
	v_cndmask_b32_e64 v77, 0, v27, s16
.LBB4_1250:                             ;   in Loop: Header=BB4_1131 Depth=4
	s_or_b32 exec_lo, exec_lo, s73
.LBB4_1251:                             ;   in Loop: Header=BB4_1131 Depth=4
	s_or_b32 exec_lo, exec_lo, s72
	v_and_b32_sdwa v79, v13, v119 dst_sel:DWORD dst_unused:UNUSED_PAD src0_sel:WORD_1 src1_sel:DWORD
	s_mov_b32 s17, 0
	s_mov_b32 s72, exec_lo
	v_cmpx_lt_i16_e32 0x7f, v79
	s_xor_b32 s72, exec_lo, s72
	s_cbranch_execz .LBB4_1473
; %bb.1252:                             ;   in Loop: Header=BB4_1131 Depth=4
	s_mov_b32 s17, -1
	s_mov_b32 s73, exec_lo
	v_cmpx_eq_u16_e32 0x80, v79
; %bb.1253:                             ;   in Loop: Header=BB4_1131 Depth=4
	s_xor_b32 s17, exec_lo, -1
; %bb.1254:                             ;   in Loop: Header=BB4_1131 Depth=4
	s_or_b32 exec_lo, exec_lo, s73
	s_and_b32 s17, s17, exec_lo
                                        ; implicit-def: $vgpr79
	s_or_saveexec_b32 s72, s72
	v_mov_b32_e32 v78, 0x7f800001
	s_xor_b32 exec_lo, exec_lo, s72
	s_cbranch_execnz .LBB4_1474
.LBB4_1255:                             ;   in Loop: Header=BB4_1131 Depth=4
	s_or_b32 exec_lo, exec_lo, s72
	s_and_saveexec_b32 s72, s17
	s_cbranch_execz .LBB4_1257
.LBB4_1256:                             ;   in Loop: Header=BB4_1131 Depth=4
	v_bfe_u32 v26, v13, 16, 2
	v_bfe_u32 v79, v13, 18, 5
	v_lshlrev_b32_e32 v88, 8, v13
	v_ffbh_u32_e32 v27, v26
	v_cmp_eq_u32_e64 s16, 0, v79
	v_min_u32_e32 v27, 32, v27
	v_subrev_nc_u32_e32 v78, 29, v27
	v_sub_nc_u32_e32 v27, 30, v27
	v_lshlrev_b32_sdwa v78, v78, v13 dst_sel:DWORD dst_unused:UNUSED_PAD src0_sel:DWORD src1_sel:WORD_1
	v_cndmask_b32_e64 v27, v79, v27, s16
	v_and_b32_e32 v78, 3, v78
	v_lshl_add_u32 v27, v27, 23, 0x37800000
	v_cndmask_b32_e64 v26, v26, v78, s16
	v_and_b32_e32 v78, 0x80000000, v88
	v_lshlrev_b32_e32 v26, 21, v26
	v_or3_b32 v78, v78, v27, v26
.LBB4_1257:                             ;   in Loop: Header=BB4_1131 Depth=4
	s_or_b32 exec_lo, exec_lo, s72
	v_and_b32_sdwa v88, v9, v119 dst_sel:DWORD dst_unused:UNUSED_PAD src0_sel:WORD_1 src1_sel:DWORD
	s_mov_b32 s17, 0
	s_mov_b32 s72, exec_lo
	v_cmpx_lt_i16_e32 0x7f, v88
	s_xor_b32 s72, exec_lo, s72
	s_cbranch_execz .LBB4_1475
; %bb.1258:                             ;   in Loop: Header=BB4_1131 Depth=4
	s_mov_b32 s17, -1
	s_mov_b32 s73, exec_lo
	v_cmpx_eq_u16_e32 0x80, v88
; %bb.1259:                             ;   in Loop: Header=BB4_1131 Depth=4
	s_xor_b32 s17, exec_lo, -1
; %bb.1260:                             ;   in Loop: Header=BB4_1131 Depth=4
	s_or_b32 exec_lo, exec_lo, s73
	s_and_b32 s17, s17, exec_lo
                                        ; implicit-def: $vgpr88
	s_or_saveexec_b32 s72, s72
	v_mov_b32_e32 v79, 0x7f800001
	s_xor_b32 exec_lo, exec_lo, s72
	s_cbranch_execnz .LBB4_1476
.LBB4_1261:                             ;   in Loop: Header=BB4_1131 Depth=4
	s_or_b32 exec_lo, exec_lo, s72
	s_and_saveexec_b32 s72, s17
	s_cbranch_execz .LBB4_1263
.LBB4_1262:                             ;   in Loop: Header=BB4_1131 Depth=4
	v_and_b32_sdwa v26, v9, v40 dst_sel:DWORD dst_unused:UNUSED_PAD src0_sel:WORD_1 src1_sel:DWORD
	v_bfe_u32 v88, v9, 18, 5
	v_lshlrev_b32_sdwa v89, v118, v9 dst_sel:DWORD dst_unused:UNUSED_PAD src0_sel:DWORD src1_sel:WORD_1
	v_ffbh_u32_e32 v27, v26
	v_cmp_eq_u32_e64 s16, 0, v88
	v_min_u32_e32 v27, 32, v27
	v_subrev_nc_u32_e32 v79, 29, v27
	v_sub_nc_u32_e32 v27, 30, v27
	v_lshlrev_b32_sdwa v79, v79, v9 dst_sel:DWORD dst_unused:UNUSED_PAD src0_sel:DWORD src1_sel:WORD_1
	v_cndmask_b32_e64 v27, v88, v27, s16
	v_and_b32_e32 v79, 3, v79
	v_lshl_add_u32 v27, v27, 23, 0x37800000
	v_cndmask_b32_e64 v26, v26, v79, s16
	v_and_b32_e32 v79, 0x80000000, v89
	v_lshlrev_b32_e32 v26, 21, v26
	v_or3_b32 v79, v79, v27, v26
.LBB4_1263:                             ;   in Loop: Header=BB4_1131 Depth=4
	s_or_b32 exec_lo, exec_lo, s72
	v_mul_f32_e32 v79, v78, v79
	v_mov_b32_e32 v78, 0x80
	s_mov_b32 s72, exec_lo
	v_and_b32_e32 v26, 0x7f800000, v79
	v_cmpx_ne_u32_e32 0x7f800000, v26
	s_cbranch_execz .LBB4_1271
; %bb.1264:                             ;   in Loop: Header=BB4_1131 Depth=4
	v_mov_b32_e32 v78, 0
	s_mov_b32 s73, exec_lo
	v_cmpx_ne_u32_e32 0, v79
	s_cbranch_execz .LBB4_1270
; %bb.1265:                             ;   in Loop: Header=BB4_1131 Depth=4
	v_bfe_u32 v26, v79, 23, 8
	v_and_b32_e32 v27, 0x7fffff, v79
	v_sub_nc_u32_e32 v78, 0x70, v26
	v_cmp_gt_u32_e64 s16, 0x71, v26
	v_or_b32_e32 v88, 0x800000, v27
	v_cndmask_b32_e64 v78, 0, v78, s16
	v_cmp_eq_u32_e64 s16, 0, v26
	v_add_nc_u32_e32 v26, 0xffffff91, v26
	v_cndmask_b32_e64 v78, v78, 0x6f, s16
	v_cndmask_b32_e64 v27, v88, v27, s16
	;; [unrolled: 1-line block ×3, first 2 shown]
	v_lshl_add_u32 v89, 0x200000, v78, -1
	v_lshrrev_b32_e32 v88, v78, v27
	v_lshlrev_b32_e64 v91, v78, 0x100000
	v_and_b32_e32 v27, v89, v27
	v_bfe_u32 v90, v88, 21, 1
	v_cmp_eq_u32_e64 s17, v27, v91
	v_add_nc_u32_e32 v89, -1, v90
	v_lshrrev_b32_e32 v90, 23, v88
	v_cndmask_b32_e64 v27, 0, v89, s17
	v_add_nc_u32_e32 v89, v78, v26
	v_xor_b32_e32 v90, 1, v90
	s_mov_b32 s17, exec_lo
                                        ; implicit-def: $vgpr78
	v_add_nc_u32_e32 v27, v27, v88
	v_and_b32_e32 v26, 0x1fffff, v27
	v_add_nc_u32_e32 v88, v26, v88
	v_cmpx_ne_u32_e64 v89, v90
	s_xor_b32 s17, exec_lo, s17
; %bb.1266:                             ;   in Loop: Header=BB4_1131 Depth=4
	v_cmp_lt_u32_e64 s16, 0xffffff, v88
	v_sub_nc_u32_e32 v26, v89, v90
	v_cndmask_b32_e64 v27, 0, 1, s16
	v_add_co_ci_u32_e64 v78, null, 0, v26, s16
	v_lshrrev_b32_e32 v88, v27, v88
; %bb.1267:                             ;   in Loop: Header=BB4_1131 Depth=4
	s_andn2_saveexec_b32 s16, s17
; %bb.1268:                             ;   in Loop: Header=BB4_1131 Depth=4
	v_bfe_u32 v78, v88, 23, 1
; %bb.1269:                             ;   in Loop: Header=BB4_1131 Depth=4
	s_or_b32 exec_lo, exec_lo, s16
	v_lshrrev_b32_e32 v26, 21, v88
	v_min_i32_e32 v27, 31, v78
	v_cmp_gt_i32_e64 s16, 32, v78
	v_and_b32_sdwa v79, v79, v116 dst_sel:DWORD dst_unused:UNUSED_PAD src0_sel:BYTE_3 src1_sel:DWORD
	v_lshlrev_b32_e32 v27, 2, v27
	v_cndmask_b32_e64 v26, 3, v26, s16
	v_and_b32_e32 v27, 0xfc, v27
	v_and_b32_e32 v88, 3, v26
	v_or_b32_e32 v26, v78, v26
	v_or3_b32 v27, v27, v79, v88
	v_cmp_ne_u32_e64 s16, 0, v26
	v_cndmask_b32_e64 v78, 0, v27, s16
.LBB4_1270:                             ;   in Loop: Header=BB4_1131 Depth=4
	s_or_b32 exec_lo, exec_lo, s73
.LBB4_1271:                             ;   in Loop: Header=BB4_1131 Depth=4
	s_or_b32 exec_lo, exec_lo, s72
	v_cmp_gt_i16_sdwa s17, v13, v115 src0_sel:BYTE_3 src1_sel:DWORD
	s_mov_b32 s16, 0
	s_and_saveexec_b32 s72, s17
	s_xor_b32 s17, exec_lo, s72
	s_cbranch_execz .LBB4_1477
; %bb.1272:                             ;   in Loop: Header=BB4_1131 Depth=4
	v_cmp_eq_u16_sdwa s73, v13, v116 src0_sel:BYTE_3 src1_sel:DWORD
	s_mov_b32 s16, -1
	s_and_saveexec_b32 s72, s73
; %bb.1273:                             ;   in Loop: Header=BB4_1131 Depth=4
	s_xor_b32 s16, exec_lo, -1
; %bb.1274:                             ;   in Loop: Header=BB4_1131 Depth=4
	s_or_b32 exec_lo, exec_lo, s72
	s_and_b32 s16, s16, exec_lo
	s_or_saveexec_b32 s17, s17
	v_mov_b32_e32 v79, 0x7f800001
	s_xor_b32 exec_lo, exec_lo, s17
	s_cbranch_execnz .LBB4_1478
.LBB4_1275:                             ;   in Loop: Header=BB4_1131 Depth=4
	s_or_b32 exec_lo, exec_lo, s17
	s_and_saveexec_b32 s17, s16
	s_cbranch_execz .LBB4_1277
.LBB4_1276:                             ;   in Loop: Header=BB4_1131 Depth=4
	v_bfe_u32 v26, v13, 24, 2
	v_bfe_u32 v88, v13, 26, 5
	v_ffbh_u32_e32 v27, v26
	v_cmp_eq_u32_e64 s16, 0, v88
	v_min_u32_e32 v27, 32, v27
	v_subrev_nc_u32_e32 v79, 29, v27
	v_sub_nc_u32_e32 v27, 30, v27
	v_lshlrev_b32_sdwa v79, v79, v13 dst_sel:DWORD dst_unused:UNUSED_PAD src0_sel:DWORD src1_sel:BYTE_3
	v_cndmask_b32_e64 v27, v88, v27, s16
	v_and_b32_e32 v13, 0x80000000, v13
	v_and_b32_e32 v79, 3, v79
	v_lshl_add_u32 v27, v27, 23, 0x37800000
	v_cndmask_b32_e64 v26, v26, v79, s16
	v_lshlrev_b32_e32 v26, 21, v26
	v_or3_b32 v79, v13, v27, v26
.LBB4_1277:                             ;   in Loop: Header=BB4_1131 Depth=4
	s_or_b32 exec_lo, exec_lo, s17
	v_cmp_gt_i16_sdwa s17, v9, v115 src0_sel:BYTE_3 src1_sel:DWORD
	s_mov_b32 s16, 0
	s_and_saveexec_b32 s72, s17
	s_xor_b32 s17, exec_lo, s72
	s_cbranch_execz .LBB4_1479
; %bb.1278:                             ;   in Loop: Header=BB4_1131 Depth=4
	v_cmp_eq_u16_sdwa s73, v9, v116 src0_sel:BYTE_3 src1_sel:DWORD
	s_mov_b32 s16, -1
	s_and_saveexec_b32 s72, s73
; %bb.1279:                             ;   in Loop: Header=BB4_1131 Depth=4
	s_xor_b32 s16, exec_lo, -1
; %bb.1280:                             ;   in Loop: Header=BB4_1131 Depth=4
	s_or_b32 exec_lo, exec_lo, s72
	s_and_b32 s16, s16, exec_lo
	s_or_saveexec_b32 s17, s17
	v_mov_b32_e32 v13, 0x7f800001
	s_xor_b32 exec_lo, exec_lo, s17
	s_cbranch_execnz .LBB4_1480
.LBB4_1281:                             ;   in Loop: Header=BB4_1131 Depth=4
	s_or_b32 exec_lo, exec_lo, s17
	s_and_saveexec_b32 s17, s16
	s_cbranch_execz .LBB4_1283
.LBB4_1282:                             ;   in Loop: Header=BB4_1131 Depth=4
	v_and_b32_sdwa v13, v9, v40 dst_sel:DWORD dst_unused:UNUSED_PAD src0_sel:BYTE_3 src1_sel:DWORD
	v_bfe_u32 v88, v9, 26, 5
	v_ffbh_u32_e32 v26, v13
	v_cmp_eq_u32_e64 s16, 0, v88
	v_min_u32_e32 v26, 32, v26
	v_subrev_nc_u32_e32 v27, 29, v26
	v_sub_nc_u32_e32 v26, 30, v26
	v_lshlrev_b32_sdwa v27, v27, v9 dst_sel:DWORD dst_unused:UNUSED_PAD src0_sel:DWORD src1_sel:BYTE_3
	v_cndmask_b32_e64 v26, v88, v26, s16
	v_and_b32_e32 v9, 0x80000000, v9
	v_and_b32_e32 v27, 3, v27
	v_lshl_add_u32 v26, v26, 23, 0x37800000
	v_cndmask_b32_e64 v13, v13, v27, s16
	v_lshlrev_b32_e32 v13, 21, v13
	v_or3_b32 v13, v9, v26, v13
.LBB4_1283:                             ;   in Loop: Header=BB4_1131 Depth=4
	s_or_b32 exec_lo, exec_lo, s17
	v_mul_f32_e32 v13, v79, v13
	v_and_b32_e32 v9, 0x7f800000, v13
	v_cmp_ne_u32_e64 s16, 0x7f800000, v9
	v_mov_b32_e32 v9, 0x8000
	s_and_saveexec_b32 s72, s16
	s_cbranch_execz .LBB4_1291
; %bb.1284:                             ;   in Loop: Header=BB4_1131 Depth=4
	v_mov_b32_e32 v9, 0
	s_mov_b32 s73, exec_lo
	v_cmpx_ne_u32_e32 0, v13
	s_cbranch_execz .LBB4_1290
; %bb.1285:                             ;   in Loop: Header=BB4_1131 Depth=4
	v_bfe_u32 v9, v13, 23, 8
	v_and_b32_e32 v26, 0x7fffff, v13
	v_sub_nc_u32_e32 v27, 0x70, v9
	v_cmp_gt_u32_e64 s16, 0x71, v9
	v_or_b32_e32 v79, 0x800000, v26
	v_cndmask_b32_e64 v27, 0, v27, s16
	v_cmp_eq_u32_e64 s16, 0, v9
	v_add_nc_u32_e32 v9, 0xffffff91, v9
	v_cndmask_b32_e64 v27, v27, 0x6f, s16
	v_cndmask_b32_e64 v26, v79, v26, s16
	;; [unrolled: 1-line block ×3, first 2 shown]
	v_lshl_add_u32 v88, 0x200000, v27, -1
	v_lshrrev_b32_e32 v79, v27, v26
	v_lshlrev_b32_e64 v90, v27, 0x100000
	v_and_b32_e32 v26, v88, v26
	v_bfe_u32 v89, v79, 21, 1
	v_cmp_eq_u32_e64 s17, v26, v90
	v_add_nc_u32_e32 v88, -1, v89
	v_lshrrev_b32_e32 v89, 23, v79
	v_cndmask_b32_e64 v26, 0, v88, s17
	v_add_nc_u32_e32 v88, v27, v9
	v_xor_b32_e32 v89, 1, v89
	s_mov_b32 s17, exec_lo
	v_add_nc_u32_e32 v26, v26, v79
	v_and_b32_e32 v9, 0x1fffff, v26
	v_add_nc_u32_e32 v79, v9, v79
                                        ; implicit-def: $vgpr9
	v_cmpx_ne_u32_e64 v88, v89
	s_xor_b32 s17, exec_lo, s17
; %bb.1286:                             ;   in Loop: Header=BB4_1131 Depth=4
	v_cmp_lt_u32_e64 s16, 0xffffff, v79
	v_sub_nc_u32_e32 v9, v88, v89
	v_cndmask_b32_e64 v26, 0, 1, s16
	v_add_co_ci_u32_e64 v9, null, 0, v9, s16
	v_lshrrev_b32_e32 v79, v26, v79
; %bb.1287:                             ;   in Loop: Header=BB4_1131 Depth=4
	s_andn2_saveexec_b32 s16, s17
; %bb.1288:                             ;   in Loop: Header=BB4_1131 Depth=4
	v_bfe_u32 v9, v79, 23, 1
; %bb.1289:                             ;   in Loop: Header=BB4_1131 Depth=4
	s_or_b32 exec_lo, exec_lo, s16
	v_lshrrev_b32_e32 v26, 21, v79
	v_min_i32_e32 v27, 31, v9
	v_cmp_gt_i32_e64 s16, 32, v9
	v_and_b32_sdwa v13, v13, v116 dst_sel:DWORD dst_unused:UNUSED_PAD src0_sel:BYTE_3 src1_sel:DWORD
	v_lshlrev_b32_e32 v27, 2, v27
	v_cndmask_b32_e64 v26, 3, v26, s16
	v_and_b32_e32 v27, 0xfc, v27
	v_and_b32_e32 v79, 3, v26
	v_or_b32_e32 v9, v9, v26
	v_or3_b32 v13, v13, v27, v79
	v_cmp_ne_u32_e64 s16, 0, v9
	v_lshlrev_b32_e32 v13, 8, v13
	v_cndmask_b32_e64 v9, 0, v13, s16
.LBB4_1290:                             ;   in Loop: Header=BB4_1131 Depth=4
	s_or_b32 exec_lo, exec_lo, s73
.LBB4_1291:                             ;   in Loop: Header=BB4_1131 Depth=4
	s_or_b32 exec_lo, exec_lo, s72
	v_cmp_gt_i16_sdwa s17, v14, v115 src0_sel:BYTE_0 src1_sel:DWORD
	s_mov_b32 s16, 0
	s_and_saveexec_b32 s72, s17
	s_xor_b32 s17, exec_lo, s72
	s_cbranch_execz .LBB4_1481
; %bb.1292:                             ;   in Loop: Header=BB4_1131 Depth=4
	v_cmp_eq_u16_sdwa s73, v14, v116 src0_sel:BYTE_0 src1_sel:DWORD
	s_mov_b32 s16, -1
	s_and_saveexec_b32 s72, s73
; %bb.1293:                             ;   in Loop: Header=BB4_1131 Depth=4
	s_xor_b32 s16, exec_lo, -1
; %bb.1294:                             ;   in Loop: Header=BB4_1131 Depth=4
	s_or_b32 exec_lo, exec_lo, s72
	s_and_b32 s16, s16, exec_lo
	s_or_saveexec_b32 s17, s17
	v_mov_b32_e32 v13, 0x7f800001
	s_xor_b32 exec_lo, exec_lo, s17
	s_cbranch_execnz .LBB4_1482
.LBB4_1295:                             ;   in Loop: Header=BB4_1131 Depth=4
	s_or_b32 exec_lo, exec_lo, s17
	s_and_saveexec_b32 s17, s16
	s_cbranch_execz .LBB4_1297
.LBB4_1296:                             ;   in Loop: Header=BB4_1131 Depth=4
	v_and_b32_e32 v13, 3, v14
	v_bfe_u32 v79, v14, 2, 5
	v_lshlrev_b32_e32 v88, 24, v14
	v_ffbh_u32_e32 v26, v13
	v_cmp_eq_u32_e64 s16, 0, v79
	v_min_u32_e32 v26, 32, v26
	v_subrev_nc_u32_e32 v27, 29, v26
	v_sub_nc_u32_e32 v26, 30, v26
	v_lshlrev_b32_e32 v27, v27, v14
	v_cndmask_b32_e64 v26, v79, v26, s16
	v_and_b32_e32 v27, 3, v27
	v_lshl_add_u32 v26, v26, 23, 0x37800000
	v_cndmask_b32_e64 v13, v13, v27, s16
	v_and_b32_e32 v27, 0x80000000, v88
	v_lshlrev_b32_e32 v13, 21, v13
	v_or3_b32 v13, v27, v26, v13
.LBB4_1297:                             ;   in Loop: Header=BB4_1131 Depth=4
	s_or_b32 exec_lo, exec_lo, s17
	v_cmp_gt_i16_sdwa s17, v10, v115 src0_sel:BYTE_0 src1_sel:DWORD
	s_mov_b32 s16, 0
	s_and_saveexec_b32 s72, s17
	s_xor_b32 s17, exec_lo, s72
	s_cbranch_execz .LBB4_1483
; %bb.1298:                             ;   in Loop: Header=BB4_1131 Depth=4
	v_cmp_eq_u16_sdwa s73, v10, v116 src0_sel:BYTE_0 src1_sel:DWORD
	s_mov_b32 s16, -1
	s_and_saveexec_b32 s72, s73
; %bb.1299:                             ;   in Loop: Header=BB4_1131 Depth=4
	s_xor_b32 s16, exec_lo, -1
; %bb.1300:                             ;   in Loop: Header=BB4_1131 Depth=4
	s_or_b32 exec_lo, exec_lo, s72
	s_and_b32 s16, s16, exec_lo
	s_or_saveexec_b32 s17, s17
	v_mov_b32_e32 v79, 0x7f800001
	s_xor_b32 exec_lo, exec_lo, s17
	s_cbranch_execnz .LBB4_1484
.LBB4_1301:                             ;   in Loop: Header=BB4_1131 Depth=4
	s_or_b32 exec_lo, exec_lo, s17
	s_and_saveexec_b32 s17, s16
	s_cbranch_execz .LBB4_1303
.LBB4_1302:                             ;   in Loop: Header=BB4_1131 Depth=4
	v_and_b32_e32 v26, 3, v10
	v_bfe_u32 v88, v10, 2, 5
	v_lshlrev_b32_e32 v89, 24, v10
	v_ffbh_u32_e32 v27, v26
	v_cmp_eq_u32_e64 s16, 0, v88
	v_min_u32_e32 v27, 32, v27
	v_subrev_nc_u32_e32 v79, 29, v27
	v_sub_nc_u32_e32 v27, 30, v27
	v_lshlrev_b32_e32 v79, v79, v10
	v_cndmask_b32_e64 v27, v88, v27, s16
	v_and_b32_e32 v79, 3, v79
	v_lshl_add_u32 v27, v27, 23, 0x37800000
	v_cndmask_b32_e64 v26, v26, v79, s16
	v_and_b32_e32 v79, 0x80000000, v89
	v_lshlrev_b32_e32 v26, 21, v26
	v_or3_b32 v79, v79, v27, v26
.LBB4_1303:                             ;   in Loop: Header=BB4_1131 Depth=4
	s_or_b32 exec_lo, exec_lo, s17
	v_mul_f32_e32 v79, v13, v79
	v_and_b32_e32 v13, 0x7f800000, v79
	v_cmp_ne_u32_e64 s16, 0x7f800000, v13
	v_mov_b32_e32 v13, 0x80
	s_and_saveexec_b32 s72, s16
	s_cbranch_execz .LBB4_1311
; %bb.1304:                             ;   in Loop: Header=BB4_1131 Depth=4
	v_mov_b32_e32 v13, 0
	s_mov_b32 s73, exec_lo
	v_cmpx_ne_u32_e32 0, v79
	s_cbranch_execz .LBB4_1310
; %bb.1305:                             ;   in Loop: Header=BB4_1131 Depth=4
	v_bfe_u32 v13, v79, 23, 8
	v_and_b32_e32 v26, 0x7fffff, v79
	v_sub_nc_u32_e32 v27, 0x70, v13
	v_cmp_gt_u32_e64 s16, 0x71, v13
	v_or_b32_e32 v88, 0x800000, v26
	v_cndmask_b32_e64 v27, 0, v27, s16
	v_cmp_eq_u32_e64 s16, 0, v13
	v_add_nc_u32_e32 v13, 0xffffff91, v13
	v_cndmask_b32_e64 v27, v27, 0x6f, s16
	v_cndmask_b32_e64 v26, v88, v26, s16
	;; [unrolled: 1-line block ×3, first 2 shown]
	v_lshl_add_u32 v89, 0x200000, v27, -1
	v_lshrrev_b32_e32 v88, v27, v26
	v_lshlrev_b32_e64 v91, v27, 0x100000
	v_and_b32_e32 v26, v89, v26
	v_bfe_u32 v90, v88, 21, 1
	v_cmp_eq_u32_e64 s17, v26, v91
	v_add_nc_u32_e32 v89, -1, v90
	v_lshrrev_b32_e32 v90, 23, v88
	v_cndmask_b32_e64 v26, 0, v89, s17
	v_add_nc_u32_e32 v89, v27, v13
	v_xor_b32_e32 v90, 1, v90
	s_mov_b32 s17, exec_lo
	v_add_nc_u32_e32 v26, v26, v88
	v_and_b32_e32 v13, 0x1fffff, v26
	v_add_nc_u32_e32 v88, v13, v88
                                        ; implicit-def: $vgpr13
	v_cmpx_ne_u32_e64 v89, v90
	s_xor_b32 s17, exec_lo, s17
; %bb.1306:                             ;   in Loop: Header=BB4_1131 Depth=4
	v_cmp_lt_u32_e64 s16, 0xffffff, v88
	v_sub_nc_u32_e32 v13, v89, v90
	v_cndmask_b32_e64 v26, 0, 1, s16
	v_add_co_ci_u32_e64 v13, null, 0, v13, s16
	v_lshrrev_b32_e32 v88, v26, v88
; %bb.1307:                             ;   in Loop: Header=BB4_1131 Depth=4
	s_andn2_saveexec_b32 s16, s17
; %bb.1308:                             ;   in Loop: Header=BB4_1131 Depth=4
	v_bfe_u32 v13, v88, 23, 1
; %bb.1309:                             ;   in Loop: Header=BB4_1131 Depth=4
	s_or_b32 exec_lo, exec_lo, s16
	v_lshrrev_b32_e32 v26, 21, v88
	v_min_i32_e32 v27, 31, v13
	v_cmp_gt_i32_e64 s16, 32, v13
	v_and_b32_sdwa v79, v79, v116 dst_sel:DWORD dst_unused:UNUSED_PAD src0_sel:BYTE_3 src1_sel:DWORD
	v_lshlrev_b32_e32 v27, 2, v27
	v_cndmask_b32_e64 v26, 3, v26, s16
	v_and_b32_e32 v27, 0xfc, v27
	v_and_b32_e32 v88, 3, v26
	v_or_b32_e32 v13, v13, v26
	v_or3_b32 v26, v27, v79, v88
	v_cmp_ne_u32_e64 s16, 0, v13
	v_cndmask_b32_e64 v13, 0, v26, s16
.LBB4_1310:                             ;   in Loop: Header=BB4_1131 Depth=4
	s_or_b32 exec_lo, exec_lo, s73
.LBB4_1311:                             ;   in Loop: Header=BB4_1131 Depth=4
	s_or_b32 exec_lo, exec_lo, s72
	v_cmp_gt_i16_sdwa s17, v14, v115 src0_sel:BYTE_1 src1_sel:DWORD
	s_mov_b32 s16, 0
	s_and_saveexec_b32 s72, s17
	s_xor_b32 s17, exec_lo, s72
	s_cbranch_execz .LBB4_1485
; %bb.1312:                             ;   in Loop: Header=BB4_1131 Depth=4
	v_cmp_eq_u16_sdwa s73, v14, v116 src0_sel:BYTE_1 src1_sel:DWORD
	s_mov_b32 s16, -1
	s_and_saveexec_b32 s72, s73
; %bb.1313:                             ;   in Loop: Header=BB4_1131 Depth=4
	s_xor_b32 s16, exec_lo, -1
; %bb.1314:                             ;   in Loop: Header=BB4_1131 Depth=4
	s_or_b32 exec_lo, exec_lo, s72
	s_and_b32 s16, s16, exec_lo
	s_or_saveexec_b32 s17, s17
	v_mov_b32_e32 v79, 0x7f800001
	s_xor_b32 exec_lo, exec_lo, s17
	s_cbranch_execnz .LBB4_1486
.LBB4_1315:                             ;   in Loop: Header=BB4_1131 Depth=4
	s_or_b32 exec_lo, exec_lo, s17
	s_and_saveexec_b32 s17, s16
	s_cbranch_execz .LBB4_1317
.LBB4_1316:                             ;   in Loop: Header=BB4_1131 Depth=4
	v_and_b32_sdwa v26, v117, v14 dst_sel:DWORD dst_unused:UNUSED_PAD src0_sel:DWORD src1_sel:BYTE_1
	v_and_b32_e32 v27, 3, v26
	v_bfe_u32 v89, v26, 2, 5
	v_ffbh_u32_e32 v79, v27
	v_cmp_eq_u32_e64 s16, 0, v89
	v_min_u32_e32 v79, 32, v79
	v_subrev_nc_u32_e32 v88, 29, v79
	v_sub_nc_u32_e32 v79, 30, v79
	v_lshlrev_b32_e32 v26, v88, v26
	v_lshlrev_b32_sdwa v88, v118, v14 dst_sel:DWORD dst_unused:UNUSED_PAD src0_sel:DWORD src1_sel:BYTE_1
	v_cndmask_b32_e64 v79, v89, v79, s16
	v_and_b32_e32 v26, 3, v26
	v_lshl_add_u32 v79, v79, 23, 0x37800000
	v_cndmask_b32_e64 v26, v27, v26, s16
	v_and_b32_e32 v27, 0x80000000, v88
	v_lshlrev_b32_e32 v26, 21, v26
	v_or3_b32 v79, v27, v79, v26
.LBB4_1317:                             ;   in Loop: Header=BB4_1131 Depth=4
	s_or_b32 exec_lo, exec_lo, s17
	v_cmp_gt_i16_sdwa s17, v10, v115 src0_sel:BYTE_1 src1_sel:DWORD
	s_mov_b32 s16, 0
	s_and_saveexec_b32 s72, s17
	s_xor_b32 s17, exec_lo, s72
	s_cbranch_execz .LBB4_1487
; %bb.1318:                             ;   in Loop: Header=BB4_1131 Depth=4
	v_cmp_eq_u16_sdwa s73, v10, v116 src0_sel:BYTE_1 src1_sel:DWORD
	s_mov_b32 s16, -1
	s_and_saveexec_b32 s72, s73
; %bb.1319:                             ;   in Loop: Header=BB4_1131 Depth=4
	s_xor_b32 s16, exec_lo, -1
; %bb.1320:                             ;   in Loop: Header=BB4_1131 Depth=4
	s_or_b32 exec_lo, exec_lo, s72
	s_and_b32 s16, s16, exec_lo
	s_or_saveexec_b32 s17, s17
	v_mov_b32_e32 v88, 0x7f800001
	s_xor_b32 exec_lo, exec_lo, s17
	s_cbranch_execnz .LBB4_1488
.LBB4_1321:                             ;   in Loop: Header=BB4_1131 Depth=4
	s_or_b32 exec_lo, exec_lo, s17
	s_and_saveexec_b32 s17, s16
	s_cbranch_execz .LBB4_1323
.LBB4_1322:                             ;   in Loop: Header=BB4_1131 Depth=4
	v_and_b32_sdwa v26, v117, v10 dst_sel:DWORD dst_unused:UNUSED_PAD src0_sel:DWORD src1_sel:BYTE_1
	v_and_b32_e32 v27, 3, v26
	v_bfe_u32 v90, v26, 2, 5
	v_ffbh_u32_e32 v88, v27
	v_cmp_eq_u32_e64 s16, 0, v90
	v_min_u32_e32 v88, 32, v88
	v_subrev_nc_u32_e32 v89, 29, v88
	v_sub_nc_u32_e32 v88, 30, v88
	v_lshlrev_b32_e32 v26, v89, v26
	v_lshlrev_b32_sdwa v89, v118, v10 dst_sel:DWORD dst_unused:UNUSED_PAD src0_sel:DWORD src1_sel:BYTE_1
	v_cndmask_b32_e64 v88, v90, v88, s16
	v_and_b32_e32 v26, 3, v26
	v_lshl_add_u32 v88, v88, 23, 0x37800000
	v_cndmask_b32_e64 v26, v27, v26, s16
	v_and_b32_e32 v27, 0x80000000, v89
	v_lshlrev_b32_e32 v26, 21, v26
	v_or3_b32 v88, v27, v88, v26
.LBB4_1323:                             ;   in Loop: Header=BB4_1131 Depth=4
	s_or_b32 exec_lo, exec_lo, s17
	v_mul_f32_e32 v88, v79, v88
	v_mov_b32_e32 v79, 0x8000
	s_mov_b32 s72, exec_lo
	v_and_b32_e32 v26, 0x7f800000, v88
	v_cmpx_ne_u32_e32 0x7f800000, v26
	s_cbranch_execz .LBB4_1331
; %bb.1324:                             ;   in Loop: Header=BB4_1131 Depth=4
	v_mov_b32_e32 v79, 0
	s_mov_b32 s73, exec_lo
	v_cmpx_ne_u32_e32 0, v88
	s_cbranch_execz .LBB4_1330
; %bb.1325:                             ;   in Loop: Header=BB4_1131 Depth=4
	v_bfe_u32 v26, v88, 23, 8
	v_and_b32_e32 v27, 0x7fffff, v88
	v_sub_nc_u32_e32 v79, 0x70, v26
	v_cmp_gt_u32_e64 s16, 0x71, v26
	v_or_b32_e32 v89, 0x800000, v27
	v_cndmask_b32_e64 v79, 0, v79, s16
	v_cmp_eq_u32_e64 s16, 0, v26
	v_add_nc_u32_e32 v26, 0xffffff91, v26
	v_cndmask_b32_e64 v79, v79, 0x6f, s16
	v_cndmask_b32_e64 v27, v89, v27, s16
	;; [unrolled: 1-line block ×3, first 2 shown]
	v_lshl_add_u32 v90, 0x200000, v79, -1
	v_lshrrev_b32_e32 v89, v79, v27
	v_lshlrev_b32_e64 v92, v79, 0x100000
	v_and_b32_e32 v27, v90, v27
	v_bfe_u32 v91, v89, 21, 1
	v_cmp_eq_u32_e64 s17, v27, v92
	v_add_nc_u32_e32 v90, -1, v91
	v_lshrrev_b32_e32 v91, 23, v89
	v_cndmask_b32_e64 v27, 0, v90, s17
	v_add_nc_u32_e32 v90, v79, v26
	v_xor_b32_e32 v91, 1, v91
	s_mov_b32 s17, exec_lo
                                        ; implicit-def: $vgpr79
	v_add_nc_u32_e32 v27, v27, v89
	v_and_b32_e32 v26, 0x1fffff, v27
	v_add_nc_u32_e32 v89, v26, v89
	v_cmpx_ne_u32_e64 v90, v91
	s_xor_b32 s17, exec_lo, s17
; %bb.1326:                             ;   in Loop: Header=BB4_1131 Depth=4
	v_cmp_lt_u32_e64 s16, 0xffffff, v89
	v_sub_nc_u32_e32 v26, v90, v91
	v_cndmask_b32_e64 v27, 0, 1, s16
	v_add_co_ci_u32_e64 v79, null, 0, v26, s16
	v_lshrrev_b32_e32 v89, v27, v89
; %bb.1327:                             ;   in Loop: Header=BB4_1131 Depth=4
	s_andn2_saveexec_b32 s16, s17
; %bb.1328:                             ;   in Loop: Header=BB4_1131 Depth=4
	v_bfe_u32 v79, v89, 23, 1
; %bb.1329:                             ;   in Loop: Header=BB4_1131 Depth=4
	s_or_b32 exec_lo, exec_lo, s16
	v_lshrrev_b32_e32 v26, 21, v89
	v_min_i32_e32 v27, 31, v79
	v_cmp_gt_i32_e64 s16, 32, v79
	v_and_b32_sdwa v88, v88, v116 dst_sel:DWORD dst_unused:UNUSED_PAD src0_sel:BYTE_3 src1_sel:DWORD
	v_lshlrev_b32_e32 v27, 2, v27
	v_cndmask_b32_e64 v26, 3, v26, s16
	v_and_b32_e32 v27, 0xfc, v27
	v_and_b32_e32 v89, 3, v26
	v_or_b32_e32 v26, v79, v26
	v_or3_b32 v27, v88, v27, v89
	v_cmp_ne_u32_e64 s16, 0, v26
	v_lshlrev_b32_e32 v27, 8, v27
	v_cndmask_b32_e64 v79, 0, v27, s16
.LBB4_1330:                             ;   in Loop: Header=BB4_1131 Depth=4
	s_or_b32 exec_lo, exec_lo, s73
.LBB4_1331:                             ;   in Loop: Header=BB4_1131 Depth=4
	s_or_b32 exec_lo, exec_lo, s72
	v_and_b32_sdwa v89, v14, v119 dst_sel:DWORD dst_unused:UNUSED_PAD src0_sel:WORD_1 src1_sel:DWORD
	s_mov_b32 s17, 0
	s_mov_b32 s72, exec_lo
	v_cmpx_lt_i16_e32 0x7f, v89
	s_xor_b32 s72, exec_lo, s72
	s_cbranch_execz .LBB4_1489
; %bb.1332:                             ;   in Loop: Header=BB4_1131 Depth=4
	s_mov_b32 s17, -1
	s_mov_b32 s73, exec_lo
	v_cmpx_eq_u16_e32 0x80, v89
; %bb.1333:                             ;   in Loop: Header=BB4_1131 Depth=4
	s_xor_b32 s17, exec_lo, -1
; %bb.1334:                             ;   in Loop: Header=BB4_1131 Depth=4
	s_or_b32 exec_lo, exec_lo, s73
	s_and_b32 s17, s17, exec_lo
                                        ; implicit-def: $vgpr89
	s_or_saveexec_b32 s72, s72
	v_mov_b32_e32 v88, 0x7f800001
	s_xor_b32 exec_lo, exec_lo, s72
	s_cbranch_execnz .LBB4_1490
.LBB4_1335:                             ;   in Loop: Header=BB4_1131 Depth=4
	s_or_b32 exec_lo, exec_lo, s72
	s_and_saveexec_b32 s72, s17
	s_cbranch_execz .LBB4_1337
.LBB4_1336:                             ;   in Loop: Header=BB4_1131 Depth=4
	v_bfe_u32 v26, v14, 16, 2
	v_bfe_u32 v89, v14, 18, 5
	v_lshlrev_b32_e32 v90, 8, v14
	v_ffbh_u32_e32 v27, v26
	v_cmp_eq_u32_e64 s16, 0, v89
	v_min_u32_e32 v27, 32, v27
	v_subrev_nc_u32_e32 v88, 29, v27
	v_sub_nc_u32_e32 v27, 30, v27
	v_lshlrev_b32_sdwa v88, v88, v14 dst_sel:DWORD dst_unused:UNUSED_PAD src0_sel:DWORD src1_sel:WORD_1
	v_cndmask_b32_e64 v27, v89, v27, s16
	v_and_b32_e32 v88, 3, v88
	v_lshl_add_u32 v27, v27, 23, 0x37800000
	v_cndmask_b32_e64 v26, v26, v88, s16
	v_and_b32_e32 v88, 0x80000000, v90
	v_lshlrev_b32_e32 v26, 21, v26
	v_or3_b32 v88, v88, v27, v26
.LBB4_1337:                             ;   in Loop: Header=BB4_1131 Depth=4
	s_or_b32 exec_lo, exec_lo, s72
	v_and_b32_sdwa v90, v10, v119 dst_sel:DWORD dst_unused:UNUSED_PAD src0_sel:WORD_1 src1_sel:DWORD
	s_mov_b32 s17, 0
	s_mov_b32 s72, exec_lo
	v_cmpx_lt_i16_e32 0x7f, v90
	s_xor_b32 s72, exec_lo, s72
	s_cbranch_execz .LBB4_1491
; %bb.1338:                             ;   in Loop: Header=BB4_1131 Depth=4
	s_mov_b32 s17, -1
	s_mov_b32 s73, exec_lo
	v_cmpx_eq_u16_e32 0x80, v90
; %bb.1339:                             ;   in Loop: Header=BB4_1131 Depth=4
	s_xor_b32 s17, exec_lo, -1
; %bb.1340:                             ;   in Loop: Header=BB4_1131 Depth=4
	s_or_b32 exec_lo, exec_lo, s73
	s_and_b32 s17, s17, exec_lo
                                        ; implicit-def: $vgpr90
	s_or_saveexec_b32 s72, s72
	v_mov_b32_e32 v89, 0x7f800001
	s_xor_b32 exec_lo, exec_lo, s72
	s_cbranch_execnz .LBB4_1492
.LBB4_1341:                             ;   in Loop: Header=BB4_1131 Depth=4
	s_or_b32 exec_lo, exec_lo, s72
	s_and_saveexec_b32 s72, s17
	s_cbranch_execz .LBB4_1343
.LBB4_1342:                             ;   in Loop: Header=BB4_1131 Depth=4
	v_and_b32_sdwa v26, v10, v40 dst_sel:DWORD dst_unused:UNUSED_PAD src0_sel:WORD_1 src1_sel:DWORD
	v_bfe_u32 v90, v10, 18, 5
	v_lshlrev_b32_sdwa v91, v118, v10 dst_sel:DWORD dst_unused:UNUSED_PAD src0_sel:DWORD src1_sel:WORD_1
	v_ffbh_u32_e32 v27, v26
	v_cmp_eq_u32_e64 s16, 0, v90
	v_min_u32_e32 v27, 32, v27
	v_subrev_nc_u32_e32 v89, 29, v27
	v_sub_nc_u32_e32 v27, 30, v27
	v_lshlrev_b32_sdwa v89, v89, v10 dst_sel:DWORD dst_unused:UNUSED_PAD src0_sel:DWORD src1_sel:WORD_1
	v_cndmask_b32_e64 v27, v90, v27, s16
	v_and_b32_e32 v89, 3, v89
	v_lshl_add_u32 v27, v27, 23, 0x37800000
	v_cndmask_b32_e64 v26, v26, v89, s16
	v_and_b32_e32 v89, 0x80000000, v91
	v_lshlrev_b32_e32 v26, 21, v26
	v_or3_b32 v89, v89, v27, v26
.LBB4_1343:                             ;   in Loop: Header=BB4_1131 Depth=4
	s_or_b32 exec_lo, exec_lo, s72
	v_mul_f32_e32 v89, v88, v89
	v_mov_b32_e32 v88, 0x80
	s_mov_b32 s72, exec_lo
	v_and_b32_e32 v26, 0x7f800000, v89
	v_cmpx_ne_u32_e32 0x7f800000, v26
	s_cbranch_execz .LBB4_1351
; %bb.1344:                             ;   in Loop: Header=BB4_1131 Depth=4
	v_mov_b32_e32 v88, 0
	s_mov_b32 s73, exec_lo
	v_cmpx_ne_u32_e32 0, v89
	s_cbranch_execz .LBB4_1350
; %bb.1345:                             ;   in Loop: Header=BB4_1131 Depth=4
	v_bfe_u32 v26, v89, 23, 8
	v_and_b32_e32 v27, 0x7fffff, v89
	v_sub_nc_u32_e32 v88, 0x70, v26
	v_cmp_gt_u32_e64 s16, 0x71, v26
	v_or_b32_e32 v90, 0x800000, v27
	v_cndmask_b32_e64 v88, 0, v88, s16
	v_cmp_eq_u32_e64 s16, 0, v26
	v_add_nc_u32_e32 v26, 0xffffff91, v26
	v_cndmask_b32_e64 v88, v88, 0x6f, s16
	v_cndmask_b32_e64 v27, v90, v27, s16
	;; [unrolled: 1-line block ×3, first 2 shown]
	v_lshl_add_u32 v91, 0x200000, v88, -1
	v_lshrrev_b32_e32 v90, v88, v27
	v_lshlrev_b32_e64 v93, v88, 0x100000
	v_and_b32_e32 v27, v91, v27
	v_bfe_u32 v92, v90, 21, 1
	v_cmp_eq_u32_e64 s17, v27, v93
	v_add_nc_u32_e32 v91, -1, v92
	v_lshrrev_b32_e32 v92, 23, v90
	v_cndmask_b32_e64 v27, 0, v91, s17
	v_add_nc_u32_e32 v91, v88, v26
	v_xor_b32_e32 v92, 1, v92
	s_mov_b32 s17, exec_lo
                                        ; implicit-def: $vgpr88
	v_add_nc_u32_e32 v27, v27, v90
	v_and_b32_e32 v26, 0x1fffff, v27
	v_add_nc_u32_e32 v90, v26, v90
	v_cmpx_ne_u32_e64 v91, v92
	s_xor_b32 s17, exec_lo, s17
; %bb.1346:                             ;   in Loop: Header=BB4_1131 Depth=4
	v_cmp_lt_u32_e64 s16, 0xffffff, v90
	v_sub_nc_u32_e32 v26, v91, v92
	v_cndmask_b32_e64 v27, 0, 1, s16
	v_add_co_ci_u32_e64 v88, null, 0, v26, s16
	v_lshrrev_b32_e32 v90, v27, v90
; %bb.1347:                             ;   in Loop: Header=BB4_1131 Depth=4
	s_andn2_saveexec_b32 s16, s17
; %bb.1348:                             ;   in Loop: Header=BB4_1131 Depth=4
	v_bfe_u32 v88, v90, 23, 1
; %bb.1349:                             ;   in Loop: Header=BB4_1131 Depth=4
	s_or_b32 exec_lo, exec_lo, s16
	v_lshrrev_b32_e32 v26, 21, v90
	v_min_i32_e32 v27, 31, v88
	v_cmp_gt_i32_e64 s16, 32, v88
	v_and_b32_sdwa v89, v89, v116 dst_sel:DWORD dst_unused:UNUSED_PAD src0_sel:BYTE_3 src1_sel:DWORD
	v_lshlrev_b32_e32 v27, 2, v27
	v_cndmask_b32_e64 v26, 3, v26, s16
	v_and_b32_e32 v27, 0xfc, v27
	v_and_b32_e32 v90, 3, v26
	v_or_b32_e32 v26, v88, v26
	v_or3_b32 v27, v27, v89, v90
	v_cmp_ne_u32_e64 s16, 0, v26
	v_cndmask_b32_e64 v88, 0, v27, s16
.LBB4_1350:                             ;   in Loop: Header=BB4_1131 Depth=4
	s_or_b32 exec_lo, exec_lo, s73
.LBB4_1351:                             ;   in Loop: Header=BB4_1131 Depth=4
	s_or_b32 exec_lo, exec_lo, s72
	v_cmp_gt_i16_sdwa s17, v14, v115 src0_sel:BYTE_3 src1_sel:DWORD
	s_mov_b32 s16, 0
	s_and_saveexec_b32 s72, s17
	s_xor_b32 s17, exec_lo, s72
	s_cbranch_execz .LBB4_1493
; %bb.1352:                             ;   in Loop: Header=BB4_1131 Depth=4
	v_cmp_eq_u16_sdwa s73, v14, v116 src0_sel:BYTE_3 src1_sel:DWORD
	s_mov_b32 s16, -1
	s_and_saveexec_b32 s72, s73
; %bb.1353:                             ;   in Loop: Header=BB4_1131 Depth=4
	s_xor_b32 s16, exec_lo, -1
; %bb.1354:                             ;   in Loop: Header=BB4_1131 Depth=4
	s_or_b32 exec_lo, exec_lo, s72
	s_and_b32 s16, s16, exec_lo
	s_or_saveexec_b32 s17, s17
	v_mov_b32_e32 v89, 0x7f800001
	s_xor_b32 exec_lo, exec_lo, s17
	s_cbranch_execnz .LBB4_1494
.LBB4_1355:                             ;   in Loop: Header=BB4_1131 Depth=4
	s_or_b32 exec_lo, exec_lo, s17
	s_and_saveexec_b32 s17, s16
	s_cbranch_execz .LBB4_1357
.LBB4_1356:                             ;   in Loop: Header=BB4_1131 Depth=4
	v_bfe_u32 v26, v14, 24, 2
	v_bfe_u32 v90, v14, 26, 5
	v_ffbh_u32_e32 v27, v26
	v_cmp_eq_u32_e64 s16, 0, v90
	v_min_u32_e32 v27, 32, v27
	v_subrev_nc_u32_e32 v89, 29, v27
	v_sub_nc_u32_e32 v27, 30, v27
	v_lshlrev_b32_sdwa v89, v89, v14 dst_sel:DWORD dst_unused:UNUSED_PAD src0_sel:DWORD src1_sel:BYTE_3
	v_cndmask_b32_e64 v27, v90, v27, s16
	v_and_b32_e32 v14, 0x80000000, v14
	v_and_b32_e32 v89, 3, v89
	v_lshl_add_u32 v27, v27, 23, 0x37800000
	v_cndmask_b32_e64 v26, v26, v89, s16
	v_lshlrev_b32_e32 v26, 21, v26
	v_or3_b32 v89, v14, v27, v26
.LBB4_1357:                             ;   in Loop: Header=BB4_1131 Depth=4
	s_or_b32 exec_lo, exec_lo, s17
	v_cmp_gt_i16_sdwa s17, v10, v115 src0_sel:BYTE_3 src1_sel:DWORD
	s_mov_b32 s16, 0
	s_and_saveexec_b32 s72, s17
	s_xor_b32 s17, exec_lo, s72
	s_cbranch_execz .LBB4_1495
; %bb.1358:                             ;   in Loop: Header=BB4_1131 Depth=4
	v_cmp_eq_u16_sdwa s73, v10, v116 src0_sel:BYTE_3 src1_sel:DWORD
	s_mov_b32 s16, -1
	s_and_saveexec_b32 s72, s73
; %bb.1359:                             ;   in Loop: Header=BB4_1131 Depth=4
	s_xor_b32 s16, exec_lo, -1
; %bb.1360:                             ;   in Loop: Header=BB4_1131 Depth=4
	s_or_b32 exec_lo, exec_lo, s72
	s_and_b32 s16, s16, exec_lo
	s_or_saveexec_b32 s17, s17
	v_mov_b32_e32 v14, 0x7f800001
	s_xor_b32 exec_lo, exec_lo, s17
	s_cbranch_execnz .LBB4_1496
.LBB4_1361:                             ;   in Loop: Header=BB4_1131 Depth=4
	s_or_b32 exec_lo, exec_lo, s17
	s_and_saveexec_b32 s17, s16
	s_cbranch_execz .LBB4_1363
.LBB4_1362:                             ;   in Loop: Header=BB4_1131 Depth=4
	v_and_b32_sdwa v14, v10, v40 dst_sel:DWORD dst_unused:UNUSED_PAD src0_sel:BYTE_3 src1_sel:DWORD
	v_bfe_u32 v90, v10, 26, 5
	v_ffbh_u32_e32 v26, v14
	v_cmp_eq_u32_e64 s16, 0, v90
	v_min_u32_e32 v26, 32, v26
	v_subrev_nc_u32_e32 v27, 29, v26
	v_sub_nc_u32_e32 v26, 30, v26
	v_lshlrev_b32_sdwa v27, v27, v10 dst_sel:DWORD dst_unused:UNUSED_PAD src0_sel:DWORD src1_sel:BYTE_3
	v_cndmask_b32_e64 v26, v90, v26, s16
	v_and_b32_e32 v10, 0x80000000, v10
	v_and_b32_e32 v27, 3, v27
	v_lshl_add_u32 v26, v26, 23, 0x37800000
	v_cndmask_b32_e64 v14, v14, v27, s16
	v_lshlrev_b32_e32 v14, 21, v14
	v_or3_b32 v14, v10, v26, v14
.LBB4_1363:                             ;   in Loop: Header=BB4_1131 Depth=4
	s_or_b32 exec_lo, exec_lo, s17
	v_mul_f32_e32 v14, v89, v14
	v_and_b32_e32 v10, 0x7f800000, v14
	v_cmp_ne_u32_e64 s16, 0x7f800000, v10
	v_mov_b32_e32 v10, 0x8000
	s_and_saveexec_b32 s72, s16
	s_cbranch_execz .LBB4_1371
; %bb.1364:                             ;   in Loop: Header=BB4_1131 Depth=4
	v_mov_b32_e32 v10, 0
	s_mov_b32 s73, exec_lo
	v_cmpx_ne_u32_e32 0, v14
	s_cbranch_execz .LBB4_1370
; %bb.1365:                             ;   in Loop: Header=BB4_1131 Depth=4
	v_bfe_u32 v10, v14, 23, 8
	v_and_b32_e32 v26, 0x7fffff, v14
	v_sub_nc_u32_e32 v27, 0x70, v10
	v_cmp_gt_u32_e64 s16, 0x71, v10
	v_or_b32_e32 v89, 0x800000, v26
	v_cndmask_b32_e64 v27, 0, v27, s16
	v_cmp_eq_u32_e64 s16, 0, v10
	v_add_nc_u32_e32 v10, 0xffffff91, v10
	v_cndmask_b32_e64 v27, v27, 0x6f, s16
	v_cndmask_b32_e64 v26, v89, v26, s16
	;; [unrolled: 1-line block ×3, first 2 shown]
	v_lshl_add_u32 v90, 0x200000, v27, -1
	v_lshrrev_b32_e32 v89, v27, v26
	v_lshlrev_b32_e64 v92, v27, 0x100000
	v_and_b32_e32 v26, v90, v26
	v_bfe_u32 v91, v89, 21, 1
	v_cmp_eq_u32_e64 s17, v26, v92
	v_add_nc_u32_e32 v90, -1, v91
	v_lshrrev_b32_e32 v91, 23, v89
	v_cndmask_b32_e64 v26, 0, v90, s17
	v_add_nc_u32_e32 v90, v27, v10
	v_xor_b32_e32 v91, 1, v91
	s_mov_b32 s17, exec_lo
	v_add_nc_u32_e32 v26, v26, v89
	v_and_b32_e32 v10, 0x1fffff, v26
	v_add_nc_u32_e32 v89, v10, v89
                                        ; implicit-def: $vgpr10
	v_cmpx_ne_u32_e64 v90, v91
	s_xor_b32 s17, exec_lo, s17
; %bb.1366:                             ;   in Loop: Header=BB4_1131 Depth=4
	v_cmp_lt_u32_e64 s16, 0xffffff, v89
	v_sub_nc_u32_e32 v10, v90, v91
	v_cndmask_b32_e64 v26, 0, 1, s16
	v_add_co_ci_u32_e64 v10, null, 0, v10, s16
	v_lshrrev_b32_e32 v89, v26, v89
; %bb.1367:                             ;   in Loop: Header=BB4_1131 Depth=4
	s_andn2_saveexec_b32 s16, s17
; %bb.1368:                             ;   in Loop: Header=BB4_1131 Depth=4
	v_bfe_u32 v10, v89, 23, 1
; %bb.1369:                             ;   in Loop: Header=BB4_1131 Depth=4
	s_or_b32 exec_lo, exec_lo, s16
	v_lshrrev_b32_e32 v26, 21, v89
	v_min_i32_e32 v27, 31, v10
	v_cmp_gt_i32_e64 s16, 32, v10
	v_and_b32_sdwa v14, v14, v116 dst_sel:DWORD dst_unused:UNUSED_PAD src0_sel:BYTE_3 src1_sel:DWORD
	v_lshlrev_b32_e32 v27, 2, v27
	v_cndmask_b32_e64 v26, 3, v26, s16
	v_and_b32_e32 v27, 0xfc, v27
	v_and_b32_e32 v89, 3, v26
	v_or_b32_e32 v10, v10, v26
	v_or3_b32 v14, v14, v27, v89
	v_cmp_ne_u32_e64 s16, 0, v10
	v_lshlrev_b32_e32 v14, 8, v14
	v_cndmask_b32_e64 v10, 0, v14, s16
.LBB4_1370:                             ;   in Loop: Header=BB4_1131 Depth=4
	s_or_b32 exec_lo, exec_lo, s73
.LBB4_1371:                             ;   in Loop: Header=BB4_1131 Depth=4
	s_or_b32 exec_lo, exec_lo, s72
	v_cmp_gt_i16_sdwa s17, v15, v115 src0_sel:BYTE_0 src1_sel:DWORD
	s_mov_b32 s16, 0
	s_and_saveexec_b32 s72, s17
	s_xor_b32 s17, exec_lo, s72
	s_cbranch_execz .LBB4_1497
; %bb.1372:                             ;   in Loop: Header=BB4_1131 Depth=4
	v_cmp_eq_u16_sdwa s73, v15, v116 src0_sel:BYTE_0 src1_sel:DWORD
	s_mov_b32 s16, -1
	s_and_saveexec_b32 s72, s73
; %bb.1373:                             ;   in Loop: Header=BB4_1131 Depth=4
	s_xor_b32 s16, exec_lo, -1
; %bb.1374:                             ;   in Loop: Header=BB4_1131 Depth=4
	s_or_b32 exec_lo, exec_lo, s72
	s_and_b32 s16, s16, exec_lo
	s_or_saveexec_b32 s17, s17
	v_mov_b32_e32 v14, 0x7f800001
	s_xor_b32 exec_lo, exec_lo, s17
	s_cbranch_execnz .LBB4_1498
.LBB4_1375:                             ;   in Loop: Header=BB4_1131 Depth=4
	s_or_b32 exec_lo, exec_lo, s17
	s_and_saveexec_b32 s17, s16
	s_cbranch_execz .LBB4_1377
.LBB4_1376:                             ;   in Loop: Header=BB4_1131 Depth=4
	v_and_b32_e32 v14, 3, v15
	v_bfe_u32 v89, v15, 2, 5
	v_lshlrev_b32_e32 v90, 24, v15
	v_ffbh_u32_e32 v26, v14
	v_cmp_eq_u32_e64 s16, 0, v89
	v_min_u32_e32 v26, 32, v26
	v_subrev_nc_u32_e32 v27, 29, v26
	v_sub_nc_u32_e32 v26, 30, v26
	v_lshlrev_b32_e32 v27, v27, v15
	v_cndmask_b32_e64 v26, v89, v26, s16
	v_and_b32_e32 v27, 3, v27
	v_lshl_add_u32 v26, v26, 23, 0x37800000
	v_cndmask_b32_e64 v14, v14, v27, s16
	v_and_b32_e32 v27, 0x80000000, v90
	v_lshlrev_b32_e32 v14, 21, v14
	v_or3_b32 v14, v27, v26, v14
.LBB4_1377:                             ;   in Loop: Header=BB4_1131 Depth=4
	s_or_b32 exec_lo, exec_lo, s17
	v_cmp_gt_i16_sdwa s17, v11, v115 src0_sel:BYTE_0 src1_sel:DWORD
	s_mov_b32 s16, 0
	s_and_saveexec_b32 s72, s17
	s_xor_b32 s17, exec_lo, s72
	s_cbranch_execz .LBB4_1499
; %bb.1378:                             ;   in Loop: Header=BB4_1131 Depth=4
	v_cmp_eq_u16_sdwa s73, v11, v116 src0_sel:BYTE_0 src1_sel:DWORD
	s_mov_b32 s16, -1
	s_and_saveexec_b32 s72, s73
; %bb.1379:                             ;   in Loop: Header=BB4_1131 Depth=4
	s_xor_b32 s16, exec_lo, -1
; %bb.1380:                             ;   in Loop: Header=BB4_1131 Depth=4
	s_or_b32 exec_lo, exec_lo, s72
	s_and_b32 s16, s16, exec_lo
	s_or_saveexec_b32 s17, s17
	v_mov_b32_e32 v89, 0x7f800001
	s_xor_b32 exec_lo, exec_lo, s17
	s_cbranch_execnz .LBB4_1500
.LBB4_1381:                             ;   in Loop: Header=BB4_1131 Depth=4
	s_or_b32 exec_lo, exec_lo, s17
	s_and_saveexec_b32 s17, s16
	s_cbranch_execz .LBB4_1383
.LBB4_1382:                             ;   in Loop: Header=BB4_1131 Depth=4
	v_and_b32_e32 v26, 3, v11
	v_bfe_u32 v90, v11, 2, 5
	v_lshlrev_b32_e32 v91, 24, v11
	v_ffbh_u32_e32 v27, v26
	v_cmp_eq_u32_e64 s16, 0, v90
	v_min_u32_e32 v27, 32, v27
	v_subrev_nc_u32_e32 v89, 29, v27
	v_sub_nc_u32_e32 v27, 30, v27
	v_lshlrev_b32_e32 v89, v89, v11
	v_cndmask_b32_e64 v27, v90, v27, s16
	v_and_b32_e32 v89, 3, v89
	v_lshl_add_u32 v27, v27, 23, 0x37800000
	v_cndmask_b32_e64 v26, v26, v89, s16
	v_and_b32_e32 v89, 0x80000000, v91
	v_lshlrev_b32_e32 v26, 21, v26
	v_or3_b32 v89, v89, v27, v26
.LBB4_1383:                             ;   in Loop: Header=BB4_1131 Depth=4
	s_or_b32 exec_lo, exec_lo, s17
	v_mul_f32_e32 v89, v14, v89
	v_and_b32_e32 v14, 0x7f800000, v89
	v_cmp_ne_u32_e64 s16, 0x7f800000, v14
	v_mov_b32_e32 v14, 0x80
	s_and_saveexec_b32 s72, s16
	s_cbranch_execz .LBB4_1391
; %bb.1384:                             ;   in Loop: Header=BB4_1131 Depth=4
	v_mov_b32_e32 v14, 0
	s_mov_b32 s73, exec_lo
	v_cmpx_ne_u32_e32 0, v89
	s_cbranch_execz .LBB4_1390
; %bb.1385:                             ;   in Loop: Header=BB4_1131 Depth=4
	v_bfe_u32 v14, v89, 23, 8
	v_and_b32_e32 v26, 0x7fffff, v89
	v_sub_nc_u32_e32 v27, 0x70, v14
	v_cmp_gt_u32_e64 s16, 0x71, v14
	v_or_b32_e32 v90, 0x800000, v26
	v_cndmask_b32_e64 v27, 0, v27, s16
	v_cmp_eq_u32_e64 s16, 0, v14
	v_add_nc_u32_e32 v14, 0xffffff91, v14
	v_cndmask_b32_e64 v27, v27, 0x6f, s16
	v_cndmask_b32_e64 v26, v90, v26, s16
	;; [unrolled: 1-line block ×3, first 2 shown]
	v_lshl_add_u32 v91, 0x200000, v27, -1
	v_lshrrev_b32_e32 v90, v27, v26
	v_lshlrev_b32_e64 v93, v27, 0x100000
	v_and_b32_e32 v26, v91, v26
	v_bfe_u32 v92, v90, 21, 1
	v_cmp_eq_u32_e64 s17, v26, v93
	v_add_nc_u32_e32 v91, -1, v92
	v_lshrrev_b32_e32 v92, 23, v90
	v_cndmask_b32_e64 v26, 0, v91, s17
	v_add_nc_u32_e32 v91, v27, v14
	v_xor_b32_e32 v92, 1, v92
	s_mov_b32 s17, exec_lo
	v_add_nc_u32_e32 v26, v26, v90
	v_and_b32_e32 v14, 0x1fffff, v26
	v_add_nc_u32_e32 v90, v14, v90
                                        ; implicit-def: $vgpr14
	v_cmpx_ne_u32_e64 v91, v92
	s_xor_b32 s17, exec_lo, s17
; %bb.1386:                             ;   in Loop: Header=BB4_1131 Depth=4
	v_cmp_lt_u32_e64 s16, 0xffffff, v90
	v_sub_nc_u32_e32 v14, v91, v92
	v_cndmask_b32_e64 v26, 0, 1, s16
	v_add_co_ci_u32_e64 v14, null, 0, v14, s16
	v_lshrrev_b32_e32 v90, v26, v90
; %bb.1387:                             ;   in Loop: Header=BB4_1131 Depth=4
	s_andn2_saveexec_b32 s16, s17
; %bb.1388:                             ;   in Loop: Header=BB4_1131 Depth=4
	v_bfe_u32 v14, v90, 23, 1
; %bb.1389:                             ;   in Loop: Header=BB4_1131 Depth=4
	s_or_b32 exec_lo, exec_lo, s16
	v_lshrrev_b32_e32 v26, 21, v90
	v_min_i32_e32 v27, 31, v14
	v_cmp_gt_i32_e64 s16, 32, v14
	v_and_b32_sdwa v89, v89, v116 dst_sel:DWORD dst_unused:UNUSED_PAD src0_sel:BYTE_3 src1_sel:DWORD
	v_lshlrev_b32_e32 v27, 2, v27
	v_cndmask_b32_e64 v26, 3, v26, s16
	v_and_b32_e32 v27, 0xfc, v27
	v_and_b32_e32 v90, 3, v26
	v_or_b32_e32 v14, v14, v26
	v_or3_b32 v26, v27, v89, v90
	v_cmp_ne_u32_e64 s16, 0, v14
	v_cndmask_b32_e64 v14, 0, v26, s16
.LBB4_1390:                             ;   in Loop: Header=BB4_1131 Depth=4
	s_or_b32 exec_lo, exec_lo, s73
.LBB4_1391:                             ;   in Loop: Header=BB4_1131 Depth=4
	s_or_b32 exec_lo, exec_lo, s72
	v_cmp_gt_i16_sdwa s17, v15, v115 src0_sel:BYTE_1 src1_sel:DWORD
	s_mov_b32 s16, 0
	s_and_saveexec_b32 s72, s17
	s_xor_b32 s17, exec_lo, s72
	s_cbranch_execz .LBB4_1501
; %bb.1392:                             ;   in Loop: Header=BB4_1131 Depth=4
	v_cmp_eq_u16_sdwa s73, v15, v116 src0_sel:BYTE_1 src1_sel:DWORD
	s_mov_b32 s16, -1
	s_and_saveexec_b32 s72, s73
; %bb.1393:                             ;   in Loop: Header=BB4_1131 Depth=4
	s_xor_b32 s16, exec_lo, -1
; %bb.1394:                             ;   in Loop: Header=BB4_1131 Depth=4
	s_or_b32 exec_lo, exec_lo, s72
	s_and_b32 s16, s16, exec_lo
	s_or_saveexec_b32 s17, s17
	v_mov_b32_e32 v89, 0x7f800001
	s_xor_b32 exec_lo, exec_lo, s17
	s_cbranch_execnz .LBB4_1502
.LBB4_1395:                             ;   in Loop: Header=BB4_1131 Depth=4
	s_or_b32 exec_lo, exec_lo, s17
	s_and_saveexec_b32 s17, s16
	s_cbranch_execz .LBB4_1397
.LBB4_1396:                             ;   in Loop: Header=BB4_1131 Depth=4
	v_and_b32_sdwa v26, v117, v15 dst_sel:DWORD dst_unused:UNUSED_PAD src0_sel:DWORD src1_sel:BYTE_1
	v_and_b32_e32 v27, 3, v26
	v_bfe_u32 v91, v26, 2, 5
	v_ffbh_u32_e32 v89, v27
	v_cmp_eq_u32_e64 s16, 0, v91
	v_min_u32_e32 v89, 32, v89
	v_subrev_nc_u32_e32 v90, 29, v89
	v_sub_nc_u32_e32 v89, 30, v89
	v_lshlrev_b32_e32 v26, v90, v26
	v_lshlrev_b32_sdwa v90, v118, v15 dst_sel:DWORD dst_unused:UNUSED_PAD src0_sel:DWORD src1_sel:BYTE_1
	v_cndmask_b32_e64 v89, v91, v89, s16
	v_and_b32_e32 v26, 3, v26
	v_lshl_add_u32 v89, v89, 23, 0x37800000
	v_cndmask_b32_e64 v26, v27, v26, s16
	v_and_b32_e32 v27, 0x80000000, v90
	v_lshlrev_b32_e32 v26, 21, v26
	v_or3_b32 v89, v27, v89, v26
.LBB4_1397:                             ;   in Loop: Header=BB4_1131 Depth=4
	s_or_b32 exec_lo, exec_lo, s17
	v_cmp_gt_i16_sdwa s17, v11, v115 src0_sel:BYTE_1 src1_sel:DWORD
	s_mov_b32 s16, 0
	s_and_saveexec_b32 s72, s17
	s_xor_b32 s17, exec_lo, s72
	s_cbranch_execz .LBB4_1503
; %bb.1398:                             ;   in Loop: Header=BB4_1131 Depth=4
	v_cmp_eq_u16_sdwa s73, v11, v116 src0_sel:BYTE_1 src1_sel:DWORD
	s_mov_b32 s16, -1
	s_and_saveexec_b32 s72, s73
; %bb.1399:                             ;   in Loop: Header=BB4_1131 Depth=4
	s_xor_b32 s16, exec_lo, -1
; %bb.1400:                             ;   in Loop: Header=BB4_1131 Depth=4
	s_or_b32 exec_lo, exec_lo, s72
	s_and_b32 s16, s16, exec_lo
	s_or_saveexec_b32 s17, s17
	v_mov_b32_e32 v90, 0x7f800001
	s_xor_b32 exec_lo, exec_lo, s17
	s_cbranch_execnz .LBB4_1504
.LBB4_1401:                             ;   in Loop: Header=BB4_1131 Depth=4
	s_or_b32 exec_lo, exec_lo, s17
	s_and_saveexec_b32 s17, s16
	s_cbranch_execz .LBB4_1403
.LBB4_1402:                             ;   in Loop: Header=BB4_1131 Depth=4
	v_and_b32_sdwa v26, v117, v11 dst_sel:DWORD dst_unused:UNUSED_PAD src0_sel:DWORD src1_sel:BYTE_1
	v_and_b32_e32 v27, 3, v26
	v_bfe_u32 v92, v26, 2, 5
	v_ffbh_u32_e32 v90, v27
	v_cmp_eq_u32_e64 s16, 0, v92
	v_min_u32_e32 v90, 32, v90
	v_subrev_nc_u32_e32 v91, 29, v90
	v_sub_nc_u32_e32 v90, 30, v90
	v_lshlrev_b32_e32 v26, v91, v26
	v_lshlrev_b32_sdwa v91, v118, v11 dst_sel:DWORD dst_unused:UNUSED_PAD src0_sel:DWORD src1_sel:BYTE_1
	v_cndmask_b32_e64 v90, v92, v90, s16
	v_and_b32_e32 v26, 3, v26
	v_lshl_add_u32 v90, v90, 23, 0x37800000
	v_cndmask_b32_e64 v26, v27, v26, s16
	v_and_b32_e32 v27, 0x80000000, v91
	v_lshlrev_b32_e32 v26, 21, v26
	v_or3_b32 v90, v27, v90, v26
.LBB4_1403:                             ;   in Loop: Header=BB4_1131 Depth=4
	s_or_b32 exec_lo, exec_lo, s17
	v_mul_f32_e32 v90, v89, v90
	v_mov_b32_e32 v89, 0x8000
	s_mov_b32 s72, exec_lo
	v_and_b32_e32 v26, 0x7f800000, v90
	v_cmpx_ne_u32_e32 0x7f800000, v26
	s_cbranch_execz .LBB4_1411
; %bb.1404:                             ;   in Loop: Header=BB4_1131 Depth=4
	v_mov_b32_e32 v89, 0
	s_mov_b32 s73, exec_lo
	v_cmpx_ne_u32_e32 0, v90
	s_cbranch_execz .LBB4_1410
; %bb.1405:                             ;   in Loop: Header=BB4_1131 Depth=4
	v_bfe_u32 v26, v90, 23, 8
	v_and_b32_e32 v27, 0x7fffff, v90
	v_sub_nc_u32_e32 v89, 0x70, v26
	v_cmp_gt_u32_e64 s16, 0x71, v26
	v_or_b32_e32 v91, 0x800000, v27
	v_cndmask_b32_e64 v89, 0, v89, s16
	v_cmp_eq_u32_e64 s16, 0, v26
	v_add_nc_u32_e32 v26, 0xffffff91, v26
	v_cndmask_b32_e64 v89, v89, 0x6f, s16
	v_cndmask_b32_e64 v27, v91, v27, s16
	;; [unrolled: 1-line block ×3, first 2 shown]
	v_lshl_add_u32 v92, 0x200000, v89, -1
	v_lshrrev_b32_e32 v91, v89, v27
	v_lshlrev_b32_e64 v94, v89, 0x100000
	v_and_b32_e32 v27, v92, v27
	v_bfe_u32 v93, v91, 21, 1
	v_cmp_eq_u32_e64 s17, v27, v94
	v_add_nc_u32_e32 v92, -1, v93
	v_lshrrev_b32_e32 v93, 23, v91
	v_cndmask_b32_e64 v27, 0, v92, s17
	v_add_nc_u32_e32 v92, v89, v26
	v_xor_b32_e32 v93, 1, v93
	s_mov_b32 s17, exec_lo
                                        ; implicit-def: $vgpr89
	v_add_nc_u32_e32 v27, v27, v91
	v_and_b32_e32 v26, 0x1fffff, v27
	v_add_nc_u32_e32 v91, v26, v91
	v_cmpx_ne_u32_e64 v92, v93
	s_xor_b32 s17, exec_lo, s17
; %bb.1406:                             ;   in Loop: Header=BB4_1131 Depth=4
	v_cmp_lt_u32_e64 s16, 0xffffff, v91
	v_sub_nc_u32_e32 v26, v92, v93
	v_cndmask_b32_e64 v27, 0, 1, s16
	v_add_co_ci_u32_e64 v89, null, 0, v26, s16
	v_lshrrev_b32_e32 v91, v27, v91
; %bb.1407:                             ;   in Loop: Header=BB4_1131 Depth=4
	s_andn2_saveexec_b32 s16, s17
; %bb.1408:                             ;   in Loop: Header=BB4_1131 Depth=4
	v_bfe_u32 v89, v91, 23, 1
; %bb.1409:                             ;   in Loop: Header=BB4_1131 Depth=4
	s_or_b32 exec_lo, exec_lo, s16
	v_lshrrev_b32_e32 v26, 21, v91
	v_min_i32_e32 v27, 31, v89
	v_cmp_gt_i32_e64 s16, 32, v89
	v_and_b32_sdwa v90, v90, v116 dst_sel:DWORD dst_unused:UNUSED_PAD src0_sel:BYTE_3 src1_sel:DWORD
	v_lshlrev_b32_e32 v27, 2, v27
	v_cndmask_b32_e64 v26, 3, v26, s16
	v_and_b32_e32 v27, 0xfc, v27
	v_and_b32_e32 v91, 3, v26
	v_or_b32_e32 v26, v89, v26
	v_or3_b32 v27, v90, v27, v91
	v_cmp_ne_u32_e64 s16, 0, v26
	v_lshlrev_b32_e32 v27, 8, v27
	v_cndmask_b32_e64 v89, 0, v27, s16
.LBB4_1410:                             ;   in Loop: Header=BB4_1131 Depth=4
	s_or_b32 exec_lo, exec_lo, s73
.LBB4_1411:                             ;   in Loop: Header=BB4_1131 Depth=4
	s_or_b32 exec_lo, exec_lo, s72
	v_and_b32_sdwa v91, v15, v119 dst_sel:DWORD dst_unused:UNUSED_PAD src0_sel:WORD_1 src1_sel:DWORD
	s_mov_b32 s17, 0
	s_mov_b32 s72, exec_lo
	v_cmpx_lt_i16_e32 0x7f, v91
	s_xor_b32 s72, exec_lo, s72
	s_cbranch_execz .LBB4_1505
; %bb.1412:                             ;   in Loop: Header=BB4_1131 Depth=4
	s_mov_b32 s17, -1
	s_mov_b32 s73, exec_lo
	v_cmpx_eq_u16_e32 0x80, v91
; %bb.1413:                             ;   in Loop: Header=BB4_1131 Depth=4
	s_xor_b32 s17, exec_lo, -1
; %bb.1414:                             ;   in Loop: Header=BB4_1131 Depth=4
	s_or_b32 exec_lo, exec_lo, s73
	s_and_b32 s17, s17, exec_lo
                                        ; implicit-def: $vgpr91
	s_or_saveexec_b32 s72, s72
	v_mov_b32_e32 v90, 0x7f800001
	s_xor_b32 exec_lo, exec_lo, s72
	s_cbranch_execnz .LBB4_1506
.LBB4_1415:                             ;   in Loop: Header=BB4_1131 Depth=4
	s_or_b32 exec_lo, exec_lo, s72
	s_and_saveexec_b32 s72, s17
	s_cbranch_execz .LBB4_1417
.LBB4_1416:                             ;   in Loop: Header=BB4_1131 Depth=4
	v_bfe_u32 v26, v15, 16, 2
	v_bfe_u32 v91, v15, 18, 5
	v_lshlrev_b32_e32 v92, 8, v15
	v_ffbh_u32_e32 v27, v26
	v_cmp_eq_u32_e64 s16, 0, v91
	v_min_u32_e32 v27, 32, v27
	v_subrev_nc_u32_e32 v90, 29, v27
	v_sub_nc_u32_e32 v27, 30, v27
	v_lshlrev_b32_sdwa v90, v90, v15 dst_sel:DWORD dst_unused:UNUSED_PAD src0_sel:DWORD src1_sel:WORD_1
	v_cndmask_b32_e64 v27, v91, v27, s16
	v_and_b32_e32 v90, 3, v90
	v_lshl_add_u32 v27, v27, 23, 0x37800000
	v_cndmask_b32_e64 v26, v26, v90, s16
	v_and_b32_e32 v90, 0x80000000, v92
	v_lshlrev_b32_e32 v26, 21, v26
	v_or3_b32 v90, v90, v27, v26
.LBB4_1417:                             ;   in Loop: Header=BB4_1131 Depth=4
	s_or_b32 exec_lo, exec_lo, s72
	v_and_b32_sdwa v92, v11, v119 dst_sel:DWORD dst_unused:UNUSED_PAD src0_sel:WORD_1 src1_sel:DWORD
	s_mov_b32 s17, 0
	s_mov_b32 s72, exec_lo
	v_cmpx_lt_i16_e32 0x7f, v92
	s_xor_b32 s72, exec_lo, s72
	s_cbranch_execz .LBB4_1507
; %bb.1418:                             ;   in Loop: Header=BB4_1131 Depth=4
	s_mov_b32 s17, -1
	s_mov_b32 s73, exec_lo
	v_cmpx_eq_u16_e32 0x80, v92
; %bb.1419:                             ;   in Loop: Header=BB4_1131 Depth=4
	s_xor_b32 s17, exec_lo, -1
; %bb.1420:                             ;   in Loop: Header=BB4_1131 Depth=4
	s_or_b32 exec_lo, exec_lo, s73
	s_and_b32 s17, s17, exec_lo
                                        ; implicit-def: $vgpr92
	s_or_saveexec_b32 s72, s72
	v_mov_b32_e32 v91, 0x7f800001
	s_xor_b32 exec_lo, exec_lo, s72
	s_cbranch_execnz .LBB4_1508
.LBB4_1421:                             ;   in Loop: Header=BB4_1131 Depth=4
	s_or_b32 exec_lo, exec_lo, s72
	s_and_saveexec_b32 s72, s17
	s_cbranch_execz .LBB4_1423
.LBB4_1422:                             ;   in Loop: Header=BB4_1131 Depth=4
	v_and_b32_sdwa v26, v11, v40 dst_sel:DWORD dst_unused:UNUSED_PAD src0_sel:WORD_1 src1_sel:DWORD
	v_bfe_u32 v92, v11, 18, 5
	v_lshlrev_b32_sdwa v93, v118, v11 dst_sel:DWORD dst_unused:UNUSED_PAD src0_sel:DWORD src1_sel:WORD_1
	v_ffbh_u32_e32 v27, v26
	v_cmp_eq_u32_e64 s16, 0, v92
	v_min_u32_e32 v27, 32, v27
	v_subrev_nc_u32_e32 v91, 29, v27
	v_sub_nc_u32_e32 v27, 30, v27
	v_lshlrev_b32_sdwa v91, v91, v11 dst_sel:DWORD dst_unused:UNUSED_PAD src0_sel:DWORD src1_sel:WORD_1
	v_cndmask_b32_e64 v27, v92, v27, s16
	v_and_b32_e32 v91, 3, v91
	v_lshl_add_u32 v27, v27, 23, 0x37800000
	v_cndmask_b32_e64 v26, v26, v91, s16
	v_and_b32_e32 v91, 0x80000000, v93
	v_lshlrev_b32_e32 v26, 21, v26
	v_or3_b32 v91, v91, v27, v26
.LBB4_1423:                             ;   in Loop: Header=BB4_1131 Depth=4
	s_or_b32 exec_lo, exec_lo, s72
	v_mul_f32_e32 v91, v90, v91
	v_mov_b32_e32 v90, 0x80
	s_mov_b32 s72, exec_lo
	v_and_b32_e32 v26, 0x7f800000, v91
	v_cmpx_ne_u32_e32 0x7f800000, v26
	s_cbranch_execz .LBB4_1431
; %bb.1424:                             ;   in Loop: Header=BB4_1131 Depth=4
	v_mov_b32_e32 v90, 0
	s_mov_b32 s73, exec_lo
	v_cmpx_ne_u32_e32 0, v91
	s_cbranch_execz .LBB4_1430
; %bb.1425:                             ;   in Loop: Header=BB4_1131 Depth=4
	v_bfe_u32 v26, v91, 23, 8
	v_and_b32_e32 v27, 0x7fffff, v91
	v_sub_nc_u32_e32 v90, 0x70, v26
	v_cmp_gt_u32_e64 s16, 0x71, v26
	v_or_b32_e32 v92, 0x800000, v27
	v_cndmask_b32_e64 v90, 0, v90, s16
	v_cmp_eq_u32_e64 s16, 0, v26
	v_add_nc_u32_e32 v26, 0xffffff91, v26
	v_cndmask_b32_e64 v90, v90, 0x6f, s16
	v_cndmask_b32_e64 v27, v92, v27, s16
	;; [unrolled: 1-line block ×3, first 2 shown]
	v_lshl_add_u32 v93, 0x200000, v90, -1
	v_lshrrev_b32_e32 v92, v90, v27
	v_lshlrev_b32_e64 v95, v90, 0x100000
	v_and_b32_e32 v27, v93, v27
	v_bfe_u32 v94, v92, 21, 1
	v_cmp_eq_u32_e64 s17, v27, v95
	v_add_nc_u32_e32 v93, -1, v94
	v_lshrrev_b32_e32 v94, 23, v92
	v_cndmask_b32_e64 v27, 0, v93, s17
	v_add_nc_u32_e32 v93, v90, v26
	v_xor_b32_e32 v94, 1, v94
	s_mov_b32 s17, exec_lo
                                        ; implicit-def: $vgpr90
	v_add_nc_u32_e32 v27, v27, v92
	v_and_b32_e32 v26, 0x1fffff, v27
	v_add_nc_u32_e32 v92, v26, v92
	v_cmpx_ne_u32_e64 v93, v94
	s_xor_b32 s17, exec_lo, s17
; %bb.1426:                             ;   in Loop: Header=BB4_1131 Depth=4
	v_cmp_lt_u32_e64 s16, 0xffffff, v92
	v_sub_nc_u32_e32 v26, v93, v94
	v_cndmask_b32_e64 v27, 0, 1, s16
	v_add_co_ci_u32_e64 v90, null, 0, v26, s16
	v_lshrrev_b32_e32 v92, v27, v92
; %bb.1427:                             ;   in Loop: Header=BB4_1131 Depth=4
	s_andn2_saveexec_b32 s16, s17
; %bb.1428:                             ;   in Loop: Header=BB4_1131 Depth=4
	v_bfe_u32 v90, v92, 23, 1
; %bb.1429:                             ;   in Loop: Header=BB4_1131 Depth=4
	s_or_b32 exec_lo, exec_lo, s16
	v_lshrrev_b32_e32 v26, 21, v92
	v_min_i32_e32 v27, 31, v90
	v_cmp_gt_i32_e64 s16, 32, v90
	v_and_b32_sdwa v91, v91, v116 dst_sel:DWORD dst_unused:UNUSED_PAD src0_sel:BYTE_3 src1_sel:DWORD
	v_lshlrev_b32_e32 v27, 2, v27
	v_cndmask_b32_e64 v26, 3, v26, s16
	v_and_b32_e32 v27, 0xfc, v27
	v_and_b32_e32 v92, 3, v26
	v_or_b32_e32 v26, v90, v26
	v_or3_b32 v27, v27, v91, v92
	v_cmp_ne_u32_e64 s16, 0, v26
	v_cndmask_b32_e64 v90, 0, v27, s16
.LBB4_1430:                             ;   in Loop: Header=BB4_1131 Depth=4
	s_or_b32 exec_lo, exec_lo, s73
.LBB4_1431:                             ;   in Loop: Header=BB4_1131 Depth=4
	s_or_b32 exec_lo, exec_lo, s72
	v_cmp_gt_i16_sdwa s17, v15, v115 src0_sel:BYTE_3 src1_sel:DWORD
	s_mov_b32 s16, 0
	s_and_saveexec_b32 s72, s17
	s_xor_b32 s17, exec_lo, s72
	s_cbranch_execz .LBB4_1509
; %bb.1432:                             ;   in Loop: Header=BB4_1131 Depth=4
	v_cmp_eq_u16_sdwa s73, v15, v116 src0_sel:BYTE_3 src1_sel:DWORD
	s_mov_b32 s16, -1
	s_and_saveexec_b32 s72, s73
; %bb.1433:                             ;   in Loop: Header=BB4_1131 Depth=4
	s_xor_b32 s16, exec_lo, -1
; %bb.1434:                             ;   in Loop: Header=BB4_1131 Depth=4
	s_or_b32 exec_lo, exec_lo, s72
	s_and_b32 s16, s16, exec_lo
	s_or_saveexec_b32 s17, s17
	v_mov_b32_e32 v91, 0x7f800001
	s_xor_b32 exec_lo, exec_lo, s17
	s_cbranch_execnz .LBB4_1510
.LBB4_1435:                             ;   in Loop: Header=BB4_1131 Depth=4
	s_or_b32 exec_lo, exec_lo, s17
	s_and_saveexec_b32 s17, s16
	s_cbranch_execz .LBB4_1437
.LBB4_1436:                             ;   in Loop: Header=BB4_1131 Depth=4
	v_bfe_u32 v26, v15, 24, 2
	v_bfe_u32 v92, v15, 26, 5
	v_ffbh_u32_e32 v27, v26
	v_cmp_eq_u32_e64 s16, 0, v92
	v_min_u32_e32 v27, 32, v27
	v_subrev_nc_u32_e32 v91, 29, v27
	v_sub_nc_u32_e32 v27, 30, v27
	v_lshlrev_b32_sdwa v91, v91, v15 dst_sel:DWORD dst_unused:UNUSED_PAD src0_sel:DWORD src1_sel:BYTE_3
	v_cndmask_b32_e64 v27, v92, v27, s16
	v_and_b32_e32 v15, 0x80000000, v15
	v_and_b32_e32 v91, 3, v91
	v_lshl_add_u32 v27, v27, 23, 0x37800000
	v_cndmask_b32_e64 v26, v26, v91, s16
	v_lshlrev_b32_e32 v26, 21, v26
	v_or3_b32 v91, v15, v27, v26
.LBB4_1437:                             ;   in Loop: Header=BB4_1131 Depth=4
	s_or_b32 exec_lo, exec_lo, s17
	v_cmp_gt_i16_sdwa s17, v11, v115 src0_sel:BYTE_3 src1_sel:DWORD
	s_mov_b32 s16, 0
	s_and_saveexec_b32 s72, s17
	s_xor_b32 s17, exec_lo, s72
	s_cbranch_execz .LBB4_1511
; %bb.1438:                             ;   in Loop: Header=BB4_1131 Depth=4
	v_cmp_eq_u16_sdwa s73, v11, v116 src0_sel:BYTE_3 src1_sel:DWORD
	s_mov_b32 s16, -1
	s_and_saveexec_b32 s72, s73
; %bb.1439:                             ;   in Loop: Header=BB4_1131 Depth=4
	s_xor_b32 s16, exec_lo, -1
; %bb.1440:                             ;   in Loop: Header=BB4_1131 Depth=4
	s_or_b32 exec_lo, exec_lo, s72
	s_and_b32 s16, s16, exec_lo
	s_or_saveexec_b32 s17, s17
	v_mov_b32_e32 v15, 0x7f800001
	s_xor_b32 exec_lo, exec_lo, s17
	s_cbranch_execnz .LBB4_1512
.LBB4_1441:                             ;   in Loop: Header=BB4_1131 Depth=4
	s_or_b32 exec_lo, exec_lo, s17
	s_and_saveexec_b32 s17, s16
	s_cbranch_execz .LBB4_1443
.LBB4_1442:                             ;   in Loop: Header=BB4_1131 Depth=4
	v_and_b32_sdwa v15, v11, v40 dst_sel:DWORD dst_unused:UNUSED_PAD src0_sel:BYTE_3 src1_sel:DWORD
	v_bfe_u32 v92, v11, 26, 5
	v_ffbh_u32_e32 v26, v15
	v_cmp_eq_u32_e64 s16, 0, v92
	v_min_u32_e32 v26, 32, v26
	v_subrev_nc_u32_e32 v27, 29, v26
	v_sub_nc_u32_e32 v26, 30, v26
	v_lshlrev_b32_sdwa v27, v27, v11 dst_sel:DWORD dst_unused:UNUSED_PAD src0_sel:DWORD src1_sel:BYTE_3
	v_cndmask_b32_e64 v26, v92, v26, s16
	v_and_b32_e32 v11, 0x80000000, v11
	v_and_b32_e32 v27, 3, v27
	v_lshl_add_u32 v26, v26, 23, 0x37800000
	v_cndmask_b32_e64 v15, v15, v27, s16
	v_lshlrev_b32_e32 v15, 21, v15
	v_or3_b32 v15, v11, v26, v15
.LBB4_1443:                             ;   in Loop: Header=BB4_1131 Depth=4
	s_or_b32 exec_lo, exec_lo, s17
	v_mul_f32_e32 v11, v91, v15
	v_and_b32_e32 v15, 0x7f800000, v11
	v_cmp_ne_u32_e64 s16, 0x7f800000, v15
	v_mov_b32_e32 v15, 0x8000
	s_and_saveexec_b32 s72, s16
	s_cbranch_execz .LBB4_1130
; %bb.1444:                             ;   in Loop: Header=BB4_1131 Depth=4
	v_mov_b32_e32 v15, 0
	s_mov_b32 s73, exec_lo
	v_cmpx_ne_u32_e32 0, v11
	s_cbranch_execz .LBB4_1129
; %bb.1445:                             ;   in Loop: Header=BB4_1131 Depth=4
	v_bfe_u32 v15, v11, 23, 8
	v_and_b32_e32 v26, 0x7fffff, v11
	v_sub_nc_u32_e32 v27, 0x70, v15
	v_cmp_gt_u32_e64 s16, 0x71, v15
	v_or_b32_e32 v91, 0x800000, v26
	v_cndmask_b32_e64 v27, 0, v27, s16
	v_cmp_eq_u32_e64 s16, 0, v15
	v_add_nc_u32_e32 v15, 0xffffff91, v15
	v_cndmask_b32_e64 v27, v27, 0x6f, s16
	v_cndmask_b32_e64 v26, v91, v26, s16
	;; [unrolled: 1-line block ×3, first 2 shown]
	v_lshl_add_u32 v92, 0x200000, v27, -1
	v_lshrrev_b32_e32 v91, v27, v26
	v_lshlrev_b32_e64 v94, v27, 0x100000
	v_and_b32_e32 v26, v92, v26
	v_bfe_u32 v93, v91, 21, 1
	v_cmp_eq_u32_e64 s17, v26, v94
	v_add_nc_u32_e32 v92, -1, v93
	v_lshrrev_b32_e32 v93, 23, v91
	v_cndmask_b32_e64 v26, 0, v92, s17
	v_add_nc_u32_e32 v92, v27, v15
	v_xor_b32_e32 v93, 1, v93
	s_mov_b32 s17, exec_lo
	v_add_nc_u32_e32 v26, v26, v91
	v_and_b32_e32 v15, 0x1fffff, v26
	v_add_nc_u32_e32 v91, v15, v91
                                        ; implicit-def: $vgpr15
	v_cmpx_ne_u32_e64 v92, v93
	s_xor_b32 s17, exec_lo, s17
; %bb.1446:                             ;   in Loop: Header=BB4_1131 Depth=4
	v_cmp_lt_u32_e64 s16, 0xffffff, v91
	v_sub_nc_u32_e32 v15, v92, v93
	v_cndmask_b32_e64 v26, 0, 1, s16
	v_add_co_ci_u32_e64 v15, null, 0, v15, s16
	v_lshrrev_b32_e32 v91, v26, v91
; %bb.1447:                             ;   in Loop: Header=BB4_1131 Depth=4
	s_andn2_saveexec_b32 s16, s17
	s_cbranch_execz .LBB4_1128
; %bb.1448:                             ;   in Loop: Header=BB4_1131 Depth=4
	v_bfe_u32 v15, v91, 23, 1
	s_branch .LBB4_1128
.LBB4_1449:                             ;   in Loop: Header=BB4_1131 Depth=4
	s_or_saveexec_b32 s17, s17
	v_mov_b32_e32 v87, 0x7f800001
	s_xor_b32 exec_lo, exec_lo, s17
	s_cbranch_execz .LBB4_1135
.LBB4_1450:                             ;   in Loop: Header=BB4_1131 Depth=4
	v_cmp_ne_u16_sdwa s72, v12, v2 src0_sel:BYTE_0 src1_sel:DWORD
	v_mov_b32_e32 v87, 0
	s_andn2_b32 s16, s16, exec_lo
	s_and_b32 s72, s72, exec_lo
	s_or_b32 s16, s16, s72
	s_or_b32 exec_lo, exec_lo, s17
	s_and_saveexec_b32 s17, s16
	s_cbranch_execnz .LBB4_1136
	s_branch .LBB4_1137
.LBB4_1451:                             ;   in Loop: Header=BB4_1131 Depth=4
	s_or_saveexec_b32 s17, s17
	v_mov_b32_e32 v96, 0x7f800001
	s_xor_b32 exec_lo, exec_lo, s17
	s_cbranch_execz .LBB4_1141
.LBB4_1452:                             ;   in Loop: Header=BB4_1131 Depth=4
	v_cmp_ne_u16_sdwa s72, v8, v2 src0_sel:BYTE_0 src1_sel:DWORD
	v_mov_b32_e32 v96, 0
	s_andn2_b32 s16, s16, exec_lo
	s_and_b32 s72, s72, exec_lo
	s_or_b32 s16, s16, s72
	s_or_b32 exec_lo, exec_lo, s17
	s_and_saveexec_b32 s17, s16
	s_cbranch_execnz .LBB4_1142
	s_branch .LBB4_1143
.LBB4_1453:                             ;   in Loop: Header=BB4_1131 Depth=4
	s_or_saveexec_b32 s17, s17
	v_mov_b32_e32 v96, 0x7f800001
	s_xor_b32 exec_lo, exec_lo, s17
	s_cbranch_execz .LBB4_1155
.LBB4_1454:                             ;   in Loop: Header=BB4_1131 Depth=4
	v_cmp_ne_u16_sdwa s72, v12, v2 src0_sel:BYTE_1 src1_sel:DWORD
	v_mov_b32_e32 v96, 0
	s_andn2_b32 s16, s16, exec_lo
	s_and_b32 s72, s72, exec_lo
	s_or_b32 s16, s16, s72
	s_or_b32 exec_lo, exec_lo, s17
	s_and_saveexec_b32 s17, s16
	s_cbranch_execnz .LBB4_1156
	s_branch .LBB4_1157
.LBB4_1455:                             ;   in Loop: Header=BB4_1131 Depth=4
	s_or_saveexec_b32 s17, s17
	v_mov_b32_e32 v97, 0x7f800001
	s_xor_b32 exec_lo, exec_lo, s17
	s_cbranch_execz .LBB4_1161
.LBB4_1456:                             ;   in Loop: Header=BB4_1131 Depth=4
	v_cmp_ne_u16_sdwa s72, v8, v2 src0_sel:BYTE_1 src1_sel:DWORD
	v_mov_b32_e32 v97, 0
	s_andn2_b32 s16, s16, exec_lo
	s_and_b32 s72, s72, exec_lo
	s_or_b32 s16, s16, s72
	s_or_b32 exec_lo, exec_lo, s17
	s_and_saveexec_b32 s17, s16
	s_cbranch_execnz .LBB4_1162
	s_branch .LBB4_1163
.LBB4_1457:                             ;   in Loop: Header=BB4_1131 Depth=4
	s_or_saveexec_b32 s72, s72
	v_mov_b32_e32 v97, 0x7f800001
	s_xor_b32 exec_lo, exec_lo, s72
	s_cbranch_execz .LBB4_1175
.LBB4_1458:                             ;   in Loop: Header=BB4_1131 Depth=4
	v_cmp_ne_u16_e64 s16, 0, v77
	v_mov_b32_e32 v97, 0
	s_andn2_b32 s17, s17, exec_lo
	s_and_b32 s16, s16, exec_lo
	s_or_b32 s17, s17, s16
	s_or_b32 exec_lo, exec_lo, s72
	s_and_saveexec_b32 s72, s17
	s_cbranch_execnz .LBB4_1176
	s_branch .LBB4_1177
.LBB4_1459:                             ;   in Loop: Header=BB4_1131 Depth=4
	s_or_saveexec_b32 s72, s72
	v_mov_b32_e32 v77, 0x7f800001
	s_xor_b32 exec_lo, exec_lo, s72
	s_cbranch_execz .LBB4_1181
.LBB4_1460:                             ;   in Loop: Header=BB4_1131 Depth=4
	v_cmp_ne_u16_e64 s16, 0, v78
	v_mov_b32_e32 v77, 0
	s_andn2_b32 s17, s17, exec_lo
	s_and_b32 s16, s16, exec_lo
	s_or_b32 s17, s17, s16
	s_or_b32 exec_lo, exec_lo, s72
	s_and_saveexec_b32 s72, s17
	s_cbranch_execnz .LBB4_1182
	s_branch .LBB4_1183
.LBB4_1461:                             ;   in Loop: Header=BB4_1131 Depth=4
	s_or_saveexec_b32 s17, s17
	v_mov_b32_e32 v77, 0x7f800001
	s_xor_b32 exec_lo, exec_lo, s17
	s_cbranch_execz .LBB4_1195
.LBB4_1462:                             ;   in Loop: Header=BB4_1131 Depth=4
	v_cmp_ne_u16_sdwa s72, v12, v2 src0_sel:BYTE_3 src1_sel:DWORD
	v_mov_b32_e32 v77, 0
	s_andn2_b32 s16, s16, exec_lo
	s_and_b32 s72, s72, exec_lo
	s_or_b32 s16, s16, s72
	s_or_b32 exec_lo, exec_lo, s17
	s_and_saveexec_b32 s17, s16
	s_cbranch_execnz .LBB4_1196
	s_branch .LBB4_1197
.LBB4_1463:                             ;   in Loop: Header=BB4_1131 Depth=4
	s_or_saveexec_b32 s17, s17
	v_mov_b32_e32 v12, 0x7f800001
	s_xor_b32 exec_lo, exec_lo, s17
	s_cbranch_execz .LBB4_1201
.LBB4_1464:                             ;   in Loop: Header=BB4_1131 Depth=4
	v_cmp_ne_u16_sdwa s72, v8, v2 src0_sel:BYTE_3 src1_sel:DWORD
	v_mov_b32_e32 v12, 0
	s_andn2_b32 s16, s16, exec_lo
	s_and_b32 s72, s72, exec_lo
	s_or_b32 s16, s16, s72
	s_or_b32 exec_lo, exec_lo, s17
	s_and_saveexec_b32 s17, s16
	s_cbranch_execnz .LBB4_1202
	s_branch .LBB4_1203
.LBB4_1465:                             ;   in Loop: Header=BB4_1131 Depth=4
	s_or_saveexec_b32 s17, s17
	v_mov_b32_e32 v12, 0x7f800001
	s_xor_b32 exec_lo, exec_lo, s17
	s_cbranch_execz .LBB4_1215
.LBB4_1466:                             ;   in Loop: Header=BB4_1131 Depth=4
	v_cmp_ne_u16_sdwa s72, v13, v2 src0_sel:BYTE_0 src1_sel:DWORD
	v_mov_b32_e32 v12, 0
	s_andn2_b32 s16, s16, exec_lo
	s_and_b32 s72, s72, exec_lo
	s_or_b32 s16, s16, s72
	s_or_b32 exec_lo, exec_lo, s17
	s_and_saveexec_b32 s17, s16
	s_cbranch_execnz .LBB4_1216
	s_branch .LBB4_1217
.LBB4_1467:                             ;   in Loop: Header=BB4_1131 Depth=4
	s_or_saveexec_b32 s17, s17
	v_mov_b32_e32 v77, 0x7f800001
	s_xor_b32 exec_lo, exec_lo, s17
	s_cbranch_execz .LBB4_1221
.LBB4_1468:                             ;   in Loop: Header=BB4_1131 Depth=4
	v_cmp_ne_u16_sdwa s72, v9, v2 src0_sel:BYTE_0 src1_sel:DWORD
	v_mov_b32_e32 v77, 0
	s_andn2_b32 s16, s16, exec_lo
	s_and_b32 s72, s72, exec_lo
	s_or_b32 s16, s16, s72
	s_or_b32 exec_lo, exec_lo, s17
	s_and_saveexec_b32 s17, s16
	s_cbranch_execnz .LBB4_1222
	s_branch .LBB4_1223
.LBB4_1469:                             ;   in Loop: Header=BB4_1131 Depth=4
	s_or_saveexec_b32 s17, s17
	v_mov_b32_e32 v77, 0x7f800001
	s_xor_b32 exec_lo, exec_lo, s17
	s_cbranch_execz .LBB4_1235
.LBB4_1470:                             ;   in Loop: Header=BB4_1131 Depth=4
	v_cmp_ne_u16_sdwa s72, v13, v2 src0_sel:BYTE_1 src1_sel:DWORD
	v_mov_b32_e32 v77, 0
	s_andn2_b32 s16, s16, exec_lo
	s_and_b32 s72, s72, exec_lo
	s_or_b32 s16, s16, s72
	s_or_b32 exec_lo, exec_lo, s17
	s_and_saveexec_b32 s17, s16
	s_cbranch_execnz .LBB4_1236
	s_branch .LBB4_1237
.LBB4_1471:                             ;   in Loop: Header=BB4_1131 Depth=4
	s_or_saveexec_b32 s17, s17
	v_mov_b32_e32 v78, 0x7f800001
	s_xor_b32 exec_lo, exec_lo, s17
	s_cbranch_execz .LBB4_1241
.LBB4_1472:                             ;   in Loop: Header=BB4_1131 Depth=4
	v_cmp_ne_u16_sdwa s72, v9, v2 src0_sel:BYTE_1 src1_sel:DWORD
	v_mov_b32_e32 v78, 0
	s_andn2_b32 s16, s16, exec_lo
	s_and_b32 s72, s72, exec_lo
	s_or_b32 s16, s16, s72
	s_or_b32 exec_lo, exec_lo, s17
	s_and_saveexec_b32 s17, s16
	s_cbranch_execnz .LBB4_1242
	s_branch .LBB4_1243
.LBB4_1473:                             ;   in Loop: Header=BB4_1131 Depth=4
	s_or_saveexec_b32 s72, s72
	v_mov_b32_e32 v78, 0x7f800001
	s_xor_b32 exec_lo, exec_lo, s72
	s_cbranch_execz .LBB4_1255
.LBB4_1474:                             ;   in Loop: Header=BB4_1131 Depth=4
	v_cmp_ne_u16_e64 s16, 0, v79
	v_mov_b32_e32 v78, 0
	s_andn2_b32 s17, s17, exec_lo
	s_and_b32 s16, s16, exec_lo
	s_or_b32 s17, s17, s16
	s_or_b32 exec_lo, exec_lo, s72
	s_and_saveexec_b32 s72, s17
	s_cbranch_execnz .LBB4_1256
	s_branch .LBB4_1257
.LBB4_1475:                             ;   in Loop: Header=BB4_1131 Depth=4
	s_or_saveexec_b32 s72, s72
	v_mov_b32_e32 v79, 0x7f800001
	s_xor_b32 exec_lo, exec_lo, s72
	s_cbranch_execz .LBB4_1261
.LBB4_1476:                             ;   in Loop: Header=BB4_1131 Depth=4
	v_cmp_ne_u16_e64 s16, 0, v88
	v_mov_b32_e32 v79, 0
	s_andn2_b32 s17, s17, exec_lo
	s_and_b32 s16, s16, exec_lo
	s_or_b32 s17, s17, s16
	s_or_b32 exec_lo, exec_lo, s72
	s_and_saveexec_b32 s72, s17
	s_cbranch_execnz .LBB4_1262
	s_branch .LBB4_1263
.LBB4_1477:                             ;   in Loop: Header=BB4_1131 Depth=4
	s_or_saveexec_b32 s17, s17
	v_mov_b32_e32 v79, 0x7f800001
	s_xor_b32 exec_lo, exec_lo, s17
	s_cbranch_execz .LBB4_1275
.LBB4_1478:                             ;   in Loop: Header=BB4_1131 Depth=4
	v_cmp_ne_u16_sdwa s72, v13, v2 src0_sel:BYTE_3 src1_sel:DWORD
	v_mov_b32_e32 v79, 0
	s_andn2_b32 s16, s16, exec_lo
	s_and_b32 s72, s72, exec_lo
	s_or_b32 s16, s16, s72
	s_or_b32 exec_lo, exec_lo, s17
	s_and_saveexec_b32 s17, s16
	s_cbranch_execnz .LBB4_1276
	s_branch .LBB4_1277
.LBB4_1479:                             ;   in Loop: Header=BB4_1131 Depth=4
	s_or_saveexec_b32 s17, s17
	v_mov_b32_e32 v13, 0x7f800001
	s_xor_b32 exec_lo, exec_lo, s17
	s_cbranch_execz .LBB4_1281
.LBB4_1480:                             ;   in Loop: Header=BB4_1131 Depth=4
	v_cmp_ne_u16_sdwa s72, v9, v2 src0_sel:BYTE_3 src1_sel:DWORD
	v_mov_b32_e32 v13, 0
	s_andn2_b32 s16, s16, exec_lo
	s_and_b32 s72, s72, exec_lo
	s_or_b32 s16, s16, s72
	s_or_b32 exec_lo, exec_lo, s17
	s_and_saveexec_b32 s17, s16
	s_cbranch_execnz .LBB4_1282
	s_branch .LBB4_1283
.LBB4_1481:                             ;   in Loop: Header=BB4_1131 Depth=4
	s_or_saveexec_b32 s17, s17
	v_mov_b32_e32 v13, 0x7f800001
	s_xor_b32 exec_lo, exec_lo, s17
	s_cbranch_execz .LBB4_1295
.LBB4_1482:                             ;   in Loop: Header=BB4_1131 Depth=4
	v_cmp_ne_u16_sdwa s72, v14, v2 src0_sel:BYTE_0 src1_sel:DWORD
	v_mov_b32_e32 v13, 0
	s_andn2_b32 s16, s16, exec_lo
	s_and_b32 s72, s72, exec_lo
	s_or_b32 s16, s16, s72
	s_or_b32 exec_lo, exec_lo, s17
	s_and_saveexec_b32 s17, s16
	s_cbranch_execnz .LBB4_1296
	s_branch .LBB4_1297
.LBB4_1483:                             ;   in Loop: Header=BB4_1131 Depth=4
	s_or_saveexec_b32 s17, s17
	v_mov_b32_e32 v79, 0x7f800001
	s_xor_b32 exec_lo, exec_lo, s17
	s_cbranch_execz .LBB4_1301
.LBB4_1484:                             ;   in Loop: Header=BB4_1131 Depth=4
	v_cmp_ne_u16_sdwa s72, v10, v2 src0_sel:BYTE_0 src1_sel:DWORD
	v_mov_b32_e32 v79, 0
	s_andn2_b32 s16, s16, exec_lo
	s_and_b32 s72, s72, exec_lo
	s_or_b32 s16, s16, s72
	s_or_b32 exec_lo, exec_lo, s17
	s_and_saveexec_b32 s17, s16
	s_cbranch_execnz .LBB4_1302
	s_branch .LBB4_1303
.LBB4_1485:                             ;   in Loop: Header=BB4_1131 Depth=4
	s_or_saveexec_b32 s17, s17
	v_mov_b32_e32 v79, 0x7f800001
	s_xor_b32 exec_lo, exec_lo, s17
	s_cbranch_execz .LBB4_1315
.LBB4_1486:                             ;   in Loop: Header=BB4_1131 Depth=4
	v_cmp_ne_u16_sdwa s72, v14, v2 src0_sel:BYTE_1 src1_sel:DWORD
	v_mov_b32_e32 v79, 0
	s_andn2_b32 s16, s16, exec_lo
	s_and_b32 s72, s72, exec_lo
	s_or_b32 s16, s16, s72
	s_or_b32 exec_lo, exec_lo, s17
	s_and_saveexec_b32 s17, s16
	s_cbranch_execnz .LBB4_1316
	s_branch .LBB4_1317
.LBB4_1487:                             ;   in Loop: Header=BB4_1131 Depth=4
	s_or_saveexec_b32 s17, s17
	v_mov_b32_e32 v88, 0x7f800001
	s_xor_b32 exec_lo, exec_lo, s17
	s_cbranch_execz .LBB4_1321
.LBB4_1488:                             ;   in Loop: Header=BB4_1131 Depth=4
	v_cmp_ne_u16_sdwa s72, v10, v2 src0_sel:BYTE_1 src1_sel:DWORD
	v_mov_b32_e32 v88, 0
	s_andn2_b32 s16, s16, exec_lo
	s_and_b32 s72, s72, exec_lo
	s_or_b32 s16, s16, s72
	s_or_b32 exec_lo, exec_lo, s17
	s_and_saveexec_b32 s17, s16
	s_cbranch_execnz .LBB4_1322
	s_branch .LBB4_1323
.LBB4_1489:                             ;   in Loop: Header=BB4_1131 Depth=4
	s_or_saveexec_b32 s72, s72
	v_mov_b32_e32 v88, 0x7f800001
	s_xor_b32 exec_lo, exec_lo, s72
	s_cbranch_execz .LBB4_1335
.LBB4_1490:                             ;   in Loop: Header=BB4_1131 Depth=4
	v_cmp_ne_u16_e64 s16, 0, v89
	v_mov_b32_e32 v88, 0
	s_andn2_b32 s17, s17, exec_lo
	s_and_b32 s16, s16, exec_lo
	s_or_b32 s17, s17, s16
	s_or_b32 exec_lo, exec_lo, s72
	s_and_saveexec_b32 s72, s17
	s_cbranch_execnz .LBB4_1336
	s_branch .LBB4_1337
.LBB4_1491:                             ;   in Loop: Header=BB4_1131 Depth=4
	s_or_saveexec_b32 s72, s72
	v_mov_b32_e32 v89, 0x7f800001
	s_xor_b32 exec_lo, exec_lo, s72
	s_cbranch_execz .LBB4_1341
.LBB4_1492:                             ;   in Loop: Header=BB4_1131 Depth=4
	v_cmp_ne_u16_e64 s16, 0, v90
	v_mov_b32_e32 v89, 0
	s_andn2_b32 s17, s17, exec_lo
	s_and_b32 s16, s16, exec_lo
	s_or_b32 s17, s17, s16
	s_or_b32 exec_lo, exec_lo, s72
	s_and_saveexec_b32 s72, s17
	s_cbranch_execnz .LBB4_1342
	s_branch .LBB4_1343
.LBB4_1493:                             ;   in Loop: Header=BB4_1131 Depth=4
	s_or_saveexec_b32 s17, s17
	v_mov_b32_e32 v89, 0x7f800001
	s_xor_b32 exec_lo, exec_lo, s17
	s_cbranch_execz .LBB4_1355
.LBB4_1494:                             ;   in Loop: Header=BB4_1131 Depth=4
	v_cmp_ne_u16_sdwa s72, v14, v2 src0_sel:BYTE_3 src1_sel:DWORD
	v_mov_b32_e32 v89, 0
	s_andn2_b32 s16, s16, exec_lo
	s_and_b32 s72, s72, exec_lo
	s_or_b32 s16, s16, s72
	s_or_b32 exec_lo, exec_lo, s17
	s_and_saveexec_b32 s17, s16
	s_cbranch_execnz .LBB4_1356
	s_branch .LBB4_1357
.LBB4_1495:                             ;   in Loop: Header=BB4_1131 Depth=4
	s_or_saveexec_b32 s17, s17
	v_mov_b32_e32 v14, 0x7f800001
	s_xor_b32 exec_lo, exec_lo, s17
	s_cbranch_execz .LBB4_1361
.LBB4_1496:                             ;   in Loop: Header=BB4_1131 Depth=4
	v_cmp_ne_u16_sdwa s72, v10, v2 src0_sel:BYTE_3 src1_sel:DWORD
	v_mov_b32_e32 v14, 0
	s_andn2_b32 s16, s16, exec_lo
	s_and_b32 s72, s72, exec_lo
	s_or_b32 s16, s16, s72
	s_or_b32 exec_lo, exec_lo, s17
	s_and_saveexec_b32 s17, s16
	s_cbranch_execnz .LBB4_1362
	s_branch .LBB4_1363
.LBB4_1497:                             ;   in Loop: Header=BB4_1131 Depth=4
	s_or_saveexec_b32 s17, s17
	v_mov_b32_e32 v14, 0x7f800001
	s_xor_b32 exec_lo, exec_lo, s17
	s_cbranch_execz .LBB4_1375
.LBB4_1498:                             ;   in Loop: Header=BB4_1131 Depth=4
	v_cmp_ne_u16_sdwa s72, v15, v2 src0_sel:BYTE_0 src1_sel:DWORD
	v_mov_b32_e32 v14, 0
	s_andn2_b32 s16, s16, exec_lo
	s_and_b32 s72, s72, exec_lo
	s_or_b32 s16, s16, s72
	s_or_b32 exec_lo, exec_lo, s17
	s_and_saveexec_b32 s17, s16
	s_cbranch_execnz .LBB4_1376
	s_branch .LBB4_1377
.LBB4_1499:                             ;   in Loop: Header=BB4_1131 Depth=4
	s_or_saveexec_b32 s17, s17
	v_mov_b32_e32 v89, 0x7f800001
	s_xor_b32 exec_lo, exec_lo, s17
	s_cbranch_execz .LBB4_1381
.LBB4_1500:                             ;   in Loop: Header=BB4_1131 Depth=4
	v_cmp_ne_u16_sdwa s72, v11, v2 src0_sel:BYTE_0 src1_sel:DWORD
	v_mov_b32_e32 v89, 0
	s_andn2_b32 s16, s16, exec_lo
	s_and_b32 s72, s72, exec_lo
	s_or_b32 s16, s16, s72
	s_or_b32 exec_lo, exec_lo, s17
	s_and_saveexec_b32 s17, s16
	s_cbranch_execnz .LBB4_1382
	s_branch .LBB4_1383
.LBB4_1501:                             ;   in Loop: Header=BB4_1131 Depth=4
	s_or_saveexec_b32 s17, s17
	v_mov_b32_e32 v89, 0x7f800001
	s_xor_b32 exec_lo, exec_lo, s17
	s_cbranch_execz .LBB4_1395
.LBB4_1502:                             ;   in Loop: Header=BB4_1131 Depth=4
	v_cmp_ne_u16_sdwa s72, v15, v2 src0_sel:BYTE_1 src1_sel:DWORD
	v_mov_b32_e32 v89, 0
	s_andn2_b32 s16, s16, exec_lo
	s_and_b32 s72, s72, exec_lo
	s_or_b32 s16, s16, s72
	s_or_b32 exec_lo, exec_lo, s17
	s_and_saveexec_b32 s17, s16
	s_cbranch_execnz .LBB4_1396
	s_branch .LBB4_1397
.LBB4_1503:                             ;   in Loop: Header=BB4_1131 Depth=4
	s_or_saveexec_b32 s17, s17
	v_mov_b32_e32 v90, 0x7f800001
	s_xor_b32 exec_lo, exec_lo, s17
	s_cbranch_execz .LBB4_1401
.LBB4_1504:                             ;   in Loop: Header=BB4_1131 Depth=4
	v_cmp_ne_u16_sdwa s72, v11, v2 src0_sel:BYTE_1 src1_sel:DWORD
	v_mov_b32_e32 v90, 0
	s_andn2_b32 s16, s16, exec_lo
	s_and_b32 s72, s72, exec_lo
	s_or_b32 s16, s16, s72
	s_or_b32 exec_lo, exec_lo, s17
	s_and_saveexec_b32 s17, s16
	s_cbranch_execnz .LBB4_1402
	s_branch .LBB4_1403
.LBB4_1505:                             ;   in Loop: Header=BB4_1131 Depth=4
	s_or_saveexec_b32 s72, s72
	v_mov_b32_e32 v90, 0x7f800001
	s_xor_b32 exec_lo, exec_lo, s72
	s_cbranch_execz .LBB4_1415
.LBB4_1506:                             ;   in Loop: Header=BB4_1131 Depth=4
	v_cmp_ne_u16_e64 s16, 0, v91
	v_mov_b32_e32 v90, 0
	s_andn2_b32 s17, s17, exec_lo
	s_and_b32 s16, s16, exec_lo
	s_or_b32 s17, s17, s16
	s_or_b32 exec_lo, exec_lo, s72
	s_and_saveexec_b32 s72, s17
	s_cbranch_execnz .LBB4_1416
	s_branch .LBB4_1417
.LBB4_1507:                             ;   in Loop: Header=BB4_1131 Depth=4
	s_or_saveexec_b32 s72, s72
	v_mov_b32_e32 v91, 0x7f800001
	s_xor_b32 exec_lo, exec_lo, s72
	s_cbranch_execz .LBB4_1421
.LBB4_1508:                             ;   in Loop: Header=BB4_1131 Depth=4
	v_cmp_ne_u16_e64 s16, 0, v92
	v_mov_b32_e32 v91, 0
	s_andn2_b32 s17, s17, exec_lo
	s_and_b32 s16, s16, exec_lo
	s_or_b32 s17, s17, s16
	s_or_b32 exec_lo, exec_lo, s72
	s_and_saveexec_b32 s72, s17
	s_cbranch_execnz .LBB4_1422
	s_branch .LBB4_1423
.LBB4_1509:                             ;   in Loop: Header=BB4_1131 Depth=4
	s_or_saveexec_b32 s17, s17
	v_mov_b32_e32 v91, 0x7f800001
	s_xor_b32 exec_lo, exec_lo, s17
	s_cbranch_execz .LBB4_1435
.LBB4_1510:                             ;   in Loop: Header=BB4_1131 Depth=4
	v_cmp_ne_u16_sdwa s72, v15, v2 src0_sel:BYTE_3 src1_sel:DWORD
	v_mov_b32_e32 v91, 0
	s_andn2_b32 s16, s16, exec_lo
	s_and_b32 s72, s72, exec_lo
	s_or_b32 s16, s16, s72
	s_or_b32 exec_lo, exec_lo, s17
	s_and_saveexec_b32 s17, s16
	s_cbranch_execnz .LBB4_1436
	s_branch .LBB4_1437
.LBB4_1511:                             ;   in Loop: Header=BB4_1131 Depth=4
	s_or_saveexec_b32 s17, s17
	v_mov_b32_e32 v15, 0x7f800001
	s_xor_b32 exec_lo, exec_lo, s17
	s_cbranch_execz .LBB4_1441
.LBB4_1512:                             ;   in Loop: Header=BB4_1131 Depth=4
	v_cmp_ne_u16_sdwa s72, v11, v2 src0_sel:BYTE_3 src1_sel:DWORD
	v_mov_b32_e32 v15, 0
	s_andn2_b32 s16, s16, exec_lo
	s_and_b32 s72, s72, exec_lo
	s_or_b32 s16, s16, s72
	s_or_b32 exec_lo, exec_lo, s17
	s_and_saveexec_b32 s17, s16
	s_cbranch_execnz .LBB4_1442
	s_branch .LBB4_1443
.LBB4_1513:                             ;   in Loop: Header=BB4_274 Depth=3
	s_or_b32 exec_lo, exec_lo, s63
.LBB4_1514:                             ;   in Loop: Header=BB4_274 Depth=3
	s_or_b32 exec_lo, exec_lo, s62
	v_and_b32_e32 v9, 15, v3
	v_mov_b32_e32 v14, 0
	s_mov_b32 s17, 0
	s_mov_b32 s62, exec_lo
                                        ; implicit-def: $vgpr16
                                        ; implicit-def: $vgpr8
	v_cndmask_b32_e32 v15, v84, v9, vcc_lo
	v_cmpx_ne_u32_e32 0, v15
	s_cbranch_execz .LBB4_1516
; %bb.1515:                             ;   in Loop: Header=BB4_274 Depth=3
	v_cmp_lt_i32_e64 s16, 0, v85
	v_sub_nc_u32_e32 v9, v84, v9
	s_mov_b32 s17, exec_lo
	v_cndmask_b32_e64 v8, 0, v103, s16
	v_cndmask_b32_e32 v9, 0, v9, vcc_lo
	v_sub_nc_u32_e32 v8, v8, v85
	v_add3_u32 v14, v23, v22, v9
	v_lshl_add_u32 v16, v8, 5, v69
	v_ashrrev_i32_e32 v8, 31, v16
	v_lshrrev_b32_e32 v8, 27, v8
	v_add_nc_u32_e32 v8, v16, v8
	v_ashrrev_i32_e32 v8, 5, v8
.LBB4_1516:                             ;   in Loop: Header=BB4_274 Depth=3
	s_or_b32 exec_lo, exec_lo, s62
	s_and_b32 s16, s17, exec_lo
.LBB4_1517:                             ;   in Loop: Header=BB4_274 Depth=3
	s_or_b32 exec_lo, exec_lo, s61
	s_and_saveexec_b32 s17, s16
	s_cbranch_execz .LBB4_1934
.LBB4_1518:                             ;   in Loop: Header=BB4_274 Depth=3
	v_ashrrev_i32_e32 v9, 31, v15
	s_mov_b32 s61, exec_lo
	v_lshrrev_b32_e32 v9, 23, v9
	v_add_nc_u32_e32 v9, v15, v9
	v_ashrrev_i32_e32 v19, 9, v9
	v_ashrrev_i32_e32 v9, 31, v16
	v_sub_nc_u32_e32 v17, v19, v8
	v_lshrrev_b32_e32 v18, 27, v9
	v_cmpx_lt_i32_e32 0, v17
	s_cbranch_execz .LBB4_1906
; %bb.1519:                             ;   in Loop: Header=BB4_274 Depth=3
	v_add_nc_u32_e32 v9, v16, v18
	s_trap 2
	ds_read_b64 v[10:11], v0
	v_lshlrev_b32_e32 v8, 9, v8
	v_add_co_u32 v20, vcc_lo, 0x1e0, v82
	v_and_b32_e32 v9, 0xffffffe0, v9
	v_add_co_ci_u32_e64 v21, null, 0, v83, vcc_lo
	s_mov_b32 s62, 0
	v_sub_nc_u32_e32 v9, v16, v9
	v_add3_u32 v12, v14, v9, v8
	v_ashrrev_i32_e32 v13, 31, v12
	v_add_co_u32 v8, vcc_lo, v12, v80
	v_add_co_ci_u32_e64 v9, null, v13, v81, vcc_lo
	s_waitcnt lgkmcnt(0)
	v_add_co_u32 v10, vcc_lo, v10, v12
	v_add_co_ci_u32_e64 v11, null, v11, v13, vcc_lo
	v_add_co_u32 v12, vcc_lo, v20, v12
	v_add_co_ci_u32_e64 v13, null, v21, v13, vcc_lo
	s_branch .LBB4_1523
.LBB4_1520:                             ;   in Loop: Header=BB4_1523 Depth=4
	s_or_b32 exec_lo, exec_lo, s16
	v_lshrrev_b32_e32 v26, 21, v69
	v_cmp_gt_i32_e32 vcc_lo, 32, v20
	v_min_i32_e32 v27, 31, v20
	v_and_b32_sdwa v21, v21, v116 dst_sel:DWORD dst_unused:UNUSED_PAD src0_sel:BYTE_3 src1_sel:DWORD
	v_cndmask_b32_e32 v26, 3, v26, vcc_lo
	v_lshlrev_b32_e32 v27, 2, v27
	v_and_b32_e32 v69, 3, v26
	v_or_b32_e32 v20, v20, v26
	v_or3_b32 v21, v27, v21, v69
	v_cmp_ne_u32_e32 vcc_lo, 0, v20
	v_cndmask_b32_e32 v20, 0, v21, vcc_lo
.LBB4_1521:                             ;   in Loop: Header=BB4_1523 Depth=4
	s_or_b32 exec_lo, exec_lo, s72
.LBB4_1522:                             ;   in Loop: Header=BB4_1523 Depth=4
	s_or_b32 exec_lo, exec_lo, s63
	v_add_co_u32 v94, vcc_lo, 0xfffffe20, v12
	v_add_co_ci_u32_e64 v95, null, -1, v13, vcc_lo
	v_add_co_u32 v104, vcc_lo, 0xfffffe40, v12
	v_add_co_ci_u32_e64 v105, null, -1, v13, vcc_lo
	;; [unrolled: 2-line block ×5, first 2 shown]
	v_add_co_u32 v21, vcc_lo, 0xfffffec0, v12
	flat_store_byte v[94:95], v22 glc slc
	flat_store_byte v[104:105], v80 glc slc
	;; [unrolled: 1-line block ×5, first 2 shown]
	v_add_co_ci_u32_e64 v22, null, -1, v13, vcc_lo
	v_add_co_u32 v82, vcc_lo, 0xfffffee0, v12
	v_add_co_ci_u32_e64 v83, null, -1, v13, vcc_lo
	v_add_co_u32 v85, vcc_lo, 0xffffff00, v12
	;; [unrolled: 2-line block ×4, first 2 shown]
	v_add_co_ci_u32_e64 v95, null, -1, v13, vcc_lo
	flat_store_byte v[21:22], v79 glc slc
	flat_store_byte v[82:83], v90 glc slc
	;; [unrolled: 1-line block ×5, first 2 shown]
	v_add_co_u32 v21, vcc_lo, 0xffffff60, v12
	v_add_co_ci_u32_e64 v22, null, -1, v13, vcc_lo
	v_add_co_u32 v82, vcc_lo, 0xffffff80, v12
	v_add_co_ci_u32_e64 v83, null, -1, v13, vcc_lo
	;; [unrolled: 2-line block ×4, first 2 shown]
	v_add_co_u32 v78, vcc_lo, 0xffffffe0, v12
	v_sub_nc_u32_e32 v17, v17, v103
	v_add_co_ci_u32_e64 v79, null, -1, v13, vcc_lo
	v_add_co_u32 v8, vcc_lo, v8, v43
	v_add_co_ci_u32_e64 v9, null, 0, v9, vcc_lo
	v_add_co_u32 v10, vcc_lo, v10, v43
	flat_store_byte v[21:22], v77 glc slc
	flat_store_byte v[82:83], v87 glc slc
	;; [unrolled: 1-line block ×6, first 2 shown]
	v_add_co_ci_u32_e64 v11, null, 0, v11, vcc_lo
	v_cmp_gt_i32_e32 vcc_lo, 1, v17
	v_add_co_u32 v12, s16, v12, v43
	v_add_co_ci_u32_e64 v13, null, 0, v13, s16
	s_or_b32 s62, vcc_lo, s62
	s_andn2_b32 exec_lo, exec_lo, s62
	s_cbranch_execz .LBB4_1905
.LBB4_1523:                             ;   Parent Loop BB4_47 Depth=1
                                        ;     Parent Loop BB4_271 Depth=2
                                        ;       Parent Loop BB4_274 Depth=3
                                        ; =>      This Inner Loop Header: Depth=4
	s_clause 0xf
	flat_load_ubyte v110, v[8:9] slc
	flat_load_ubyte v108, v[8:9] offset:32 slc
	flat_load_ubyte v107, v[8:9] offset:64 slc
	;; [unrolled: 1-line block ×15, first 2 shown]
	s_clause 0xf
	flat_load_ubyte v22, v[10:11] slc
	flat_load_ubyte v80, v[10:11] offset:32 slc
	flat_load_ubyte v83, v[10:11] offset:64 slc
	;; [unrolled: 1-line block ×15, first 2 shown]
	s_mov_b32 s16, 0
	s_mov_b32 s63, exec_lo
	s_waitcnt vmcnt(31) lgkmcnt(31)
	v_cmpx_lt_i16_e32 0x7f, v110
	s_xor_b32 s63, exec_lo, s63
	s_cbranch_execz .LBB4_1841
; %bb.1524:                             ;   in Loop: Header=BB4_1523 Depth=4
	s_mov_b32 s16, -1
	s_mov_b32 s72, exec_lo
	v_cmpx_eq_u16_e32 0x80, v110
; %bb.1525:                             ;   in Loop: Header=BB4_1523 Depth=4
	s_xor_b32 s16, exec_lo, -1
; %bb.1526:                             ;   in Loop: Header=BB4_1523 Depth=4
	s_or_b32 exec_lo, exec_lo, s72
	s_and_b32 s16, s16, exec_lo
	s_or_saveexec_b32 s63, s63
	v_mov_b32_e32 v109, 0x7f800001
	s_xor_b32 exec_lo, exec_lo, s63
	s_cbranch_execnz .LBB4_1842
.LBB4_1527:                             ;   in Loop: Header=BB4_1523 Depth=4
	s_or_b32 exec_lo, exec_lo, s63
	s_and_saveexec_b32 s63, s16
	s_cbranch_execz .LBB4_1529
.LBB4_1528:                             ;   in Loop: Header=BB4_1523 Depth=4
	v_and_b32_e32 v26, 0xffff, v110
	v_lshlrev_b32_e32 v110, 24, v110
	v_and_b32_e32 v27, 3, v26
	v_bfe_u32 v120, v26, 2, 5
	v_ffbh_u32_e32 v109, v27
	v_cmp_eq_u32_e32 vcc_lo, 0, v120
	v_min_u32_e32 v109, 32, v109
	v_subrev_nc_u32_e32 v111, 29, v109
	v_sub_nc_u32_e32 v109, 30, v109
	v_lshlrev_b32_e32 v26, v111, v26
	v_cndmask_b32_e32 v109, v120, v109, vcc_lo
	v_and_b32_e32 v26, 3, v26
	v_lshl_add_u32 v109, v109, 23, 0x37800000
	v_cndmask_b32_e32 v26, v27, v26, vcc_lo
	v_and_b32_e32 v27, 0x80000000, v110
	v_lshlrev_b32_e32 v26, 21, v26
	v_or3_b32 v109, v27, v109, v26
.LBB4_1529:                             ;   in Loop: Header=BB4_1523 Depth=4
	s_or_b32 exec_lo, exec_lo, s63
	s_waitcnt vmcnt(15) lgkmcnt(15)
	v_cmp_gt_i16_sdwa s63, v22, v115 src0_sel:BYTE_0 src1_sel:DWORD
	s_mov_b32 s16, 0
	s_and_saveexec_b32 s72, s63
	s_xor_b32 s63, exec_lo, s72
	s_cbranch_execz .LBB4_1843
; %bb.1530:                             ;   in Loop: Header=BB4_1523 Depth=4
	v_cmp_eq_u16_sdwa s73, v22, v116 src0_sel:BYTE_0 src1_sel:DWORD
	s_mov_b32 s16, -1
	s_and_saveexec_b32 s72, s73
; %bb.1531:                             ;   in Loop: Header=BB4_1523 Depth=4
	s_xor_b32 s16, exec_lo, -1
; %bb.1532:                             ;   in Loop: Header=BB4_1523 Depth=4
	s_or_b32 exec_lo, exec_lo, s72
	s_and_b32 s16, s16, exec_lo
	s_or_saveexec_b32 s63, s63
	v_mov_b32_e32 v110, 0x7f800001
	s_xor_b32 exec_lo, exec_lo, s63
	s_cbranch_execnz .LBB4_1844
.LBB4_1533:                             ;   in Loop: Header=BB4_1523 Depth=4
	s_or_b32 exec_lo, exec_lo, s63
	s_and_saveexec_b32 s63, s16
	s_cbranch_execz .LBB4_1535
.LBB4_1534:                             ;   in Loop: Header=BB4_1523 Depth=4
	v_and_b32_e32 v26, 3, v22
	v_lshrrev_b16 v110, 2, v22
	v_ffbh_u32_e32 v27, v26
	v_and_b32_e32 v110, 31, v110
	v_min_u32_e32 v27, 32, v27
	v_cmp_eq_u32_e32 vcc_lo, 0, v110
	v_subrev_nc_u32_e32 v111, 29, v27
	v_sub_nc_u32_e32 v27, 30, v27
	v_lshlrev_b32_e32 v111, v111, v22
	v_lshlrev_b32_e32 v22, 24, v22
	v_cndmask_b32_e32 v27, v110, v27, vcc_lo
	v_and_b32_e32 v111, 3, v111
	v_and_b32_e32 v22, 0x80000000, v22
	v_lshl_add_u32 v27, v27, 23, 0x37800000
	v_cndmask_b32_e32 v26, v26, v111, vcc_lo
	v_lshlrev_b32_e32 v26, 21, v26
	v_or3_b32 v110, v22, v27, v26
.LBB4_1535:                             ;   in Loop: Header=BB4_1523 Depth=4
	s_or_b32 exec_lo, exec_lo, s63
	v_mul_f32_e32 v109, v109, v110
	v_and_b32_e32 v22, 0x7f800000, v109
	v_cmp_ne_u32_e32 vcc_lo, 0x7f800000, v22
	v_mov_b32_e32 v22, 0x80
	s_and_saveexec_b32 s63, vcc_lo
	s_cbranch_execz .LBB4_1543
; %bb.1536:                             ;   in Loop: Header=BB4_1523 Depth=4
	v_mov_b32_e32 v22, 0
	s_mov_b32 s72, exec_lo
	v_cmpx_ne_u32_e32 0, v109
	s_cbranch_execz .LBB4_1542
; %bb.1537:                             ;   in Loop: Header=BB4_1523 Depth=4
	v_bfe_u32 v22, v109, 23, 8
	v_and_b32_e32 v26, 0x7fffff, v109
	v_sub_nc_u32_e32 v27, 0x70, v22
	v_cmp_gt_u32_e32 vcc_lo, 0x71, v22
	v_or_b32_e32 v110, 0x800000, v26
	v_cndmask_b32_e32 v27, 0, v27, vcc_lo
	v_cmp_eq_u32_e32 vcc_lo, 0, v22
	v_add_nc_u32_e32 v22, 0xffffff91, v22
	v_cndmask_b32_e64 v27, v27, 0x6f, vcc_lo
	v_cndmask_b32_e32 v26, v110, v26, vcc_lo
	v_cndmask_b32_e64 v22, v22, 0xffffff92, vcc_lo
	v_lshl_add_u32 v111, 0x200000, v27, -1
	v_lshrrev_b32_e32 v110, v27, v26
	v_lshlrev_b32_e64 v121, v27, 0x100000
	v_and_b32_e32 v26, v111, v26
	v_bfe_u32 v120, v110, 21, 1
	v_cmp_eq_u32_e64 s16, v26, v121
	v_add_nc_u32_e32 v111, -1, v120
	v_lshrrev_b32_e32 v120, 23, v110
	v_cndmask_b32_e64 v26, 0, v111, s16
	v_add_nc_u32_e32 v111, v27, v22
	v_xor_b32_e32 v120, 1, v120
	s_mov_b32 s16, exec_lo
	v_add_nc_u32_e32 v26, v26, v110
	v_and_b32_e32 v22, 0x1fffff, v26
	v_add_nc_u32_e32 v110, v22, v110
                                        ; implicit-def: $vgpr22
	v_cmpx_ne_u32_e64 v111, v120
	s_xor_b32 s16, exec_lo, s16
; %bb.1538:                             ;   in Loop: Header=BB4_1523 Depth=4
	v_cmp_lt_u32_e32 vcc_lo, 0xffffff, v110
	v_sub_nc_u32_e32 v22, v111, v120
	v_cndmask_b32_e64 v26, 0, 1, vcc_lo
	v_add_co_ci_u32_e64 v22, null, 0, v22, vcc_lo
	v_lshrrev_b32_e32 v110, v26, v110
; %bb.1539:                             ;   in Loop: Header=BB4_1523 Depth=4
	s_andn2_saveexec_b32 s16, s16
; %bb.1540:                             ;   in Loop: Header=BB4_1523 Depth=4
	v_bfe_u32 v22, v110, 23, 1
; %bb.1541:                             ;   in Loop: Header=BB4_1523 Depth=4
	s_or_b32 exec_lo, exec_lo, s16
	v_lshrrev_b32_e32 v26, 21, v110
	v_cmp_gt_i32_e32 vcc_lo, 32, v22
	v_min_i32_e32 v27, 31, v22
	v_and_b32_sdwa v109, v109, v116 dst_sel:DWORD dst_unused:UNUSED_PAD src0_sel:BYTE_3 src1_sel:DWORD
	v_cndmask_b32_e32 v26, 3, v26, vcc_lo
	v_lshlrev_b32_e32 v27, 2, v27
	v_and_b32_e32 v110, 3, v26
	v_or_b32_e32 v22, v22, v26
	v_or3_b32 v26, v27, v109, v110
	v_cmp_ne_u32_e32 vcc_lo, 0, v22
	v_cndmask_b32_e32 v22, 0, v26, vcc_lo
.LBB4_1542:                             ;   in Loop: Header=BB4_1523 Depth=4
	s_or_b32 exec_lo, exec_lo, s72
.LBB4_1543:                             ;   in Loop: Header=BB4_1523 Depth=4
	s_or_b32 exec_lo, exec_lo, s63
	v_cmp_gt_i16_sdwa s63, v108, v115 src0_sel:BYTE_0 src1_sel:DWORD
	s_mov_b32 s16, 0
	s_and_saveexec_b32 s72, s63
	s_xor_b32 s63, exec_lo, s72
	s_cbranch_execz .LBB4_1845
; %bb.1544:                             ;   in Loop: Header=BB4_1523 Depth=4
	v_cmp_eq_u16_sdwa s73, v108, v116 src0_sel:BYTE_0 src1_sel:DWORD
	s_mov_b32 s16, -1
	s_and_saveexec_b32 s72, s73
; %bb.1545:                             ;   in Loop: Header=BB4_1523 Depth=4
	s_xor_b32 s16, exec_lo, -1
; %bb.1546:                             ;   in Loop: Header=BB4_1523 Depth=4
	s_or_b32 exec_lo, exec_lo, s72
	s_and_b32 s16, s16, exec_lo
	s_or_saveexec_b32 s63, s63
	v_mov_b32_e32 v109, 0x7f800001
	s_xor_b32 exec_lo, exec_lo, s63
	s_cbranch_execnz .LBB4_1846
.LBB4_1547:                             ;   in Loop: Header=BB4_1523 Depth=4
	s_or_b32 exec_lo, exec_lo, s63
	s_and_saveexec_b32 s63, s16
	s_cbranch_execz .LBB4_1549
.LBB4_1548:                             ;   in Loop: Header=BB4_1523 Depth=4
	v_and_b32_e32 v26, 3, v108
	v_lshrrev_b16 v109, 2, v108
	v_ffbh_u32_e32 v27, v26
	v_and_b32_e32 v109, 31, v109
	v_min_u32_e32 v27, 32, v27
	v_cmp_eq_u32_e32 vcc_lo, 0, v109
	v_subrev_nc_u32_e32 v110, 29, v27
	v_sub_nc_u32_e32 v27, 30, v27
	v_lshlrev_b32_e32 v110, v110, v108
	v_lshlrev_b32_e32 v108, 24, v108
	v_cndmask_b32_e32 v27, v109, v27, vcc_lo
	v_and_b32_e32 v110, 3, v110
	v_and_b32_e32 v108, 0x80000000, v108
	v_lshl_add_u32 v27, v27, 23, 0x37800000
	v_cndmask_b32_e32 v26, v26, v110, vcc_lo
	v_lshlrev_b32_e32 v26, 21, v26
	v_or3_b32 v109, v108, v27, v26
.LBB4_1549:                             ;   in Loop: Header=BB4_1523 Depth=4
	s_or_b32 exec_lo, exec_lo, s63
	s_waitcnt vmcnt(14) lgkmcnt(14)
	v_cmp_gt_i16_sdwa s63, v80, v115 src0_sel:BYTE_0 src1_sel:DWORD
	s_mov_b32 s16, 0
	s_and_saveexec_b32 s72, s63
	s_xor_b32 s63, exec_lo, s72
	s_cbranch_execz .LBB4_1847
; %bb.1550:                             ;   in Loop: Header=BB4_1523 Depth=4
	v_cmp_eq_u16_sdwa s73, v80, v116 src0_sel:BYTE_0 src1_sel:DWORD
	s_mov_b32 s16, -1
	s_and_saveexec_b32 s72, s73
; %bb.1551:                             ;   in Loop: Header=BB4_1523 Depth=4
	s_xor_b32 s16, exec_lo, -1
; %bb.1552:                             ;   in Loop: Header=BB4_1523 Depth=4
	s_or_b32 exec_lo, exec_lo, s72
	s_and_b32 s16, s16, exec_lo
	s_or_saveexec_b32 s63, s63
	v_mov_b32_e32 v108, 0x7f800001
	s_xor_b32 exec_lo, exec_lo, s63
	s_cbranch_execnz .LBB4_1848
.LBB4_1553:                             ;   in Loop: Header=BB4_1523 Depth=4
	s_or_b32 exec_lo, exec_lo, s63
	s_and_saveexec_b32 s63, s16
	s_cbranch_execz .LBB4_1555
.LBB4_1554:                             ;   in Loop: Header=BB4_1523 Depth=4
	v_and_b32_e32 v26, 3, v80
	v_lshrrev_b16 v108, 2, v80
	v_ffbh_u32_e32 v27, v26
	v_and_b32_e32 v108, 31, v108
	v_min_u32_e32 v27, 32, v27
	v_cmp_eq_u32_e32 vcc_lo, 0, v108
	v_subrev_nc_u32_e32 v110, 29, v27
	v_sub_nc_u32_e32 v27, 30, v27
	v_lshlrev_b32_e32 v110, v110, v80
	v_lshlrev_b32_e32 v80, 24, v80
	v_cndmask_b32_e32 v27, v108, v27, vcc_lo
	v_and_b32_e32 v110, 3, v110
	v_and_b32_e32 v80, 0x80000000, v80
	v_lshl_add_u32 v27, v27, 23, 0x37800000
	v_cndmask_b32_e32 v26, v26, v110, vcc_lo
	v_lshlrev_b32_e32 v26, 21, v26
	v_or3_b32 v108, v80, v27, v26
.LBB4_1555:                             ;   in Loop: Header=BB4_1523 Depth=4
	s_or_b32 exec_lo, exec_lo, s63
	v_mul_f32_e32 v108, v109, v108
	v_mov_b32_e32 v80, 0x80
	s_mov_b32 s63, exec_lo
	v_and_b32_e32 v26, 0x7f800000, v108
	v_cmpx_ne_u32_e32 0x7f800000, v26
	s_cbranch_execz .LBB4_1563
; %bb.1556:                             ;   in Loop: Header=BB4_1523 Depth=4
	v_mov_b32_e32 v80, 0
	s_mov_b32 s72, exec_lo
	v_cmpx_ne_u32_e32 0, v108
	s_cbranch_execz .LBB4_1562
; %bb.1557:                             ;   in Loop: Header=BB4_1523 Depth=4
	v_bfe_u32 v26, v108, 23, 8
	v_and_b32_e32 v27, 0x7fffff, v108
	v_sub_nc_u32_e32 v80, 0x70, v26
	v_cmp_gt_u32_e32 vcc_lo, 0x71, v26
	v_or_b32_e32 v109, 0x800000, v27
	v_cndmask_b32_e32 v80, 0, v80, vcc_lo
	v_cmp_eq_u32_e32 vcc_lo, 0, v26
	v_add_nc_u32_e32 v26, 0xffffff91, v26
	v_cndmask_b32_e64 v80, v80, 0x6f, vcc_lo
	v_cndmask_b32_e32 v27, v109, v27, vcc_lo
	v_cndmask_b32_e64 v26, v26, 0xffffff92, vcc_lo
	v_lshl_add_u32 v110, 0x200000, v80, -1
	v_lshrrev_b32_e32 v109, v80, v27
	v_lshlrev_b32_e64 v120, v80, 0x100000
	v_and_b32_e32 v27, v110, v27
	v_bfe_u32 v111, v109, 21, 1
	v_cmp_eq_u32_e64 s16, v27, v120
	v_add_nc_u32_e32 v110, -1, v111
	v_lshrrev_b32_e32 v111, 23, v109
	v_cndmask_b32_e64 v27, 0, v110, s16
	v_add_nc_u32_e32 v110, v80, v26
	v_xor_b32_e32 v111, 1, v111
	s_mov_b32 s16, exec_lo
                                        ; implicit-def: $vgpr80
	v_add_nc_u32_e32 v27, v27, v109
	v_and_b32_e32 v26, 0x1fffff, v27
	v_add_nc_u32_e32 v109, v26, v109
	v_cmpx_ne_u32_e64 v110, v111
	s_xor_b32 s16, exec_lo, s16
; %bb.1558:                             ;   in Loop: Header=BB4_1523 Depth=4
	v_cmp_lt_u32_e32 vcc_lo, 0xffffff, v109
	v_sub_nc_u32_e32 v26, v110, v111
	v_cndmask_b32_e64 v27, 0, 1, vcc_lo
	v_add_co_ci_u32_e64 v80, null, 0, v26, vcc_lo
	v_lshrrev_b32_e32 v109, v27, v109
; %bb.1559:                             ;   in Loop: Header=BB4_1523 Depth=4
	s_andn2_saveexec_b32 s16, s16
; %bb.1560:                             ;   in Loop: Header=BB4_1523 Depth=4
	v_bfe_u32 v80, v109, 23, 1
; %bb.1561:                             ;   in Loop: Header=BB4_1523 Depth=4
	s_or_b32 exec_lo, exec_lo, s16
	v_lshrrev_b32_e32 v26, 21, v109
	v_cmp_gt_i32_e32 vcc_lo, 32, v80
	v_min_i32_e32 v27, 31, v80
	v_and_b32_sdwa v108, v108, v116 dst_sel:DWORD dst_unused:UNUSED_PAD src0_sel:BYTE_3 src1_sel:DWORD
	v_cndmask_b32_e32 v26, 3, v26, vcc_lo
	v_lshlrev_b32_e32 v27, 2, v27
	v_and_b32_e32 v109, 3, v26
	v_or_b32_e32 v26, v80, v26
	v_or3_b32 v27, v27, v108, v109
	v_cmp_ne_u32_e32 vcc_lo, 0, v26
	v_cndmask_b32_e32 v80, 0, v27, vcc_lo
.LBB4_1562:                             ;   in Loop: Header=BB4_1523 Depth=4
	s_or_b32 exec_lo, exec_lo, s72
.LBB4_1563:                             ;   in Loop: Header=BB4_1523 Depth=4
	s_or_b32 exec_lo, exec_lo, s63
	v_cmp_gt_i16_sdwa s63, v107, v115 src0_sel:BYTE_0 src1_sel:DWORD
	s_mov_b32 s16, 0
	s_and_saveexec_b32 s72, s63
	s_xor_b32 s63, exec_lo, s72
	s_cbranch_execz .LBB4_1849
; %bb.1564:                             ;   in Loop: Header=BB4_1523 Depth=4
	v_cmp_eq_u16_sdwa s73, v107, v116 src0_sel:BYTE_0 src1_sel:DWORD
	s_mov_b32 s16, -1
	s_and_saveexec_b32 s72, s73
; %bb.1565:                             ;   in Loop: Header=BB4_1523 Depth=4
	s_xor_b32 s16, exec_lo, -1
; %bb.1566:                             ;   in Loop: Header=BB4_1523 Depth=4
	s_or_b32 exec_lo, exec_lo, s72
	s_and_b32 s16, s16, exec_lo
	s_or_saveexec_b32 s63, s63
	v_mov_b32_e32 v108, 0x7f800001
	s_xor_b32 exec_lo, exec_lo, s63
	s_cbranch_execnz .LBB4_1850
.LBB4_1567:                             ;   in Loop: Header=BB4_1523 Depth=4
	s_or_b32 exec_lo, exec_lo, s63
	s_and_saveexec_b32 s63, s16
	s_cbranch_execz .LBB4_1569
.LBB4_1568:                             ;   in Loop: Header=BB4_1523 Depth=4
	v_and_b32_e32 v26, 3, v107
	v_lshrrev_b16 v108, 2, v107
	v_ffbh_u32_e32 v27, v26
	v_and_b32_e32 v108, 31, v108
	v_min_u32_e32 v27, 32, v27
	v_cmp_eq_u32_e32 vcc_lo, 0, v108
	v_subrev_nc_u32_e32 v109, 29, v27
	v_sub_nc_u32_e32 v27, 30, v27
	v_lshlrev_b32_e32 v109, v109, v107
	v_lshlrev_b32_e32 v107, 24, v107
	v_cndmask_b32_e32 v27, v108, v27, vcc_lo
	v_and_b32_e32 v109, 3, v109
	v_and_b32_e32 v107, 0x80000000, v107
	v_lshl_add_u32 v27, v27, 23, 0x37800000
	v_cndmask_b32_e32 v26, v26, v109, vcc_lo
	v_lshlrev_b32_e32 v26, 21, v26
	v_or3_b32 v108, v107, v27, v26
.LBB4_1569:                             ;   in Loop: Header=BB4_1523 Depth=4
	s_or_b32 exec_lo, exec_lo, s63
	s_waitcnt vmcnt(13) lgkmcnt(13)
	v_cmp_gt_i16_sdwa s63, v83, v115 src0_sel:BYTE_0 src1_sel:DWORD
	s_mov_b32 s16, 0
	s_and_saveexec_b32 s72, s63
	s_xor_b32 s63, exec_lo, s72
	s_cbranch_execz .LBB4_1851
; %bb.1570:                             ;   in Loop: Header=BB4_1523 Depth=4
	v_cmp_eq_u16_sdwa s73, v83, v116 src0_sel:BYTE_0 src1_sel:DWORD
	s_mov_b32 s16, -1
	s_and_saveexec_b32 s72, s73
; %bb.1571:                             ;   in Loop: Header=BB4_1523 Depth=4
	s_xor_b32 s16, exec_lo, -1
; %bb.1572:                             ;   in Loop: Header=BB4_1523 Depth=4
	s_or_b32 exec_lo, exec_lo, s72
	s_and_b32 s16, s16, exec_lo
	s_or_saveexec_b32 s63, s63
	v_mov_b32_e32 v107, 0x7f800001
	s_xor_b32 exec_lo, exec_lo, s63
	s_cbranch_execnz .LBB4_1852
.LBB4_1573:                             ;   in Loop: Header=BB4_1523 Depth=4
	s_or_b32 exec_lo, exec_lo, s63
	s_and_saveexec_b32 s63, s16
	s_cbranch_execz .LBB4_1575
.LBB4_1574:                             ;   in Loop: Header=BB4_1523 Depth=4
	v_and_b32_e32 v26, 3, v83
	v_lshrrev_b16 v107, 2, v83
	v_ffbh_u32_e32 v27, v26
	v_and_b32_e32 v107, 31, v107
	v_min_u32_e32 v27, 32, v27
	v_cmp_eq_u32_e32 vcc_lo, 0, v107
	v_subrev_nc_u32_e32 v109, 29, v27
	v_sub_nc_u32_e32 v27, 30, v27
	v_lshlrev_b32_e32 v109, v109, v83
	v_lshlrev_b32_e32 v83, 24, v83
	v_cndmask_b32_e32 v27, v107, v27, vcc_lo
	v_and_b32_e32 v109, 3, v109
	v_and_b32_e32 v83, 0x80000000, v83
	v_lshl_add_u32 v27, v27, 23, 0x37800000
	v_cndmask_b32_e32 v26, v26, v109, vcc_lo
	v_lshlrev_b32_e32 v26, 21, v26
	v_or3_b32 v107, v83, v27, v26
.LBB4_1575:                             ;   in Loop: Header=BB4_1523 Depth=4
	s_or_b32 exec_lo, exec_lo, s63
	v_mul_f32_e32 v107, v108, v107
	v_mov_b32_e32 v83, 0x80
	s_mov_b32 s63, exec_lo
	v_and_b32_e32 v26, 0x7f800000, v107
	v_cmpx_ne_u32_e32 0x7f800000, v26
	s_cbranch_execz .LBB4_1583
; %bb.1576:                             ;   in Loop: Header=BB4_1523 Depth=4
	v_mov_b32_e32 v83, 0
	s_mov_b32 s72, exec_lo
	v_cmpx_ne_u32_e32 0, v107
	s_cbranch_execz .LBB4_1582
; %bb.1577:                             ;   in Loop: Header=BB4_1523 Depth=4
	v_bfe_u32 v26, v107, 23, 8
	v_and_b32_e32 v27, 0x7fffff, v107
	v_sub_nc_u32_e32 v83, 0x70, v26
	v_cmp_gt_u32_e32 vcc_lo, 0x71, v26
	v_or_b32_e32 v108, 0x800000, v27
	v_cndmask_b32_e32 v83, 0, v83, vcc_lo
	v_cmp_eq_u32_e32 vcc_lo, 0, v26
	v_add_nc_u32_e32 v26, 0xffffff91, v26
	v_cndmask_b32_e64 v83, v83, 0x6f, vcc_lo
	v_cndmask_b32_e32 v27, v108, v27, vcc_lo
	v_cndmask_b32_e64 v26, v26, 0xffffff92, vcc_lo
	v_lshl_add_u32 v109, 0x200000, v83, -1
	v_lshrrev_b32_e32 v108, v83, v27
	v_lshlrev_b32_e64 v111, v83, 0x100000
	v_and_b32_e32 v27, v109, v27
	v_bfe_u32 v110, v108, 21, 1
	v_cmp_eq_u32_e64 s16, v27, v111
	v_add_nc_u32_e32 v109, -1, v110
	v_lshrrev_b32_e32 v110, 23, v108
	v_cndmask_b32_e64 v27, 0, v109, s16
	v_add_nc_u32_e32 v109, v83, v26
	v_xor_b32_e32 v110, 1, v110
	s_mov_b32 s16, exec_lo
                                        ; implicit-def: $vgpr83
	v_add_nc_u32_e32 v27, v27, v108
	v_and_b32_e32 v26, 0x1fffff, v27
	v_add_nc_u32_e32 v108, v26, v108
	v_cmpx_ne_u32_e64 v109, v110
	s_xor_b32 s16, exec_lo, s16
; %bb.1578:                             ;   in Loop: Header=BB4_1523 Depth=4
	v_cmp_lt_u32_e32 vcc_lo, 0xffffff, v108
	v_sub_nc_u32_e32 v26, v109, v110
	v_cndmask_b32_e64 v27, 0, 1, vcc_lo
	v_add_co_ci_u32_e64 v83, null, 0, v26, vcc_lo
	v_lshrrev_b32_e32 v108, v27, v108
; %bb.1579:                             ;   in Loop: Header=BB4_1523 Depth=4
	s_andn2_saveexec_b32 s16, s16
; %bb.1580:                             ;   in Loop: Header=BB4_1523 Depth=4
	v_bfe_u32 v83, v108, 23, 1
; %bb.1581:                             ;   in Loop: Header=BB4_1523 Depth=4
	s_or_b32 exec_lo, exec_lo, s16
	v_lshrrev_b32_e32 v26, 21, v108
	v_cmp_gt_i32_e32 vcc_lo, 32, v83
	v_min_i32_e32 v27, 31, v83
	v_and_b32_sdwa v107, v107, v116 dst_sel:DWORD dst_unused:UNUSED_PAD src0_sel:BYTE_3 src1_sel:DWORD
	v_cndmask_b32_e32 v26, 3, v26, vcc_lo
	v_lshlrev_b32_e32 v27, 2, v27
	v_and_b32_e32 v108, 3, v26
	v_or_b32_e32 v26, v83, v26
	v_or3_b32 v27, v27, v107, v108
	v_cmp_ne_u32_e32 vcc_lo, 0, v26
	v_cndmask_b32_e32 v83, 0, v27, vcc_lo
.LBB4_1582:                             ;   in Loop: Header=BB4_1523 Depth=4
	s_or_b32 exec_lo, exec_lo, s72
.LBB4_1583:                             ;   in Loop: Header=BB4_1523 Depth=4
	s_or_b32 exec_lo, exec_lo, s63
	v_cmp_gt_i16_sdwa s63, v106, v115 src0_sel:BYTE_0 src1_sel:DWORD
	s_mov_b32 s16, 0
	s_and_saveexec_b32 s72, s63
	s_xor_b32 s63, exec_lo, s72
	s_cbranch_execz .LBB4_1853
; %bb.1584:                             ;   in Loop: Header=BB4_1523 Depth=4
	v_cmp_eq_u16_sdwa s73, v106, v116 src0_sel:BYTE_0 src1_sel:DWORD
	s_mov_b32 s16, -1
	s_and_saveexec_b32 s72, s73
; %bb.1585:                             ;   in Loop: Header=BB4_1523 Depth=4
	s_xor_b32 s16, exec_lo, -1
; %bb.1586:                             ;   in Loop: Header=BB4_1523 Depth=4
	s_or_b32 exec_lo, exec_lo, s72
	s_and_b32 s16, s16, exec_lo
	s_or_saveexec_b32 s63, s63
	v_mov_b32_e32 v107, 0x7f800001
	s_xor_b32 exec_lo, exec_lo, s63
	s_cbranch_execnz .LBB4_1854
.LBB4_1587:                             ;   in Loop: Header=BB4_1523 Depth=4
	s_or_b32 exec_lo, exec_lo, s63
	s_and_saveexec_b32 s63, s16
	s_cbranch_execz .LBB4_1589
.LBB4_1588:                             ;   in Loop: Header=BB4_1523 Depth=4
	v_and_b32_e32 v26, 3, v106
	v_lshrrev_b16 v107, 2, v106
	v_ffbh_u32_e32 v27, v26
	v_and_b32_e32 v107, 31, v107
	v_min_u32_e32 v27, 32, v27
	v_cmp_eq_u32_e32 vcc_lo, 0, v107
	v_subrev_nc_u32_e32 v108, 29, v27
	v_sub_nc_u32_e32 v27, 30, v27
	v_lshlrev_b32_e32 v108, v108, v106
	v_lshlrev_b32_e32 v106, 24, v106
	v_cndmask_b32_e32 v27, v107, v27, vcc_lo
	v_and_b32_e32 v108, 3, v108
	v_and_b32_e32 v106, 0x80000000, v106
	v_lshl_add_u32 v27, v27, 23, 0x37800000
	v_cndmask_b32_e32 v26, v26, v108, vcc_lo
	v_lshlrev_b32_e32 v26, 21, v26
	v_or3_b32 v107, v106, v27, v26
.LBB4_1589:                             ;   in Loop: Header=BB4_1523 Depth=4
	s_or_b32 exec_lo, exec_lo, s63
	s_waitcnt vmcnt(12) lgkmcnt(12)
	v_cmp_gt_i16_sdwa s63, v86, v115 src0_sel:BYTE_0 src1_sel:DWORD
	s_mov_b32 s16, 0
	s_and_saveexec_b32 s72, s63
	s_xor_b32 s63, exec_lo, s72
	s_cbranch_execz .LBB4_1855
; %bb.1590:                             ;   in Loop: Header=BB4_1523 Depth=4
	v_cmp_eq_u16_sdwa s73, v86, v116 src0_sel:BYTE_0 src1_sel:DWORD
	s_mov_b32 s16, -1
	s_and_saveexec_b32 s72, s73
; %bb.1591:                             ;   in Loop: Header=BB4_1523 Depth=4
	s_xor_b32 s16, exec_lo, -1
; %bb.1592:                             ;   in Loop: Header=BB4_1523 Depth=4
	s_or_b32 exec_lo, exec_lo, s72
	s_and_b32 s16, s16, exec_lo
	s_or_saveexec_b32 s63, s63
	v_mov_b32_e32 v106, 0x7f800001
	s_xor_b32 exec_lo, exec_lo, s63
	s_cbranch_execnz .LBB4_1856
.LBB4_1593:                             ;   in Loop: Header=BB4_1523 Depth=4
	s_or_b32 exec_lo, exec_lo, s63
	s_and_saveexec_b32 s63, s16
	s_cbranch_execz .LBB4_1595
.LBB4_1594:                             ;   in Loop: Header=BB4_1523 Depth=4
	v_and_b32_e32 v26, 3, v86
	v_lshrrev_b16 v106, 2, v86
	v_ffbh_u32_e32 v27, v26
	v_and_b32_e32 v106, 31, v106
	v_min_u32_e32 v27, 32, v27
	v_cmp_eq_u32_e32 vcc_lo, 0, v106
	v_subrev_nc_u32_e32 v108, 29, v27
	v_sub_nc_u32_e32 v27, 30, v27
	v_lshlrev_b32_e32 v108, v108, v86
	v_lshlrev_b32_e32 v86, 24, v86
	v_cndmask_b32_e32 v27, v106, v27, vcc_lo
	v_and_b32_e32 v108, 3, v108
	v_and_b32_e32 v86, 0x80000000, v86
	v_lshl_add_u32 v27, v27, 23, 0x37800000
	v_cndmask_b32_e32 v26, v26, v108, vcc_lo
	v_lshlrev_b32_e32 v26, 21, v26
	v_or3_b32 v106, v86, v27, v26
.LBB4_1595:                             ;   in Loop: Header=BB4_1523 Depth=4
	s_or_b32 exec_lo, exec_lo, s63
	v_mul_f32_e32 v106, v107, v106
	v_mov_b32_e32 v86, 0x80
	s_mov_b32 s63, exec_lo
	v_and_b32_e32 v26, 0x7f800000, v106
	v_cmpx_ne_u32_e32 0x7f800000, v26
	s_cbranch_execz .LBB4_1603
; %bb.1596:                             ;   in Loop: Header=BB4_1523 Depth=4
	v_mov_b32_e32 v86, 0
	s_mov_b32 s72, exec_lo
	v_cmpx_ne_u32_e32 0, v106
	s_cbranch_execz .LBB4_1602
; %bb.1597:                             ;   in Loop: Header=BB4_1523 Depth=4
	v_bfe_u32 v26, v106, 23, 8
	v_and_b32_e32 v27, 0x7fffff, v106
	v_sub_nc_u32_e32 v86, 0x70, v26
	v_cmp_gt_u32_e32 vcc_lo, 0x71, v26
	v_or_b32_e32 v107, 0x800000, v27
	v_cndmask_b32_e32 v86, 0, v86, vcc_lo
	v_cmp_eq_u32_e32 vcc_lo, 0, v26
	v_add_nc_u32_e32 v26, 0xffffff91, v26
	v_cndmask_b32_e64 v86, v86, 0x6f, vcc_lo
	v_cndmask_b32_e32 v27, v107, v27, vcc_lo
	v_cndmask_b32_e64 v26, v26, 0xffffff92, vcc_lo
	v_lshl_add_u32 v108, 0x200000, v86, -1
	v_lshrrev_b32_e32 v107, v86, v27
	v_lshlrev_b32_e64 v110, v86, 0x100000
	v_and_b32_e32 v27, v108, v27
	v_bfe_u32 v109, v107, 21, 1
	v_cmp_eq_u32_e64 s16, v27, v110
	v_add_nc_u32_e32 v108, -1, v109
	v_lshrrev_b32_e32 v109, 23, v107
	v_cndmask_b32_e64 v27, 0, v108, s16
	v_add_nc_u32_e32 v108, v86, v26
	v_xor_b32_e32 v109, 1, v109
	s_mov_b32 s16, exec_lo
                                        ; implicit-def: $vgpr86
	v_add_nc_u32_e32 v27, v27, v107
	v_and_b32_e32 v26, 0x1fffff, v27
	v_add_nc_u32_e32 v107, v26, v107
	v_cmpx_ne_u32_e64 v108, v109
	s_xor_b32 s16, exec_lo, s16
; %bb.1598:                             ;   in Loop: Header=BB4_1523 Depth=4
	v_cmp_lt_u32_e32 vcc_lo, 0xffffff, v107
	v_sub_nc_u32_e32 v26, v108, v109
	v_cndmask_b32_e64 v27, 0, 1, vcc_lo
	v_add_co_ci_u32_e64 v86, null, 0, v26, vcc_lo
	v_lshrrev_b32_e32 v107, v27, v107
; %bb.1599:                             ;   in Loop: Header=BB4_1523 Depth=4
	s_andn2_saveexec_b32 s16, s16
; %bb.1600:                             ;   in Loop: Header=BB4_1523 Depth=4
	v_bfe_u32 v86, v107, 23, 1
; %bb.1601:                             ;   in Loop: Header=BB4_1523 Depth=4
	s_or_b32 exec_lo, exec_lo, s16
	v_lshrrev_b32_e32 v26, 21, v107
	v_cmp_gt_i32_e32 vcc_lo, 32, v86
	v_min_i32_e32 v27, 31, v86
	v_and_b32_sdwa v106, v106, v116 dst_sel:DWORD dst_unused:UNUSED_PAD src0_sel:BYTE_3 src1_sel:DWORD
	v_cndmask_b32_e32 v26, 3, v26, vcc_lo
	v_lshlrev_b32_e32 v27, 2, v27
	v_and_b32_e32 v107, 3, v26
	v_or_b32_e32 v26, v86, v26
	v_or3_b32 v27, v27, v106, v107
	v_cmp_ne_u32_e32 vcc_lo, 0, v26
	v_cndmask_b32_e32 v86, 0, v27, vcc_lo
.LBB4_1602:                             ;   in Loop: Header=BB4_1523 Depth=4
	s_or_b32 exec_lo, exec_lo, s72
.LBB4_1603:                             ;   in Loop: Header=BB4_1523 Depth=4
	s_or_b32 exec_lo, exec_lo, s63
	v_cmp_gt_i16_sdwa s63, v105, v115 src0_sel:BYTE_0 src1_sel:DWORD
	s_mov_b32 s16, 0
	s_and_saveexec_b32 s72, s63
	s_xor_b32 s63, exec_lo, s72
	s_cbranch_execz .LBB4_1857
; %bb.1604:                             ;   in Loop: Header=BB4_1523 Depth=4
	v_cmp_eq_u16_sdwa s73, v105, v116 src0_sel:BYTE_0 src1_sel:DWORD
	s_mov_b32 s16, -1
	s_and_saveexec_b32 s72, s73
; %bb.1605:                             ;   in Loop: Header=BB4_1523 Depth=4
	s_xor_b32 s16, exec_lo, -1
; %bb.1606:                             ;   in Loop: Header=BB4_1523 Depth=4
	s_or_b32 exec_lo, exec_lo, s72
	s_and_b32 s16, s16, exec_lo
	s_or_saveexec_b32 s63, s63
	v_mov_b32_e32 v106, 0x7f800001
	s_xor_b32 exec_lo, exec_lo, s63
	s_cbranch_execnz .LBB4_1858
.LBB4_1607:                             ;   in Loop: Header=BB4_1523 Depth=4
	s_or_b32 exec_lo, exec_lo, s63
	s_and_saveexec_b32 s63, s16
	s_cbranch_execz .LBB4_1609
.LBB4_1608:                             ;   in Loop: Header=BB4_1523 Depth=4
	v_and_b32_e32 v26, 3, v105
	v_lshrrev_b16 v106, 2, v105
	v_ffbh_u32_e32 v27, v26
	v_and_b32_e32 v106, 31, v106
	v_min_u32_e32 v27, 32, v27
	v_cmp_eq_u32_e32 vcc_lo, 0, v106
	v_subrev_nc_u32_e32 v107, 29, v27
	v_sub_nc_u32_e32 v27, 30, v27
	v_lshlrev_b32_e32 v107, v107, v105
	v_lshlrev_b32_e32 v105, 24, v105
	v_cndmask_b32_e32 v27, v106, v27, vcc_lo
	v_and_b32_e32 v107, 3, v107
	v_and_b32_e32 v105, 0x80000000, v105
	v_lshl_add_u32 v27, v27, 23, 0x37800000
	v_cndmask_b32_e32 v26, v26, v107, vcc_lo
	v_lshlrev_b32_e32 v26, 21, v26
	v_or3_b32 v106, v105, v27, v26
.LBB4_1609:                             ;   in Loop: Header=BB4_1523 Depth=4
	s_or_b32 exec_lo, exec_lo, s63
	s_waitcnt vmcnt(11) lgkmcnt(11)
	v_cmp_gt_i16_sdwa s63, v97, v115 src0_sel:BYTE_0 src1_sel:DWORD
	s_mov_b32 s16, 0
	s_and_saveexec_b32 s72, s63
	s_xor_b32 s63, exec_lo, s72
	s_cbranch_execz .LBB4_1859
; %bb.1610:                             ;   in Loop: Header=BB4_1523 Depth=4
	v_cmp_eq_u16_sdwa s73, v97, v116 src0_sel:BYTE_0 src1_sel:DWORD
	s_mov_b32 s16, -1
	s_and_saveexec_b32 s72, s73
; %bb.1611:                             ;   in Loop: Header=BB4_1523 Depth=4
	s_xor_b32 s16, exec_lo, -1
; %bb.1612:                             ;   in Loop: Header=BB4_1523 Depth=4
	s_or_b32 exec_lo, exec_lo, s72
	s_and_b32 s16, s16, exec_lo
	s_or_saveexec_b32 s63, s63
	v_mov_b32_e32 v105, 0x7f800001
	s_xor_b32 exec_lo, exec_lo, s63
	s_cbranch_execnz .LBB4_1860
.LBB4_1613:                             ;   in Loop: Header=BB4_1523 Depth=4
	s_or_b32 exec_lo, exec_lo, s63
	s_and_saveexec_b32 s63, s16
	s_cbranch_execz .LBB4_1615
.LBB4_1614:                             ;   in Loop: Header=BB4_1523 Depth=4
	v_and_b32_e32 v26, 3, v97
	v_lshrrev_b16 v105, 2, v97
	v_ffbh_u32_e32 v27, v26
	v_and_b32_e32 v105, 31, v105
	v_min_u32_e32 v27, 32, v27
	v_cmp_eq_u32_e32 vcc_lo, 0, v105
	v_subrev_nc_u32_e32 v107, 29, v27
	v_sub_nc_u32_e32 v27, 30, v27
	v_lshlrev_b32_e32 v107, v107, v97
	v_lshlrev_b32_e32 v97, 24, v97
	v_cndmask_b32_e32 v27, v105, v27, vcc_lo
	v_and_b32_e32 v107, 3, v107
	v_and_b32_e32 v97, 0x80000000, v97
	v_lshl_add_u32 v27, v27, 23, 0x37800000
	v_cndmask_b32_e32 v26, v26, v107, vcc_lo
	v_lshlrev_b32_e32 v26, 21, v26
	v_or3_b32 v105, v97, v27, v26
.LBB4_1615:                             ;   in Loop: Header=BB4_1523 Depth=4
	s_or_b32 exec_lo, exec_lo, s63
	v_mul_f32_e32 v105, v106, v105
	v_mov_b32_e32 v97, 0x80
	s_mov_b32 s63, exec_lo
	v_and_b32_e32 v26, 0x7f800000, v105
	v_cmpx_ne_u32_e32 0x7f800000, v26
	s_cbranch_execz .LBB4_1623
; %bb.1616:                             ;   in Loop: Header=BB4_1523 Depth=4
	v_mov_b32_e32 v97, 0
	s_mov_b32 s72, exec_lo
	v_cmpx_ne_u32_e32 0, v105
	s_cbranch_execz .LBB4_1622
; %bb.1617:                             ;   in Loop: Header=BB4_1523 Depth=4
	v_bfe_u32 v26, v105, 23, 8
	v_and_b32_e32 v27, 0x7fffff, v105
	v_sub_nc_u32_e32 v97, 0x70, v26
	v_cmp_gt_u32_e32 vcc_lo, 0x71, v26
	v_or_b32_e32 v106, 0x800000, v27
	v_cndmask_b32_e32 v97, 0, v97, vcc_lo
	v_cmp_eq_u32_e32 vcc_lo, 0, v26
	v_add_nc_u32_e32 v26, 0xffffff91, v26
	v_cndmask_b32_e64 v97, v97, 0x6f, vcc_lo
	v_cndmask_b32_e32 v27, v106, v27, vcc_lo
	v_cndmask_b32_e64 v26, v26, 0xffffff92, vcc_lo
	v_lshl_add_u32 v107, 0x200000, v97, -1
	v_lshrrev_b32_e32 v106, v97, v27
	v_lshlrev_b32_e64 v109, v97, 0x100000
	v_and_b32_e32 v27, v107, v27
	v_bfe_u32 v108, v106, 21, 1
	v_cmp_eq_u32_e64 s16, v27, v109
	v_add_nc_u32_e32 v107, -1, v108
	v_lshrrev_b32_e32 v108, 23, v106
	v_cndmask_b32_e64 v27, 0, v107, s16
	v_add_nc_u32_e32 v107, v97, v26
	v_xor_b32_e32 v108, 1, v108
	s_mov_b32 s16, exec_lo
                                        ; implicit-def: $vgpr97
	v_add_nc_u32_e32 v27, v27, v106
	v_and_b32_e32 v26, 0x1fffff, v27
	v_add_nc_u32_e32 v106, v26, v106
	v_cmpx_ne_u32_e64 v107, v108
	s_xor_b32 s16, exec_lo, s16
; %bb.1618:                             ;   in Loop: Header=BB4_1523 Depth=4
	v_cmp_lt_u32_e32 vcc_lo, 0xffffff, v106
	v_sub_nc_u32_e32 v26, v107, v108
	v_cndmask_b32_e64 v27, 0, 1, vcc_lo
	v_add_co_ci_u32_e64 v97, null, 0, v26, vcc_lo
	v_lshrrev_b32_e32 v106, v27, v106
; %bb.1619:                             ;   in Loop: Header=BB4_1523 Depth=4
	s_andn2_saveexec_b32 s16, s16
; %bb.1620:                             ;   in Loop: Header=BB4_1523 Depth=4
	v_bfe_u32 v97, v106, 23, 1
; %bb.1621:                             ;   in Loop: Header=BB4_1523 Depth=4
	s_or_b32 exec_lo, exec_lo, s16
	v_lshrrev_b32_e32 v26, 21, v106
	v_cmp_gt_i32_e32 vcc_lo, 32, v97
	v_min_i32_e32 v27, 31, v97
	v_and_b32_sdwa v105, v105, v116 dst_sel:DWORD dst_unused:UNUSED_PAD src0_sel:BYTE_3 src1_sel:DWORD
	v_cndmask_b32_e32 v26, 3, v26, vcc_lo
	v_lshlrev_b32_e32 v27, 2, v27
	v_and_b32_e32 v106, 3, v26
	v_or_b32_e32 v26, v97, v26
	v_or3_b32 v27, v27, v105, v106
	v_cmp_ne_u32_e32 vcc_lo, 0, v26
	v_cndmask_b32_e32 v97, 0, v27, vcc_lo
.LBB4_1622:                             ;   in Loop: Header=BB4_1523 Depth=4
	s_or_b32 exec_lo, exec_lo, s72
.LBB4_1623:                             ;   in Loop: Header=BB4_1523 Depth=4
	s_or_b32 exec_lo, exec_lo, s63
	v_cmp_gt_i16_sdwa s63, v104, v115 src0_sel:BYTE_0 src1_sel:DWORD
	s_mov_b32 s16, 0
	s_and_saveexec_b32 s72, s63
	s_xor_b32 s63, exec_lo, s72
	s_cbranch_execz .LBB4_1861
; %bb.1624:                             ;   in Loop: Header=BB4_1523 Depth=4
	v_cmp_eq_u16_sdwa s73, v104, v116 src0_sel:BYTE_0 src1_sel:DWORD
	s_mov_b32 s16, -1
	s_and_saveexec_b32 s72, s73
; %bb.1625:                             ;   in Loop: Header=BB4_1523 Depth=4
	s_xor_b32 s16, exec_lo, -1
; %bb.1626:                             ;   in Loop: Header=BB4_1523 Depth=4
	s_or_b32 exec_lo, exec_lo, s72
	s_and_b32 s16, s16, exec_lo
	s_or_saveexec_b32 s63, s63
	v_mov_b32_e32 v105, 0x7f800001
	s_xor_b32 exec_lo, exec_lo, s63
	s_cbranch_execnz .LBB4_1862
.LBB4_1627:                             ;   in Loop: Header=BB4_1523 Depth=4
	s_or_b32 exec_lo, exec_lo, s63
	s_and_saveexec_b32 s63, s16
	s_cbranch_execz .LBB4_1629
.LBB4_1628:                             ;   in Loop: Header=BB4_1523 Depth=4
	v_and_b32_e32 v26, 3, v104
	v_lshrrev_b16 v105, 2, v104
	v_ffbh_u32_e32 v27, v26
	v_and_b32_e32 v105, 31, v105
	v_min_u32_e32 v27, 32, v27
	v_cmp_eq_u32_e32 vcc_lo, 0, v105
	v_subrev_nc_u32_e32 v106, 29, v27
	v_sub_nc_u32_e32 v27, 30, v27
	v_lshlrev_b32_e32 v106, v106, v104
	v_lshlrev_b32_e32 v104, 24, v104
	v_cndmask_b32_e32 v27, v105, v27, vcc_lo
	v_and_b32_e32 v106, 3, v106
	v_and_b32_e32 v104, 0x80000000, v104
	v_lshl_add_u32 v27, v27, 23, 0x37800000
	v_cndmask_b32_e32 v26, v26, v106, vcc_lo
	v_lshlrev_b32_e32 v26, 21, v26
	v_or3_b32 v105, v104, v27, v26
.LBB4_1629:                             ;   in Loop: Header=BB4_1523 Depth=4
	s_or_b32 exec_lo, exec_lo, s63
	s_waitcnt vmcnt(10) lgkmcnt(10)
	v_cmp_gt_i16_sdwa s63, v79, v115 src0_sel:BYTE_0 src1_sel:DWORD
	s_mov_b32 s16, 0
	s_and_saveexec_b32 s72, s63
	s_xor_b32 s63, exec_lo, s72
	s_cbranch_execz .LBB4_1863
; %bb.1630:                             ;   in Loop: Header=BB4_1523 Depth=4
	v_cmp_eq_u16_sdwa s73, v79, v116 src0_sel:BYTE_0 src1_sel:DWORD
	s_mov_b32 s16, -1
	s_and_saveexec_b32 s72, s73
; %bb.1631:                             ;   in Loop: Header=BB4_1523 Depth=4
	s_xor_b32 s16, exec_lo, -1
; %bb.1632:                             ;   in Loop: Header=BB4_1523 Depth=4
	s_or_b32 exec_lo, exec_lo, s72
	s_and_b32 s16, s16, exec_lo
	s_or_saveexec_b32 s63, s63
	v_mov_b32_e32 v104, 0x7f800001
	s_xor_b32 exec_lo, exec_lo, s63
	s_cbranch_execnz .LBB4_1864
.LBB4_1633:                             ;   in Loop: Header=BB4_1523 Depth=4
	s_or_b32 exec_lo, exec_lo, s63
	s_and_saveexec_b32 s63, s16
	s_cbranch_execz .LBB4_1635
.LBB4_1634:                             ;   in Loop: Header=BB4_1523 Depth=4
	v_and_b32_e32 v26, 3, v79
	v_lshrrev_b16 v104, 2, v79
	v_ffbh_u32_e32 v27, v26
	v_and_b32_e32 v104, 31, v104
	v_min_u32_e32 v27, 32, v27
	v_cmp_eq_u32_e32 vcc_lo, 0, v104
	v_subrev_nc_u32_e32 v106, 29, v27
	v_sub_nc_u32_e32 v27, 30, v27
	v_lshlrev_b32_e32 v106, v106, v79
	v_lshlrev_b32_e32 v79, 24, v79
	v_cndmask_b32_e32 v27, v104, v27, vcc_lo
	v_and_b32_e32 v106, 3, v106
	v_and_b32_e32 v79, 0x80000000, v79
	v_lshl_add_u32 v27, v27, 23, 0x37800000
	v_cndmask_b32_e32 v26, v26, v106, vcc_lo
	v_lshlrev_b32_e32 v26, 21, v26
	v_or3_b32 v104, v79, v27, v26
.LBB4_1635:                             ;   in Loop: Header=BB4_1523 Depth=4
	s_or_b32 exec_lo, exec_lo, s63
	v_mul_f32_e32 v104, v105, v104
	v_mov_b32_e32 v79, 0x80
	s_mov_b32 s63, exec_lo
	v_and_b32_e32 v26, 0x7f800000, v104
	v_cmpx_ne_u32_e32 0x7f800000, v26
	s_cbranch_execz .LBB4_1643
; %bb.1636:                             ;   in Loop: Header=BB4_1523 Depth=4
	v_mov_b32_e32 v79, 0
	s_mov_b32 s72, exec_lo
	v_cmpx_ne_u32_e32 0, v104
	s_cbranch_execz .LBB4_1642
; %bb.1637:                             ;   in Loop: Header=BB4_1523 Depth=4
	v_bfe_u32 v26, v104, 23, 8
	v_and_b32_e32 v27, 0x7fffff, v104
	v_sub_nc_u32_e32 v79, 0x70, v26
	v_cmp_gt_u32_e32 vcc_lo, 0x71, v26
	v_or_b32_e32 v105, 0x800000, v27
	v_cndmask_b32_e32 v79, 0, v79, vcc_lo
	v_cmp_eq_u32_e32 vcc_lo, 0, v26
	v_add_nc_u32_e32 v26, 0xffffff91, v26
	v_cndmask_b32_e64 v79, v79, 0x6f, vcc_lo
	v_cndmask_b32_e32 v27, v105, v27, vcc_lo
	v_cndmask_b32_e64 v26, v26, 0xffffff92, vcc_lo
	v_lshl_add_u32 v106, 0x200000, v79, -1
	v_lshrrev_b32_e32 v105, v79, v27
	v_lshlrev_b32_e64 v108, v79, 0x100000
	v_and_b32_e32 v27, v106, v27
	v_bfe_u32 v107, v105, 21, 1
	v_cmp_eq_u32_e64 s16, v27, v108
	v_add_nc_u32_e32 v106, -1, v107
	v_lshrrev_b32_e32 v107, 23, v105
	v_cndmask_b32_e64 v27, 0, v106, s16
	v_add_nc_u32_e32 v106, v79, v26
	v_xor_b32_e32 v107, 1, v107
	s_mov_b32 s16, exec_lo
                                        ; implicit-def: $vgpr79
	v_add_nc_u32_e32 v27, v27, v105
	v_and_b32_e32 v26, 0x1fffff, v27
	v_add_nc_u32_e32 v105, v26, v105
	v_cmpx_ne_u32_e64 v106, v107
	s_xor_b32 s16, exec_lo, s16
; %bb.1638:                             ;   in Loop: Header=BB4_1523 Depth=4
	v_cmp_lt_u32_e32 vcc_lo, 0xffffff, v105
	v_sub_nc_u32_e32 v26, v106, v107
	v_cndmask_b32_e64 v27, 0, 1, vcc_lo
	v_add_co_ci_u32_e64 v79, null, 0, v26, vcc_lo
	v_lshrrev_b32_e32 v105, v27, v105
; %bb.1639:                             ;   in Loop: Header=BB4_1523 Depth=4
	s_andn2_saveexec_b32 s16, s16
; %bb.1640:                             ;   in Loop: Header=BB4_1523 Depth=4
	v_bfe_u32 v79, v105, 23, 1
; %bb.1641:                             ;   in Loop: Header=BB4_1523 Depth=4
	s_or_b32 exec_lo, exec_lo, s16
	v_lshrrev_b32_e32 v26, 21, v105
	v_cmp_gt_i32_e32 vcc_lo, 32, v79
	v_min_i32_e32 v27, 31, v79
	v_and_b32_sdwa v104, v104, v116 dst_sel:DWORD dst_unused:UNUSED_PAD src0_sel:BYTE_3 src1_sel:DWORD
	v_cndmask_b32_e32 v26, 3, v26, vcc_lo
	v_lshlrev_b32_e32 v27, 2, v27
	v_and_b32_e32 v105, 3, v26
	v_or_b32_e32 v26, v79, v26
	v_or3_b32 v27, v27, v104, v105
	v_cmp_ne_u32_e32 vcc_lo, 0, v26
	v_cndmask_b32_e32 v79, 0, v27, vcc_lo
.LBB4_1642:                             ;   in Loop: Header=BB4_1523 Depth=4
	s_or_b32 exec_lo, exec_lo, s72
.LBB4_1643:                             ;   in Loop: Header=BB4_1523 Depth=4
	s_or_b32 exec_lo, exec_lo, s63
	v_cmp_gt_i16_sdwa s63, v95, v115 src0_sel:BYTE_0 src1_sel:DWORD
	s_mov_b32 s16, 0
	s_and_saveexec_b32 s72, s63
	s_xor_b32 s63, exec_lo, s72
	s_cbranch_execz .LBB4_1865
; %bb.1644:                             ;   in Loop: Header=BB4_1523 Depth=4
	v_cmp_eq_u16_sdwa s73, v95, v116 src0_sel:BYTE_0 src1_sel:DWORD
	s_mov_b32 s16, -1
	s_and_saveexec_b32 s72, s73
; %bb.1645:                             ;   in Loop: Header=BB4_1523 Depth=4
	s_xor_b32 s16, exec_lo, -1
; %bb.1646:                             ;   in Loop: Header=BB4_1523 Depth=4
	s_or_b32 exec_lo, exec_lo, s72
	s_and_b32 s16, s16, exec_lo
	s_or_saveexec_b32 s63, s63
	v_mov_b32_e32 v104, 0x7f800001
	s_xor_b32 exec_lo, exec_lo, s63
	s_cbranch_execnz .LBB4_1866
.LBB4_1647:                             ;   in Loop: Header=BB4_1523 Depth=4
	s_or_b32 exec_lo, exec_lo, s63
	s_and_saveexec_b32 s63, s16
	s_cbranch_execz .LBB4_1649
.LBB4_1648:                             ;   in Loop: Header=BB4_1523 Depth=4
	v_and_b32_e32 v26, 3, v95
	v_lshrrev_b16 v104, 2, v95
	v_ffbh_u32_e32 v27, v26
	v_and_b32_e32 v104, 31, v104
	v_min_u32_e32 v27, 32, v27
	v_cmp_eq_u32_e32 vcc_lo, 0, v104
	v_subrev_nc_u32_e32 v105, 29, v27
	v_sub_nc_u32_e32 v27, 30, v27
	v_lshlrev_b32_e32 v105, v105, v95
	v_lshlrev_b32_e32 v95, 24, v95
	v_cndmask_b32_e32 v27, v104, v27, vcc_lo
	v_and_b32_e32 v105, 3, v105
	v_and_b32_e32 v95, 0x80000000, v95
	v_lshl_add_u32 v27, v27, 23, 0x37800000
	v_cndmask_b32_e32 v26, v26, v105, vcc_lo
	v_lshlrev_b32_e32 v26, 21, v26
	v_or3_b32 v104, v95, v27, v26
.LBB4_1649:                             ;   in Loop: Header=BB4_1523 Depth=4
	s_or_b32 exec_lo, exec_lo, s63
	s_waitcnt vmcnt(9) lgkmcnt(9)
	v_cmp_gt_i16_sdwa s63, v90, v115 src0_sel:BYTE_0 src1_sel:DWORD
	s_mov_b32 s16, 0
	s_and_saveexec_b32 s72, s63
	s_xor_b32 s63, exec_lo, s72
	s_cbranch_execz .LBB4_1867
; %bb.1650:                             ;   in Loop: Header=BB4_1523 Depth=4
	v_cmp_eq_u16_sdwa s73, v90, v116 src0_sel:BYTE_0 src1_sel:DWORD
	s_mov_b32 s16, -1
	s_and_saveexec_b32 s72, s73
; %bb.1651:                             ;   in Loop: Header=BB4_1523 Depth=4
	s_xor_b32 s16, exec_lo, -1
; %bb.1652:                             ;   in Loop: Header=BB4_1523 Depth=4
	s_or_b32 exec_lo, exec_lo, s72
	s_and_b32 s16, s16, exec_lo
	s_or_saveexec_b32 s63, s63
	v_mov_b32_e32 v95, 0x7f800001
	s_xor_b32 exec_lo, exec_lo, s63
	s_cbranch_execnz .LBB4_1868
.LBB4_1653:                             ;   in Loop: Header=BB4_1523 Depth=4
	s_or_b32 exec_lo, exec_lo, s63
	s_and_saveexec_b32 s63, s16
	s_cbranch_execz .LBB4_1655
.LBB4_1654:                             ;   in Loop: Header=BB4_1523 Depth=4
	v_and_b32_e32 v26, 3, v90
	v_lshrrev_b16 v95, 2, v90
	v_ffbh_u32_e32 v27, v26
	v_and_b32_e32 v95, 31, v95
	v_min_u32_e32 v27, 32, v27
	v_cmp_eq_u32_e32 vcc_lo, 0, v95
	v_subrev_nc_u32_e32 v105, 29, v27
	v_sub_nc_u32_e32 v27, 30, v27
	v_lshlrev_b32_e32 v105, v105, v90
	v_lshlrev_b32_e32 v90, 24, v90
	v_cndmask_b32_e32 v27, v95, v27, vcc_lo
	v_and_b32_e32 v105, 3, v105
	v_and_b32_e32 v90, 0x80000000, v90
	v_lshl_add_u32 v27, v27, 23, 0x37800000
	v_cndmask_b32_e32 v26, v26, v105, vcc_lo
	v_lshlrev_b32_e32 v26, 21, v26
	v_or3_b32 v95, v90, v27, v26
.LBB4_1655:                             ;   in Loop: Header=BB4_1523 Depth=4
	s_or_b32 exec_lo, exec_lo, s63
	v_mul_f32_e32 v95, v104, v95
	v_mov_b32_e32 v90, 0x80
	s_mov_b32 s63, exec_lo
	v_and_b32_e32 v26, 0x7f800000, v95
	v_cmpx_ne_u32_e32 0x7f800000, v26
	s_cbranch_execz .LBB4_1663
; %bb.1656:                             ;   in Loop: Header=BB4_1523 Depth=4
	v_mov_b32_e32 v90, 0
	s_mov_b32 s72, exec_lo
	v_cmpx_ne_u32_e32 0, v95
	s_cbranch_execz .LBB4_1662
; %bb.1657:                             ;   in Loop: Header=BB4_1523 Depth=4
	v_bfe_u32 v26, v95, 23, 8
	v_and_b32_e32 v27, 0x7fffff, v95
	v_sub_nc_u32_e32 v90, 0x70, v26
	v_cmp_gt_u32_e32 vcc_lo, 0x71, v26
	v_or_b32_e32 v104, 0x800000, v27
	v_cndmask_b32_e32 v90, 0, v90, vcc_lo
	v_cmp_eq_u32_e32 vcc_lo, 0, v26
	v_add_nc_u32_e32 v26, 0xffffff91, v26
	v_cndmask_b32_e64 v90, v90, 0x6f, vcc_lo
	v_cndmask_b32_e32 v27, v104, v27, vcc_lo
	v_cndmask_b32_e64 v26, v26, 0xffffff92, vcc_lo
	v_lshl_add_u32 v105, 0x200000, v90, -1
	v_lshrrev_b32_e32 v104, v90, v27
	v_lshlrev_b32_e64 v107, v90, 0x100000
	v_and_b32_e32 v27, v105, v27
	v_bfe_u32 v106, v104, 21, 1
	v_cmp_eq_u32_e64 s16, v27, v107
	v_add_nc_u32_e32 v105, -1, v106
	v_lshrrev_b32_e32 v106, 23, v104
	v_cndmask_b32_e64 v27, 0, v105, s16
	v_add_nc_u32_e32 v105, v90, v26
	v_xor_b32_e32 v106, 1, v106
	s_mov_b32 s16, exec_lo
                                        ; implicit-def: $vgpr90
	v_add_nc_u32_e32 v27, v27, v104
	v_and_b32_e32 v26, 0x1fffff, v27
	v_add_nc_u32_e32 v104, v26, v104
	v_cmpx_ne_u32_e64 v105, v106
	s_xor_b32 s16, exec_lo, s16
; %bb.1658:                             ;   in Loop: Header=BB4_1523 Depth=4
	v_cmp_lt_u32_e32 vcc_lo, 0xffffff, v104
	v_sub_nc_u32_e32 v26, v105, v106
	v_cndmask_b32_e64 v27, 0, 1, vcc_lo
	v_add_co_ci_u32_e64 v90, null, 0, v26, vcc_lo
	v_lshrrev_b32_e32 v104, v27, v104
; %bb.1659:                             ;   in Loop: Header=BB4_1523 Depth=4
	s_andn2_saveexec_b32 s16, s16
; %bb.1660:                             ;   in Loop: Header=BB4_1523 Depth=4
	v_bfe_u32 v90, v104, 23, 1
; %bb.1661:                             ;   in Loop: Header=BB4_1523 Depth=4
	s_or_b32 exec_lo, exec_lo, s16
	v_lshrrev_b32_e32 v26, 21, v104
	v_cmp_gt_i32_e32 vcc_lo, 32, v90
	v_min_i32_e32 v27, 31, v90
	v_and_b32_sdwa v95, v95, v116 dst_sel:DWORD dst_unused:UNUSED_PAD src0_sel:BYTE_3 src1_sel:DWORD
	v_cndmask_b32_e32 v26, 3, v26, vcc_lo
	v_lshlrev_b32_e32 v27, 2, v27
	v_and_b32_e32 v104, 3, v26
	v_or_b32_e32 v26, v90, v26
	v_or3_b32 v27, v27, v95, v104
	v_cmp_ne_u32_e32 vcc_lo, 0, v26
	v_cndmask_b32_e32 v90, 0, v27, vcc_lo
.LBB4_1662:                             ;   in Loop: Header=BB4_1523 Depth=4
	s_or_b32 exec_lo, exec_lo, s72
.LBB4_1663:                             ;   in Loop: Header=BB4_1523 Depth=4
	s_or_b32 exec_lo, exec_lo, s63
	v_cmp_gt_i16_sdwa s63, v94, v115 src0_sel:BYTE_0 src1_sel:DWORD
	s_mov_b32 s16, 0
	s_and_saveexec_b32 s72, s63
	s_xor_b32 s63, exec_lo, s72
	s_cbranch_execz .LBB4_1869
; %bb.1664:                             ;   in Loop: Header=BB4_1523 Depth=4
	v_cmp_eq_u16_sdwa s73, v94, v116 src0_sel:BYTE_0 src1_sel:DWORD
	s_mov_b32 s16, -1
	s_and_saveexec_b32 s72, s73
; %bb.1665:                             ;   in Loop: Header=BB4_1523 Depth=4
	s_xor_b32 s16, exec_lo, -1
; %bb.1666:                             ;   in Loop: Header=BB4_1523 Depth=4
	s_or_b32 exec_lo, exec_lo, s72
	s_and_b32 s16, s16, exec_lo
	s_or_saveexec_b32 s63, s63
	v_mov_b32_e32 v95, 0x7f800001
	s_xor_b32 exec_lo, exec_lo, s63
	s_cbranch_execnz .LBB4_1870
.LBB4_1667:                             ;   in Loop: Header=BB4_1523 Depth=4
	s_or_b32 exec_lo, exec_lo, s63
	s_and_saveexec_b32 s63, s16
	s_cbranch_execz .LBB4_1669
.LBB4_1668:                             ;   in Loop: Header=BB4_1523 Depth=4
	v_and_b32_e32 v26, 3, v94
	v_lshrrev_b16 v95, 2, v94
	v_ffbh_u32_e32 v27, v26
	v_and_b32_e32 v95, 31, v95
	v_min_u32_e32 v27, 32, v27
	v_cmp_eq_u32_e32 vcc_lo, 0, v95
	v_subrev_nc_u32_e32 v104, 29, v27
	v_sub_nc_u32_e32 v27, 30, v27
	v_lshlrev_b32_e32 v104, v104, v94
	v_lshlrev_b32_e32 v94, 24, v94
	v_cndmask_b32_e32 v27, v95, v27, vcc_lo
	v_and_b32_e32 v104, 3, v104
	v_and_b32_e32 v94, 0x80000000, v94
	v_lshl_add_u32 v27, v27, 23, 0x37800000
	v_cndmask_b32_e32 v26, v26, v104, vcc_lo
	v_lshlrev_b32_e32 v26, 21, v26
	v_or3_b32 v95, v94, v27, v26
.LBB4_1669:                             ;   in Loop: Header=BB4_1523 Depth=4
	s_or_b32 exec_lo, exec_lo, s63
	s_waitcnt vmcnt(8) lgkmcnt(8)
	v_cmp_gt_i16_sdwa s63, v93, v115 src0_sel:BYTE_0 src1_sel:DWORD
	s_mov_b32 s16, 0
	s_and_saveexec_b32 s72, s63
	s_xor_b32 s63, exec_lo, s72
	s_cbranch_execz .LBB4_1871
; %bb.1670:                             ;   in Loop: Header=BB4_1523 Depth=4
	v_cmp_eq_u16_sdwa s73, v93, v116 src0_sel:BYTE_0 src1_sel:DWORD
	s_mov_b32 s16, -1
	s_and_saveexec_b32 s72, s73
; %bb.1671:                             ;   in Loop: Header=BB4_1523 Depth=4
	s_xor_b32 s16, exec_lo, -1
; %bb.1672:                             ;   in Loop: Header=BB4_1523 Depth=4
	s_or_b32 exec_lo, exec_lo, s72
	s_and_b32 s16, s16, exec_lo
	s_or_saveexec_b32 s63, s63
	v_mov_b32_e32 v94, 0x7f800001
	s_xor_b32 exec_lo, exec_lo, s63
	s_cbranch_execnz .LBB4_1872
.LBB4_1673:                             ;   in Loop: Header=BB4_1523 Depth=4
	s_or_b32 exec_lo, exec_lo, s63
	s_and_saveexec_b32 s63, s16
	s_cbranch_execz .LBB4_1675
.LBB4_1674:                             ;   in Loop: Header=BB4_1523 Depth=4
	v_and_b32_e32 v26, 3, v93
	v_lshrrev_b16 v94, 2, v93
	v_ffbh_u32_e32 v27, v26
	v_and_b32_e32 v94, 31, v94
	v_min_u32_e32 v27, 32, v27
	v_cmp_eq_u32_e32 vcc_lo, 0, v94
	v_subrev_nc_u32_e32 v104, 29, v27
	v_sub_nc_u32_e32 v27, 30, v27
	v_lshlrev_b32_e32 v104, v104, v93
	v_lshlrev_b32_e32 v93, 24, v93
	v_cndmask_b32_e32 v27, v94, v27, vcc_lo
	v_and_b32_e32 v104, 3, v104
	v_and_b32_e32 v93, 0x80000000, v93
	v_lshl_add_u32 v27, v27, 23, 0x37800000
	v_cndmask_b32_e32 v26, v26, v104, vcc_lo
	v_lshlrev_b32_e32 v26, 21, v26
	v_or3_b32 v94, v93, v27, v26
.LBB4_1675:                             ;   in Loop: Header=BB4_1523 Depth=4
	s_or_b32 exec_lo, exec_lo, s63
	v_mul_f32_e32 v94, v95, v94
	v_mov_b32_e32 v93, 0x80
	s_mov_b32 s63, exec_lo
	v_and_b32_e32 v26, 0x7f800000, v94
	v_cmpx_ne_u32_e32 0x7f800000, v26
	s_cbranch_execz .LBB4_1683
; %bb.1676:                             ;   in Loop: Header=BB4_1523 Depth=4
	v_mov_b32_e32 v93, 0
	s_mov_b32 s72, exec_lo
	v_cmpx_ne_u32_e32 0, v94
	s_cbranch_execz .LBB4_1682
; %bb.1677:                             ;   in Loop: Header=BB4_1523 Depth=4
	v_bfe_u32 v26, v94, 23, 8
	v_and_b32_e32 v27, 0x7fffff, v94
	v_sub_nc_u32_e32 v93, 0x70, v26
	v_cmp_gt_u32_e32 vcc_lo, 0x71, v26
	v_or_b32_e32 v95, 0x800000, v27
	v_cndmask_b32_e32 v93, 0, v93, vcc_lo
	v_cmp_eq_u32_e32 vcc_lo, 0, v26
	v_add_nc_u32_e32 v26, 0xffffff91, v26
	v_cndmask_b32_e64 v93, v93, 0x6f, vcc_lo
	v_cndmask_b32_e32 v27, v95, v27, vcc_lo
	v_cndmask_b32_e64 v26, v26, 0xffffff92, vcc_lo
	v_lshl_add_u32 v104, 0x200000, v93, -1
	v_lshrrev_b32_e32 v95, v93, v27
	v_lshlrev_b32_e64 v106, v93, 0x100000
	v_and_b32_e32 v27, v104, v27
	v_bfe_u32 v105, v95, 21, 1
	v_cmp_eq_u32_e64 s16, v27, v106
	v_add_nc_u32_e32 v104, -1, v105
	v_lshrrev_b32_e32 v105, 23, v95
	v_cndmask_b32_e64 v27, 0, v104, s16
	v_add_nc_u32_e32 v104, v93, v26
	v_xor_b32_e32 v105, 1, v105
	s_mov_b32 s16, exec_lo
                                        ; implicit-def: $vgpr93
	v_add_nc_u32_e32 v27, v27, v95
	v_and_b32_e32 v26, 0x1fffff, v27
	v_add_nc_u32_e32 v95, v26, v95
	v_cmpx_ne_u32_e64 v104, v105
	s_xor_b32 s16, exec_lo, s16
; %bb.1678:                             ;   in Loop: Header=BB4_1523 Depth=4
	v_cmp_lt_u32_e32 vcc_lo, 0xffffff, v95
	v_sub_nc_u32_e32 v26, v104, v105
	v_cndmask_b32_e64 v27, 0, 1, vcc_lo
	v_add_co_ci_u32_e64 v93, null, 0, v26, vcc_lo
	v_lshrrev_b32_e32 v95, v27, v95
; %bb.1679:                             ;   in Loop: Header=BB4_1523 Depth=4
	s_andn2_saveexec_b32 s16, s16
; %bb.1680:                             ;   in Loop: Header=BB4_1523 Depth=4
	v_bfe_u32 v93, v95, 23, 1
; %bb.1681:                             ;   in Loop: Header=BB4_1523 Depth=4
	s_or_b32 exec_lo, exec_lo, s16
	v_lshrrev_b32_e32 v26, 21, v95
	v_cmp_gt_i32_e32 vcc_lo, 32, v93
	v_min_i32_e32 v27, 31, v93
	v_and_b32_sdwa v94, v94, v116 dst_sel:DWORD dst_unused:UNUSED_PAD src0_sel:BYTE_3 src1_sel:DWORD
	v_cndmask_b32_e32 v26, 3, v26, vcc_lo
	v_lshlrev_b32_e32 v27, 2, v27
	v_and_b32_e32 v95, 3, v26
	v_or_b32_e32 v26, v93, v26
	v_or3_b32 v27, v27, v94, v95
	v_cmp_ne_u32_e32 vcc_lo, 0, v26
	v_cndmask_b32_e32 v93, 0, v27, vcc_lo
.LBB4_1682:                             ;   in Loop: Header=BB4_1523 Depth=4
	s_or_b32 exec_lo, exec_lo, s72
.LBB4_1683:                             ;   in Loop: Header=BB4_1523 Depth=4
	s_or_b32 exec_lo, exec_lo, s63
	v_cmp_gt_i16_sdwa s63, v92, v115 src0_sel:BYTE_0 src1_sel:DWORD
	s_mov_b32 s16, 0
	s_and_saveexec_b32 s72, s63
	s_xor_b32 s63, exec_lo, s72
	s_cbranch_execz .LBB4_1873
; %bb.1684:                             ;   in Loop: Header=BB4_1523 Depth=4
	v_cmp_eq_u16_sdwa s73, v92, v116 src0_sel:BYTE_0 src1_sel:DWORD
	s_mov_b32 s16, -1
	s_and_saveexec_b32 s72, s73
; %bb.1685:                             ;   in Loop: Header=BB4_1523 Depth=4
	s_xor_b32 s16, exec_lo, -1
; %bb.1686:                             ;   in Loop: Header=BB4_1523 Depth=4
	s_or_b32 exec_lo, exec_lo, s72
	s_and_b32 s16, s16, exec_lo
	s_or_saveexec_b32 s63, s63
	v_mov_b32_e32 v94, 0x7f800001
	s_xor_b32 exec_lo, exec_lo, s63
	s_cbranch_execnz .LBB4_1874
.LBB4_1687:                             ;   in Loop: Header=BB4_1523 Depth=4
	s_or_b32 exec_lo, exec_lo, s63
	s_and_saveexec_b32 s63, s16
	s_cbranch_execz .LBB4_1689
.LBB4_1688:                             ;   in Loop: Header=BB4_1523 Depth=4
	v_and_b32_e32 v26, 3, v92
	v_lshrrev_b16 v94, 2, v92
	v_ffbh_u32_e32 v27, v26
	v_and_b32_e32 v94, 31, v94
	v_min_u32_e32 v27, 32, v27
	v_cmp_eq_u32_e32 vcc_lo, 0, v94
	v_subrev_nc_u32_e32 v95, 29, v27
	v_sub_nc_u32_e32 v27, 30, v27
	v_lshlrev_b32_e32 v95, v95, v92
	v_lshlrev_b32_e32 v92, 24, v92
	v_cndmask_b32_e32 v27, v94, v27, vcc_lo
	v_and_b32_e32 v95, 3, v95
	v_and_b32_e32 v92, 0x80000000, v92
	v_lshl_add_u32 v27, v27, 23, 0x37800000
	v_cndmask_b32_e32 v26, v26, v95, vcc_lo
	v_lshlrev_b32_e32 v26, 21, v26
	v_or3_b32 v94, v92, v27, v26
.LBB4_1689:                             ;   in Loop: Header=BB4_1523 Depth=4
	s_or_b32 exec_lo, exec_lo, s63
	s_waitcnt vmcnt(7) lgkmcnt(7)
	v_cmp_gt_i16_sdwa s63, v91, v115 src0_sel:BYTE_0 src1_sel:DWORD
	s_mov_b32 s16, 0
	s_and_saveexec_b32 s72, s63
	s_xor_b32 s63, exec_lo, s72
	s_cbranch_execz .LBB4_1875
; %bb.1690:                             ;   in Loop: Header=BB4_1523 Depth=4
	v_cmp_eq_u16_sdwa s73, v91, v116 src0_sel:BYTE_0 src1_sel:DWORD
	s_mov_b32 s16, -1
	s_and_saveexec_b32 s72, s73
; %bb.1691:                             ;   in Loop: Header=BB4_1523 Depth=4
	s_xor_b32 s16, exec_lo, -1
; %bb.1692:                             ;   in Loop: Header=BB4_1523 Depth=4
	s_or_b32 exec_lo, exec_lo, s72
	s_and_b32 s16, s16, exec_lo
	s_or_saveexec_b32 s63, s63
	v_mov_b32_e32 v92, 0x7f800001
	s_xor_b32 exec_lo, exec_lo, s63
	s_cbranch_execnz .LBB4_1876
.LBB4_1693:                             ;   in Loop: Header=BB4_1523 Depth=4
	s_or_b32 exec_lo, exec_lo, s63
	s_and_saveexec_b32 s63, s16
	s_cbranch_execz .LBB4_1695
.LBB4_1694:                             ;   in Loop: Header=BB4_1523 Depth=4
	v_and_b32_e32 v26, 3, v91
	v_lshrrev_b16 v92, 2, v91
	v_ffbh_u32_e32 v27, v26
	v_and_b32_e32 v92, 31, v92
	v_min_u32_e32 v27, 32, v27
	v_cmp_eq_u32_e32 vcc_lo, 0, v92
	v_subrev_nc_u32_e32 v95, 29, v27
	v_sub_nc_u32_e32 v27, 30, v27
	v_lshlrev_b32_e32 v95, v95, v91
	v_lshlrev_b32_e32 v91, 24, v91
	v_cndmask_b32_e32 v27, v92, v27, vcc_lo
	v_and_b32_e32 v95, 3, v95
	v_and_b32_e32 v91, 0x80000000, v91
	v_lshl_add_u32 v27, v27, 23, 0x37800000
	v_cndmask_b32_e32 v26, v26, v95, vcc_lo
	v_lshlrev_b32_e32 v26, 21, v26
	v_or3_b32 v92, v91, v27, v26
.LBB4_1695:                             ;   in Loop: Header=BB4_1523 Depth=4
	s_or_b32 exec_lo, exec_lo, s63
	v_mul_f32_e32 v92, v94, v92
	v_mov_b32_e32 v91, 0x80
	s_mov_b32 s63, exec_lo
	v_and_b32_e32 v26, 0x7f800000, v92
	v_cmpx_ne_u32_e32 0x7f800000, v26
	s_cbranch_execz .LBB4_1703
; %bb.1696:                             ;   in Loop: Header=BB4_1523 Depth=4
	v_mov_b32_e32 v91, 0
	s_mov_b32 s72, exec_lo
	v_cmpx_ne_u32_e32 0, v92
	s_cbranch_execz .LBB4_1702
; %bb.1697:                             ;   in Loop: Header=BB4_1523 Depth=4
	v_bfe_u32 v26, v92, 23, 8
	v_and_b32_e32 v27, 0x7fffff, v92
	v_sub_nc_u32_e32 v91, 0x70, v26
	v_cmp_gt_u32_e32 vcc_lo, 0x71, v26
	v_or_b32_e32 v94, 0x800000, v27
	v_cndmask_b32_e32 v91, 0, v91, vcc_lo
	v_cmp_eq_u32_e32 vcc_lo, 0, v26
	v_add_nc_u32_e32 v26, 0xffffff91, v26
	v_cndmask_b32_e64 v91, v91, 0x6f, vcc_lo
	v_cndmask_b32_e32 v27, v94, v27, vcc_lo
	v_cndmask_b32_e64 v26, v26, 0xffffff92, vcc_lo
	v_lshl_add_u32 v95, 0x200000, v91, -1
	v_lshrrev_b32_e32 v94, v91, v27
	v_lshlrev_b32_e64 v105, v91, 0x100000
	v_and_b32_e32 v27, v95, v27
	v_bfe_u32 v104, v94, 21, 1
	v_cmp_eq_u32_e64 s16, v27, v105
	v_add_nc_u32_e32 v95, -1, v104
	v_lshrrev_b32_e32 v104, 23, v94
	v_cndmask_b32_e64 v27, 0, v95, s16
	v_add_nc_u32_e32 v95, v91, v26
	v_xor_b32_e32 v104, 1, v104
	s_mov_b32 s16, exec_lo
                                        ; implicit-def: $vgpr91
	v_add_nc_u32_e32 v27, v27, v94
	v_and_b32_e32 v26, 0x1fffff, v27
	v_add_nc_u32_e32 v94, v26, v94
	v_cmpx_ne_u32_e64 v95, v104
	s_xor_b32 s16, exec_lo, s16
; %bb.1698:                             ;   in Loop: Header=BB4_1523 Depth=4
	v_cmp_lt_u32_e32 vcc_lo, 0xffffff, v94
	v_sub_nc_u32_e32 v26, v95, v104
	v_cndmask_b32_e64 v27, 0, 1, vcc_lo
	v_add_co_ci_u32_e64 v91, null, 0, v26, vcc_lo
	v_lshrrev_b32_e32 v94, v27, v94
; %bb.1699:                             ;   in Loop: Header=BB4_1523 Depth=4
	s_andn2_saveexec_b32 s16, s16
; %bb.1700:                             ;   in Loop: Header=BB4_1523 Depth=4
	v_bfe_u32 v91, v94, 23, 1
; %bb.1701:                             ;   in Loop: Header=BB4_1523 Depth=4
	s_or_b32 exec_lo, exec_lo, s16
	v_lshrrev_b32_e32 v26, 21, v94
	v_cmp_gt_i32_e32 vcc_lo, 32, v91
	v_min_i32_e32 v27, 31, v91
	v_and_b32_sdwa v92, v92, v116 dst_sel:DWORD dst_unused:UNUSED_PAD src0_sel:BYTE_3 src1_sel:DWORD
	v_cndmask_b32_e32 v26, 3, v26, vcc_lo
	v_lshlrev_b32_e32 v27, 2, v27
	v_and_b32_e32 v94, 3, v26
	v_or_b32_e32 v26, v91, v26
	v_or3_b32 v27, v27, v92, v94
	v_cmp_ne_u32_e32 vcc_lo, 0, v26
	v_cndmask_b32_e32 v91, 0, v27, vcc_lo
.LBB4_1702:                             ;   in Loop: Header=BB4_1523 Depth=4
	s_or_b32 exec_lo, exec_lo, s72
.LBB4_1703:                             ;   in Loop: Header=BB4_1523 Depth=4
	s_or_b32 exec_lo, exec_lo, s63
	v_cmp_gt_i16_sdwa s63, v89, v115 src0_sel:BYTE_0 src1_sel:DWORD
	s_mov_b32 s16, 0
	s_and_saveexec_b32 s72, s63
	s_xor_b32 s63, exec_lo, s72
	s_cbranch_execz .LBB4_1877
; %bb.1704:                             ;   in Loop: Header=BB4_1523 Depth=4
	v_cmp_eq_u16_sdwa s73, v89, v116 src0_sel:BYTE_0 src1_sel:DWORD
	s_mov_b32 s16, -1
	s_and_saveexec_b32 s72, s73
; %bb.1705:                             ;   in Loop: Header=BB4_1523 Depth=4
	s_xor_b32 s16, exec_lo, -1
; %bb.1706:                             ;   in Loop: Header=BB4_1523 Depth=4
	s_or_b32 exec_lo, exec_lo, s72
	s_and_b32 s16, s16, exec_lo
	s_or_saveexec_b32 s63, s63
	v_mov_b32_e32 v92, 0x7f800001
	s_xor_b32 exec_lo, exec_lo, s63
	s_cbranch_execnz .LBB4_1878
.LBB4_1707:                             ;   in Loop: Header=BB4_1523 Depth=4
	s_or_b32 exec_lo, exec_lo, s63
	s_and_saveexec_b32 s63, s16
	s_cbranch_execz .LBB4_1709
.LBB4_1708:                             ;   in Loop: Header=BB4_1523 Depth=4
	v_and_b32_e32 v26, 3, v89
	v_lshrrev_b16 v92, 2, v89
	v_ffbh_u32_e32 v27, v26
	v_and_b32_e32 v92, 31, v92
	v_min_u32_e32 v27, 32, v27
	v_cmp_eq_u32_e32 vcc_lo, 0, v92
	v_subrev_nc_u32_e32 v94, 29, v27
	v_sub_nc_u32_e32 v27, 30, v27
	v_lshlrev_b32_e32 v94, v94, v89
	v_lshlrev_b32_e32 v89, 24, v89
	v_cndmask_b32_e32 v27, v92, v27, vcc_lo
	v_and_b32_e32 v94, 3, v94
	v_and_b32_e32 v89, 0x80000000, v89
	v_lshl_add_u32 v27, v27, 23, 0x37800000
	v_cndmask_b32_e32 v26, v26, v94, vcc_lo
	v_lshlrev_b32_e32 v26, 21, v26
	v_or3_b32 v92, v89, v27, v26
.LBB4_1709:                             ;   in Loop: Header=BB4_1523 Depth=4
	s_or_b32 exec_lo, exec_lo, s63
	s_waitcnt vmcnt(6) lgkmcnt(6)
	v_cmp_gt_i16_sdwa s63, v88, v115 src0_sel:BYTE_0 src1_sel:DWORD
	s_mov_b32 s16, 0
	s_and_saveexec_b32 s72, s63
	s_xor_b32 s63, exec_lo, s72
	s_cbranch_execz .LBB4_1879
; %bb.1710:                             ;   in Loop: Header=BB4_1523 Depth=4
	v_cmp_eq_u16_sdwa s73, v88, v116 src0_sel:BYTE_0 src1_sel:DWORD
	s_mov_b32 s16, -1
	s_and_saveexec_b32 s72, s73
; %bb.1711:                             ;   in Loop: Header=BB4_1523 Depth=4
	s_xor_b32 s16, exec_lo, -1
; %bb.1712:                             ;   in Loop: Header=BB4_1523 Depth=4
	s_or_b32 exec_lo, exec_lo, s72
	s_and_b32 s16, s16, exec_lo
	s_or_saveexec_b32 s63, s63
	v_mov_b32_e32 v89, 0x7f800001
	s_xor_b32 exec_lo, exec_lo, s63
	s_cbranch_execnz .LBB4_1880
.LBB4_1713:                             ;   in Loop: Header=BB4_1523 Depth=4
	s_or_b32 exec_lo, exec_lo, s63
	s_and_saveexec_b32 s63, s16
	s_cbranch_execz .LBB4_1715
.LBB4_1714:                             ;   in Loop: Header=BB4_1523 Depth=4
	v_and_b32_e32 v26, 3, v88
	v_lshrrev_b16 v89, 2, v88
	v_ffbh_u32_e32 v27, v26
	v_and_b32_e32 v89, 31, v89
	v_min_u32_e32 v27, 32, v27
	v_cmp_eq_u32_e32 vcc_lo, 0, v89
	v_subrev_nc_u32_e32 v94, 29, v27
	v_sub_nc_u32_e32 v27, 30, v27
	v_lshlrev_b32_e32 v94, v94, v88
	v_lshlrev_b32_e32 v88, 24, v88
	v_cndmask_b32_e32 v27, v89, v27, vcc_lo
	v_and_b32_e32 v94, 3, v94
	v_and_b32_e32 v88, 0x80000000, v88
	v_lshl_add_u32 v27, v27, 23, 0x37800000
	v_cndmask_b32_e32 v26, v26, v94, vcc_lo
	v_lshlrev_b32_e32 v26, 21, v26
	v_or3_b32 v89, v88, v27, v26
.LBB4_1715:                             ;   in Loop: Header=BB4_1523 Depth=4
	s_or_b32 exec_lo, exec_lo, s63
	v_mul_f32_e32 v89, v92, v89
	v_mov_b32_e32 v88, 0x80
	s_mov_b32 s63, exec_lo
	v_and_b32_e32 v26, 0x7f800000, v89
	v_cmpx_ne_u32_e32 0x7f800000, v26
	s_cbranch_execz .LBB4_1723
; %bb.1716:                             ;   in Loop: Header=BB4_1523 Depth=4
	v_mov_b32_e32 v88, 0
	s_mov_b32 s72, exec_lo
	v_cmpx_ne_u32_e32 0, v89
	s_cbranch_execz .LBB4_1722
; %bb.1717:                             ;   in Loop: Header=BB4_1523 Depth=4
	v_bfe_u32 v26, v89, 23, 8
	v_and_b32_e32 v27, 0x7fffff, v89
	v_sub_nc_u32_e32 v88, 0x70, v26
	v_cmp_gt_u32_e32 vcc_lo, 0x71, v26
	v_or_b32_e32 v92, 0x800000, v27
	v_cndmask_b32_e32 v88, 0, v88, vcc_lo
	v_cmp_eq_u32_e32 vcc_lo, 0, v26
	v_add_nc_u32_e32 v26, 0xffffff91, v26
	v_cndmask_b32_e64 v88, v88, 0x6f, vcc_lo
	v_cndmask_b32_e32 v27, v92, v27, vcc_lo
	v_cndmask_b32_e64 v26, v26, 0xffffff92, vcc_lo
	v_lshl_add_u32 v94, 0x200000, v88, -1
	v_lshrrev_b32_e32 v92, v88, v27
	v_lshlrev_b32_e64 v104, v88, 0x100000
	v_and_b32_e32 v27, v94, v27
	v_bfe_u32 v95, v92, 21, 1
	v_cmp_eq_u32_e64 s16, v27, v104
	v_add_nc_u32_e32 v94, -1, v95
	v_lshrrev_b32_e32 v95, 23, v92
	v_cndmask_b32_e64 v27, 0, v94, s16
	v_add_nc_u32_e32 v94, v88, v26
	v_xor_b32_e32 v95, 1, v95
	s_mov_b32 s16, exec_lo
                                        ; implicit-def: $vgpr88
	v_add_nc_u32_e32 v27, v27, v92
	v_and_b32_e32 v26, 0x1fffff, v27
	v_add_nc_u32_e32 v92, v26, v92
	v_cmpx_ne_u32_e64 v94, v95
	s_xor_b32 s16, exec_lo, s16
; %bb.1718:                             ;   in Loop: Header=BB4_1523 Depth=4
	v_cmp_lt_u32_e32 vcc_lo, 0xffffff, v92
	v_sub_nc_u32_e32 v26, v94, v95
	v_cndmask_b32_e64 v27, 0, 1, vcc_lo
	v_add_co_ci_u32_e64 v88, null, 0, v26, vcc_lo
	v_lshrrev_b32_e32 v92, v27, v92
; %bb.1719:                             ;   in Loop: Header=BB4_1523 Depth=4
	s_andn2_saveexec_b32 s16, s16
; %bb.1720:                             ;   in Loop: Header=BB4_1523 Depth=4
	v_bfe_u32 v88, v92, 23, 1
; %bb.1721:                             ;   in Loop: Header=BB4_1523 Depth=4
	s_or_b32 exec_lo, exec_lo, s16
	v_lshrrev_b32_e32 v26, 21, v92
	v_cmp_gt_i32_e32 vcc_lo, 32, v88
	v_min_i32_e32 v27, 31, v88
	v_and_b32_sdwa v89, v89, v116 dst_sel:DWORD dst_unused:UNUSED_PAD src0_sel:BYTE_3 src1_sel:DWORD
	v_cndmask_b32_e32 v26, 3, v26, vcc_lo
	v_lshlrev_b32_e32 v27, 2, v27
	v_and_b32_e32 v92, 3, v26
	v_or_b32_e32 v26, v88, v26
	v_or3_b32 v27, v27, v89, v92
	v_cmp_ne_u32_e32 vcc_lo, 0, v26
	v_cndmask_b32_e32 v88, 0, v27, vcc_lo
.LBB4_1722:                             ;   in Loop: Header=BB4_1523 Depth=4
	s_or_b32 exec_lo, exec_lo, s72
.LBB4_1723:                             ;   in Loop: Header=BB4_1523 Depth=4
	s_or_b32 exec_lo, exec_lo, s63
	v_cmp_gt_i16_sdwa s63, v78, v115 src0_sel:BYTE_0 src1_sel:DWORD
	s_mov_b32 s16, 0
	s_and_saveexec_b32 s72, s63
	s_xor_b32 s63, exec_lo, s72
	s_cbranch_execz .LBB4_1881
; %bb.1724:                             ;   in Loop: Header=BB4_1523 Depth=4
	v_cmp_eq_u16_sdwa s73, v78, v116 src0_sel:BYTE_0 src1_sel:DWORD
	s_mov_b32 s16, -1
	s_and_saveexec_b32 s72, s73
; %bb.1725:                             ;   in Loop: Header=BB4_1523 Depth=4
	s_xor_b32 s16, exec_lo, -1
; %bb.1726:                             ;   in Loop: Header=BB4_1523 Depth=4
	s_or_b32 exec_lo, exec_lo, s72
	s_and_b32 s16, s16, exec_lo
	s_or_saveexec_b32 s63, s63
	v_mov_b32_e32 v89, 0x7f800001
	s_xor_b32 exec_lo, exec_lo, s63
	s_cbranch_execnz .LBB4_1882
.LBB4_1727:                             ;   in Loop: Header=BB4_1523 Depth=4
	s_or_b32 exec_lo, exec_lo, s63
	s_and_saveexec_b32 s63, s16
	s_cbranch_execz .LBB4_1729
.LBB4_1728:                             ;   in Loop: Header=BB4_1523 Depth=4
	v_and_b32_e32 v26, 3, v78
	v_lshrrev_b16 v89, 2, v78
	v_ffbh_u32_e32 v27, v26
	v_and_b32_e32 v89, 31, v89
	v_min_u32_e32 v27, 32, v27
	v_cmp_eq_u32_e32 vcc_lo, 0, v89
	v_subrev_nc_u32_e32 v92, 29, v27
	v_sub_nc_u32_e32 v27, 30, v27
	v_lshlrev_b32_e32 v92, v92, v78
	v_lshlrev_b32_e32 v78, 24, v78
	v_cndmask_b32_e32 v27, v89, v27, vcc_lo
	v_and_b32_e32 v92, 3, v92
	v_and_b32_e32 v78, 0x80000000, v78
	v_lshl_add_u32 v27, v27, 23, 0x37800000
	v_cndmask_b32_e32 v26, v26, v92, vcc_lo
	v_lshlrev_b32_e32 v26, 21, v26
	v_or3_b32 v89, v78, v27, v26
.LBB4_1729:                             ;   in Loop: Header=BB4_1523 Depth=4
	s_or_b32 exec_lo, exec_lo, s63
	s_waitcnt vmcnt(5) lgkmcnt(5)
	v_cmp_gt_i16_sdwa s63, v77, v115 src0_sel:BYTE_0 src1_sel:DWORD
	s_mov_b32 s16, 0
	s_and_saveexec_b32 s72, s63
	s_xor_b32 s63, exec_lo, s72
	s_cbranch_execz .LBB4_1883
; %bb.1730:                             ;   in Loop: Header=BB4_1523 Depth=4
	v_cmp_eq_u16_sdwa s73, v77, v116 src0_sel:BYTE_0 src1_sel:DWORD
	s_mov_b32 s16, -1
	s_and_saveexec_b32 s72, s73
; %bb.1731:                             ;   in Loop: Header=BB4_1523 Depth=4
	s_xor_b32 s16, exec_lo, -1
; %bb.1732:                             ;   in Loop: Header=BB4_1523 Depth=4
	s_or_b32 exec_lo, exec_lo, s72
	s_and_b32 s16, s16, exec_lo
	s_or_saveexec_b32 s63, s63
	v_mov_b32_e32 v78, 0x7f800001
	s_xor_b32 exec_lo, exec_lo, s63
	s_cbranch_execnz .LBB4_1884
.LBB4_1733:                             ;   in Loop: Header=BB4_1523 Depth=4
	s_or_b32 exec_lo, exec_lo, s63
	s_and_saveexec_b32 s63, s16
	s_cbranch_execz .LBB4_1735
.LBB4_1734:                             ;   in Loop: Header=BB4_1523 Depth=4
	v_and_b32_e32 v26, 3, v77
	v_lshrrev_b16 v78, 2, v77
	v_ffbh_u32_e32 v27, v26
	v_and_b32_e32 v78, 31, v78
	v_min_u32_e32 v27, 32, v27
	v_cmp_eq_u32_e32 vcc_lo, 0, v78
	v_subrev_nc_u32_e32 v92, 29, v27
	v_sub_nc_u32_e32 v27, 30, v27
	v_lshlrev_b32_e32 v92, v92, v77
	v_lshlrev_b32_e32 v77, 24, v77
	v_cndmask_b32_e32 v27, v78, v27, vcc_lo
	v_and_b32_e32 v92, 3, v92
	v_and_b32_e32 v77, 0x80000000, v77
	v_lshl_add_u32 v27, v27, 23, 0x37800000
	v_cndmask_b32_e32 v26, v26, v92, vcc_lo
	v_lshlrev_b32_e32 v26, 21, v26
	v_or3_b32 v78, v77, v27, v26
.LBB4_1735:                             ;   in Loop: Header=BB4_1523 Depth=4
	s_or_b32 exec_lo, exec_lo, s63
	v_mul_f32_e32 v78, v89, v78
	v_mov_b32_e32 v77, 0x80
	s_mov_b32 s63, exec_lo
	v_and_b32_e32 v26, 0x7f800000, v78
	v_cmpx_ne_u32_e32 0x7f800000, v26
	s_cbranch_execz .LBB4_1743
; %bb.1736:                             ;   in Loop: Header=BB4_1523 Depth=4
	v_mov_b32_e32 v77, 0
	s_mov_b32 s72, exec_lo
	v_cmpx_ne_u32_e32 0, v78
	s_cbranch_execz .LBB4_1742
; %bb.1737:                             ;   in Loop: Header=BB4_1523 Depth=4
	v_bfe_u32 v26, v78, 23, 8
	v_and_b32_e32 v27, 0x7fffff, v78
	v_sub_nc_u32_e32 v77, 0x70, v26
	v_cmp_gt_u32_e32 vcc_lo, 0x71, v26
	v_or_b32_e32 v89, 0x800000, v27
	v_cndmask_b32_e32 v77, 0, v77, vcc_lo
	v_cmp_eq_u32_e32 vcc_lo, 0, v26
	v_add_nc_u32_e32 v26, 0xffffff91, v26
	v_cndmask_b32_e64 v77, v77, 0x6f, vcc_lo
	v_cndmask_b32_e32 v27, v89, v27, vcc_lo
	v_cndmask_b32_e64 v26, v26, 0xffffff92, vcc_lo
	v_lshl_add_u32 v92, 0x200000, v77, -1
	v_lshrrev_b32_e32 v89, v77, v27
	v_lshlrev_b32_e64 v95, v77, 0x100000
	v_and_b32_e32 v27, v92, v27
	v_bfe_u32 v94, v89, 21, 1
	v_cmp_eq_u32_e64 s16, v27, v95
	v_add_nc_u32_e32 v92, -1, v94
	v_lshrrev_b32_e32 v94, 23, v89
	v_cndmask_b32_e64 v27, 0, v92, s16
	v_add_nc_u32_e32 v92, v77, v26
	v_xor_b32_e32 v94, 1, v94
	s_mov_b32 s16, exec_lo
                                        ; implicit-def: $vgpr77
	v_add_nc_u32_e32 v27, v27, v89
	v_and_b32_e32 v26, 0x1fffff, v27
	v_add_nc_u32_e32 v89, v26, v89
	v_cmpx_ne_u32_e64 v92, v94
	s_xor_b32 s16, exec_lo, s16
; %bb.1738:                             ;   in Loop: Header=BB4_1523 Depth=4
	v_cmp_lt_u32_e32 vcc_lo, 0xffffff, v89
	v_sub_nc_u32_e32 v26, v92, v94
	v_cndmask_b32_e64 v27, 0, 1, vcc_lo
	v_add_co_ci_u32_e64 v77, null, 0, v26, vcc_lo
	v_lshrrev_b32_e32 v89, v27, v89
; %bb.1739:                             ;   in Loop: Header=BB4_1523 Depth=4
	s_andn2_saveexec_b32 s16, s16
; %bb.1740:                             ;   in Loop: Header=BB4_1523 Depth=4
	v_bfe_u32 v77, v89, 23, 1
; %bb.1741:                             ;   in Loop: Header=BB4_1523 Depth=4
	s_or_b32 exec_lo, exec_lo, s16
	v_lshrrev_b32_e32 v26, 21, v89
	v_cmp_gt_i32_e32 vcc_lo, 32, v77
	v_min_i32_e32 v27, 31, v77
	v_and_b32_sdwa v78, v78, v116 dst_sel:DWORD dst_unused:UNUSED_PAD src0_sel:BYTE_3 src1_sel:DWORD
	v_cndmask_b32_e32 v26, 3, v26, vcc_lo
	v_lshlrev_b32_e32 v27, 2, v27
	v_and_b32_e32 v89, 3, v26
	v_or_b32_e32 v26, v77, v26
	v_or3_b32 v27, v27, v78, v89
	v_cmp_ne_u32_e32 vcc_lo, 0, v26
	v_cndmask_b32_e32 v77, 0, v27, vcc_lo
.LBB4_1742:                             ;   in Loop: Header=BB4_1523 Depth=4
	s_or_b32 exec_lo, exec_lo, s72
.LBB4_1743:                             ;   in Loop: Header=BB4_1523 Depth=4
	s_or_b32 exec_lo, exec_lo, s63
	v_cmp_gt_i16_sdwa s63, v96, v115 src0_sel:BYTE_0 src1_sel:DWORD
	s_mov_b32 s16, 0
	s_and_saveexec_b32 s72, s63
	s_xor_b32 s63, exec_lo, s72
	s_cbranch_execz .LBB4_1885
; %bb.1744:                             ;   in Loop: Header=BB4_1523 Depth=4
	v_cmp_eq_u16_sdwa s73, v96, v116 src0_sel:BYTE_0 src1_sel:DWORD
	s_mov_b32 s16, -1
	s_and_saveexec_b32 s72, s73
; %bb.1745:                             ;   in Loop: Header=BB4_1523 Depth=4
	s_xor_b32 s16, exec_lo, -1
; %bb.1746:                             ;   in Loop: Header=BB4_1523 Depth=4
	s_or_b32 exec_lo, exec_lo, s72
	s_and_b32 s16, s16, exec_lo
	s_or_saveexec_b32 s63, s63
	v_mov_b32_e32 v78, 0x7f800001
	s_xor_b32 exec_lo, exec_lo, s63
	s_cbranch_execnz .LBB4_1886
.LBB4_1747:                             ;   in Loop: Header=BB4_1523 Depth=4
	s_or_b32 exec_lo, exec_lo, s63
	s_and_saveexec_b32 s63, s16
	s_cbranch_execz .LBB4_1749
.LBB4_1748:                             ;   in Loop: Header=BB4_1523 Depth=4
	v_and_b32_e32 v26, 3, v96
	v_lshrrev_b16 v78, 2, v96
	v_ffbh_u32_e32 v27, v26
	v_and_b32_e32 v78, 31, v78
	v_min_u32_e32 v27, 32, v27
	v_cmp_eq_u32_e32 vcc_lo, 0, v78
	v_subrev_nc_u32_e32 v89, 29, v27
	v_sub_nc_u32_e32 v27, 30, v27
	v_lshlrev_b32_e32 v89, v89, v96
	v_lshlrev_b32_e32 v96, 24, v96
	v_cndmask_b32_e32 v27, v78, v27, vcc_lo
	v_and_b32_e32 v89, 3, v89
	v_and_b32_e32 v96, 0x80000000, v96
	v_lshl_add_u32 v27, v27, 23, 0x37800000
	v_cndmask_b32_e32 v26, v26, v89, vcc_lo
	v_lshlrev_b32_e32 v26, 21, v26
	v_or3_b32 v78, v96, v27, v26
.LBB4_1749:                             ;   in Loop: Header=BB4_1523 Depth=4
	s_or_b32 exec_lo, exec_lo, s63
	s_waitcnt vmcnt(4) lgkmcnt(4)
	v_cmp_gt_i16_sdwa s63, v87, v115 src0_sel:BYTE_0 src1_sel:DWORD
	s_mov_b32 s16, 0
	s_and_saveexec_b32 s72, s63
	s_xor_b32 s63, exec_lo, s72
	s_cbranch_execz .LBB4_1887
; %bb.1750:                             ;   in Loop: Header=BB4_1523 Depth=4
	v_cmp_eq_u16_sdwa s73, v87, v116 src0_sel:BYTE_0 src1_sel:DWORD
	s_mov_b32 s16, -1
	s_and_saveexec_b32 s72, s73
; %bb.1751:                             ;   in Loop: Header=BB4_1523 Depth=4
	s_xor_b32 s16, exec_lo, -1
; %bb.1752:                             ;   in Loop: Header=BB4_1523 Depth=4
	s_or_b32 exec_lo, exec_lo, s72
	s_and_b32 s16, s16, exec_lo
	s_or_saveexec_b32 s63, s63
	v_mov_b32_e32 v96, 0x7f800001
	s_xor_b32 exec_lo, exec_lo, s63
	s_cbranch_execnz .LBB4_1888
.LBB4_1753:                             ;   in Loop: Header=BB4_1523 Depth=4
	s_or_b32 exec_lo, exec_lo, s63
	s_and_saveexec_b32 s63, s16
	s_cbranch_execz .LBB4_1755
.LBB4_1754:                             ;   in Loop: Header=BB4_1523 Depth=4
	v_and_b32_e32 v26, 3, v87
	v_lshrrev_b16 v96, 2, v87
	v_ffbh_u32_e32 v27, v26
	v_and_b32_e32 v96, 31, v96
	v_min_u32_e32 v27, 32, v27
	v_cmp_eq_u32_e32 vcc_lo, 0, v96
	v_subrev_nc_u32_e32 v89, 29, v27
	v_sub_nc_u32_e32 v27, 30, v27
	v_lshlrev_b32_e32 v89, v89, v87
	v_lshlrev_b32_e32 v87, 24, v87
	v_cndmask_b32_e32 v27, v96, v27, vcc_lo
	v_and_b32_e32 v89, 3, v89
	v_and_b32_e32 v87, 0x80000000, v87
	v_lshl_add_u32 v27, v27, 23, 0x37800000
	v_cndmask_b32_e32 v26, v26, v89, vcc_lo
	v_lshlrev_b32_e32 v26, 21, v26
	v_or3_b32 v96, v87, v27, v26
.LBB4_1755:                             ;   in Loop: Header=BB4_1523 Depth=4
	s_or_b32 exec_lo, exec_lo, s63
	v_mul_f32_e32 v96, v78, v96
	v_mov_b32_e32 v87, 0x80
	s_mov_b32 s63, exec_lo
	v_and_b32_e32 v26, 0x7f800000, v96
	v_cmpx_ne_u32_e32 0x7f800000, v26
	s_cbranch_execz .LBB4_1763
; %bb.1756:                             ;   in Loop: Header=BB4_1523 Depth=4
	v_mov_b32_e32 v87, 0
	s_mov_b32 s72, exec_lo
	v_cmpx_ne_u32_e32 0, v96
	s_cbranch_execz .LBB4_1762
; %bb.1757:                             ;   in Loop: Header=BB4_1523 Depth=4
	v_bfe_u32 v26, v96, 23, 8
	v_and_b32_e32 v27, 0x7fffff, v96
	v_sub_nc_u32_e32 v87, 0x70, v26
	v_cmp_gt_u32_e32 vcc_lo, 0x71, v26
	v_or_b32_e32 v78, 0x800000, v27
	v_cndmask_b32_e32 v87, 0, v87, vcc_lo
	v_cmp_eq_u32_e32 vcc_lo, 0, v26
	v_add_nc_u32_e32 v26, 0xffffff91, v26
	v_cndmask_b32_e64 v87, v87, 0x6f, vcc_lo
	v_cndmask_b32_e32 v27, v78, v27, vcc_lo
	v_cndmask_b32_e64 v26, v26, 0xffffff92, vcc_lo
	v_lshl_add_u32 v89, 0x200000, v87, -1
	v_lshrrev_b32_e32 v78, v87, v27
	v_lshlrev_b32_e64 v94, v87, 0x100000
	v_and_b32_e32 v27, v89, v27
	v_bfe_u32 v92, v78, 21, 1
	v_cmp_eq_u32_e64 s16, v27, v94
	v_add_nc_u32_e32 v89, -1, v92
	v_lshrrev_b32_e32 v92, 23, v78
	v_cndmask_b32_e64 v27, 0, v89, s16
	v_add_nc_u32_e32 v89, v87, v26
	v_xor_b32_e32 v92, 1, v92
	s_mov_b32 s16, exec_lo
                                        ; implicit-def: $vgpr87
	v_add_nc_u32_e32 v27, v27, v78
	v_and_b32_e32 v26, 0x1fffff, v27
	v_add_nc_u32_e32 v78, v26, v78
	v_cmpx_ne_u32_e64 v89, v92
	s_xor_b32 s16, exec_lo, s16
; %bb.1758:                             ;   in Loop: Header=BB4_1523 Depth=4
	v_cmp_lt_u32_e32 vcc_lo, 0xffffff, v78
	v_sub_nc_u32_e32 v26, v89, v92
	v_cndmask_b32_e64 v27, 0, 1, vcc_lo
	v_add_co_ci_u32_e64 v87, null, 0, v26, vcc_lo
	v_lshrrev_b32_e32 v78, v27, v78
; %bb.1759:                             ;   in Loop: Header=BB4_1523 Depth=4
	s_andn2_saveexec_b32 s16, s16
; %bb.1760:                             ;   in Loop: Header=BB4_1523 Depth=4
	v_bfe_u32 v87, v78, 23, 1
; %bb.1761:                             ;   in Loop: Header=BB4_1523 Depth=4
	s_or_b32 exec_lo, exec_lo, s16
	v_lshrrev_b32_e32 v26, 21, v78
	v_cmp_gt_i32_e32 vcc_lo, 32, v87
	v_min_i32_e32 v27, 31, v87
	v_and_b32_sdwa v96, v96, v116 dst_sel:DWORD dst_unused:UNUSED_PAD src0_sel:BYTE_3 src1_sel:DWORD
	v_cndmask_b32_e32 v26, 3, v26, vcc_lo
	v_lshlrev_b32_e32 v27, 2, v27
	v_and_b32_e32 v78, 3, v26
	v_or_b32_e32 v26, v87, v26
	v_or3_b32 v27, v27, v96, v78
	v_cmp_ne_u32_e32 vcc_lo, 0, v26
	v_cndmask_b32_e32 v87, 0, v27, vcc_lo
.LBB4_1762:                             ;   in Loop: Header=BB4_1523 Depth=4
	s_or_b32 exec_lo, exec_lo, s72
.LBB4_1763:                             ;   in Loop: Header=BB4_1523 Depth=4
	s_or_b32 exec_lo, exec_lo, s63
	v_cmp_gt_i16_sdwa s63, v85, v115 src0_sel:BYTE_0 src1_sel:DWORD
	s_mov_b32 s16, 0
	s_and_saveexec_b32 s72, s63
	s_xor_b32 s63, exec_lo, s72
	s_cbranch_execz .LBB4_1889
; %bb.1764:                             ;   in Loop: Header=BB4_1523 Depth=4
	v_cmp_eq_u16_sdwa s73, v85, v116 src0_sel:BYTE_0 src1_sel:DWORD
	s_mov_b32 s16, -1
	s_and_saveexec_b32 s72, s73
; %bb.1765:                             ;   in Loop: Header=BB4_1523 Depth=4
	s_xor_b32 s16, exec_lo, -1
; %bb.1766:                             ;   in Loop: Header=BB4_1523 Depth=4
	s_or_b32 exec_lo, exec_lo, s72
	s_and_b32 s16, s16, exec_lo
	s_or_saveexec_b32 s63, s63
	v_mov_b32_e32 v96, 0x7f800001
	s_xor_b32 exec_lo, exec_lo, s63
	s_cbranch_execnz .LBB4_1890
.LBB4_1767:                             ;   in Loop: Header=BB4_1523 Depth=4
	s_or_b32 exec_lo, exec_lo, s63
	s_and_saveexec_b32 s63, s16
	s_cbranch_execz .LBB4_1769
.LBB4_1768:                             ;   in Loop: Header=BB4_1523 Depth=4
	v_and_b32_e32 v26, 3, v85
	v_lshrrev_b16 v96, 2, v85
	v_ffbh_u32_e32 v27, v26
	v_and_b32_e32 v96, 31, v96
	v_min_u32_e32 v27, 32, v27
	v_cmp_eq_u32_e32 vcc_lo, 0, v96
	v_subrev_nc_u32_e32 v78, 29, v27
	v_sub_nc_u32_e32 v27, 30, v27
	v_lshlrev_b32_e32 v78, v78, v85
	v_lshlrev_b32_e32 v85, 24, v85
	v_cndmask_b32_e32 v27, v96, v27, vcc_lo
	v_and_b32_e32 v78, 3, v78
	v_and_b32_e32 v85, 0x80000000, v85
	v_lshl_add_u32 v27, v27, 23, 0x37800000
	v_cndmask_b32_e32 v26, v26, v78, vcc_lo
	v_lshlrev_b32_e32 v26, 21, v26
	v_or3_b32 v96, v85, v27, v26
.LBB4_1769:                             ;   in Loop: Header=BB4_1523 Depth=4
	s_or_b32 exec_lo, exec_lo, s63
	s_waitcnt vmcnt(3) lgkmcnt(3)
	v_cmp_gt_i16_sdwa s63, v84, v115 src0_sel:BYTE_0 src1_sel:DWORD
	s_mov_b32 s16, 0
	s_and_saveexec_b32 s72, s63
	s_xor_b32 s63, exec_lo, s72
	s_cbranch_execz .LBB4_1891
; %bb.1770:                             ;   in Loop: Header=BB4_1523 Depth=4
	v_cmp_eq_u16_sdwa s73, v84, v116 src0_sel:BYTE_0 src1_sel:DWORD
	s_mov_b32 s16, -1
	s_and_saveexec_b32 s72, s73
; %bb.1771:                             ;   in Loop: Header=BB4_1523 Depth=4
	s_xor_b32 s16, exec_lo, -1
; %bb.1772:                             ;   in Loop: Header=BB4_1523 Depth=4
	s_or_b32 exec_lo, exec_lo, s72
	s_and_b32 s16, s16, exec_lo
	s_or_saveexec_b32 s63, s63
	v_mov_b32_e32 v85, 0x7f800001
	s_xor_b32 exec_lo, exec_lo, s63
	s_cbranch_execnz .LBB4_1892
.LBB4_1773:                             ;   in Loop: Header=BB4_1523 Depth=4
	s_or_b32 exec_lo, exec_lo, s63
	s_and_saveexec_b32 s63, s16
	s_cbranch_execz .LBB4_1775
.LBB4_1774:                             ;   in Loop: Header=BB4_1523 Depth=4
	v_and_b32_e32 v26, 3, v84
	v_lshrrev_b16 v85, 2, v84
	v_ffbh_u32_e32 v27, v26
	v_and_b32_e32 v85, 31, v85
	v_min_u32_e32 v27, 32, v27
	v_cmp_eq_u32_e32 vcc_lo, 0, v85
	v_subrev_nc_u32_e32 v78, 29, v27
	v_sub_nc_u32_e32 v27, 30, v27
	v_lshlrev_b32_e32 v78, v78, v84
	v_lshlrev_b32_e32 v84, 24, v84
	v_cndmask_b32_e32 v27, v85, v27, vcc_lo
	v_and_b32_e32 v78, 3, v78
	v_and_b32_e32 v84, 0x80000000, v84
	v_lshl_add_u32 v27, v27, 23, 0x37800000
	v_cndmask_b32_e32 v26, v26, v78, vcc_lo
	v_lshlrev_b32_e32 v26, 21, v26
	v_or3_b32 v85, v84, v27, v26
.LBB4_1775:                             ;   in Loop: Header=BB4_1523 Depth=4
	s_or_b32 exec_lo, exec_lo, s63
	v_mul_f32_e32 v85, v96, v85
	v_mov_b32_e32 v84, 0x80
	s_mov_b32 s63, exec_lo
	v_and_b32_e32 v26, 0x7f800000, v85
	v_cmpx_ne_u32_e32 0x7f800000, v26
	s_cbranch_execz .LBB4_1783
; %bb.1776:                             ;   in Loop: Header=BB4_1523 Depth=4
	v_mov_b32_e32 v84, 0
	s_mov_b32 s72, exec_lo
	v_cmpx_ne_u32_e32 0, v85
	s_cbranch_execz .LBB4_1782
; %bb.1777:                             ;   in Loop: Header=BB4_1523 Depth=4
	v_bfe_u32 v26, v85, 23, 8
	v_and_b32_e32 v27, 0x7fffff, v85
	v_sub_nc_u32_e32 v84, 0x70, v26
	v_cmp_gt_u32_e32 vcc_lo, 0x71, v26
	v_or_b32_e32 v96, 0x800000, v27
	v_cndmask_b32_e32 v84, 0, v84, vcc_lo
	v_cmp_eq_u32_e32 vcc_lo, 0, v26
	v_add_nc_u32_e32 v26, 0xffffff91, v26
	v_cndmask_b32_e64 v84, v84, 0x6f, vcc_lo
	v_cndmask_b32_e32 v27, v96, v27, vcc_lo
	v_cndmask_b32_e64 v26, v26, 0xffffff92, vcc_lo
	v_lshl_add_u32 v78, 0x200000, v84, -1
	v_lshrrev_b32_e32 v96, v84, v27
	v_lshlrev_b32_e64 v92, v84, 0x100000
	v_and_b32_e32 v27, v78, v27
	v_bfe_u32 v89, v96, 21, 1
	v_cmp_eq_u32_e64 s16, v27, v92
	v_add_nc_u32_e32 v78, -1, v89
	v_lshrrev_b32_e32 v89, 23, v96
	v_cndmask_b32_e64 v27, 0, v78, s16
	v_add_nc_u32_e32 v78, v84, v26
	v_xor_b32_e32 v89, 1, v89
	s_mov_b32 s16, exec_lo
                                        ; implicit-def: $vgpr84
	v_add_nc_u32_e32 v27, v27, v96
	v_and_b32_e32 v26, 0x1fffff, v27
	v_add_nc_u32_e32 v96, v26, v96
	v_cmpx_ne_u32_e64 v78, v89
	s_xor_b32 s16, exec_lo, s16
; %bb.1778:                             ;   in Loop: Header=BB4_1523 Depth=4
	v_cmp_lt_u32_e32 vcc_lo, 0xffffff, v96
	v_sub_nc_u32_e32 v26, v78, v89
	v_cndmask_b32_e64 v27, 0, 1, vcc_lo
	v_add_co_ci_u32_e64 v84, null, 0, v26, vcc_lo
	v_lshrrev_b32_e32 v96, v27, v96
; %bb.1779:                             ;   in Loop: Header=BB4_1523 Depth=4
	s_andn2_saveexec_b32 s16, s16
; %bb.1780:                             ;   in Loop: Header=BB4_1523 Depth=4
	v_bfe_u32 v84, v96, 23, 1
; %bb.1781:                             ;   in Loop: Header=BB4_1523 Depth=4
	s_or_b32 exec_lo, exec_lo, s16
	v_lshrrev_b32_e32 v26, 21, v96
	v_cmp_gt_i32_e32 vcc_lo, 32, v84
	v_min_i32_e32 v27, 31, v84
	v_and_b32_sdwa v85, v85, v116 dst_sel:DWORD dst_unused:UNUSED_PAD src0_sel:BYTE_3 src1_sel:DWORD
	v_cndmask_b32_e32 v26, 3, v26, vcc_lo
	v_lshlrev_b32_e32 v27, 2, v27
	v_and_b32_e32 v96, 3, v26
	v_or_b32_e32 v26, v84, v26
	v_or3_b32 v27, v27, v85, v96
	v_cmp_ne_u32_e32 vcc_lo, 0, v26
	v_cndmask_b32_e32 v84, 0, v27, vcc_lo
.LBB4_1782:                             ;   in Loop: Header=BB4_1523 Depth=4
	s_or_b32 exec_lo, exec_lo, s72
.LBB4_1783:                             ;   in Loop: Header=BB4_1523 Depth=4
	s_or_b32 exec_lo, exec_lo, s63
	v_cmp_gt_i16_sdwa s63, v82, v115 src0_sel:BYTE_0 src1_sel:DWORD
	s_mov_b32 s16, 0
	s_and_saveexec_b32 s72, s63
	s_xor_b32 s63, exec_lo, s72
	s_cbranch_execz .LBB4_1893
; %bb.1784:                             ;   in Loop: Header=BB4_1523 Depth=4
	v_cmp_eq_u16_sdwa s73, v82, v116 src0_sel:BYTE_0 src1_sel:DWORD
	s_mov_b32 s16, -1
	s_and_saveexec_b32 s72, s73
; %bb.1785:                             ;   in Loop: Header=BB4_1523 Depth=4
	s_xor_b32 s16, exec_lo, -1
; %bb.1786:                             ;   in Loop: Header=BB4_1523 Depth=4
	s_or_b32 exec_lo, exec_lo, s72
	s_and_b32 s16, s16, exec_lo
	s_or_saveexec_b32 s63, s63
	v_mov_b32_e32 v85, 0x7f800001
	s_xor_b32 exec_lo, exec_lo, s63
	s_cbranch_execnz .LBB4_1894
.LBB4_1787:                             ;   in Loop: Header=BB4_1523 Depth=4
	s_or_b32 exec_lo, exec_lo, s63
	s_and_saveexec_b32 s63, s16
	s_cbranch_execz .LBB4_1789
.LBB4_1788:                             ;   in Loop: Header=BB4_1523 Depth=4
	v_and_b32_e32 v26, 3, v82
	v_lshrrev_b16 v85, 2, v82
	v_ffbh_u32_e32 v27, v26
	v_and_b32_e32 v85, 31, v85
	v_min_u32_e32 v27, 32, v27
	v_cmp_eq_u32_e32 vcc_lo, 0, v85
	v_subrev_nc_u32_e32 v96, 29, v27
	v_sub_nc_u32_e32 v27, 30, v27
	v_lshlrev_b32_e32 v96, v96, v82
	v_lshlrev_b32_e32 v82, 24, v82
	v_cndmask_b32_e32 v27, v85, v27, vcc_lo
	v_and_b32_e32 v96, 3, v96
	v_and_b32_e32 v82, 0x80000000, v82
	v_lshl_add_u32 v27, v27, 23, 0x37800000
	v_cndmask_b32_e32 v26, v26, v96, vcc_lo
	v_lshlrev_b32_e32 v26, 21, v26
	v_or3_b32 v85, v82, v27, v26
.LBB4_1789:                             ;   in Loop: Header=BB4_1523 Depth=4
	s_or_b32 exec_lo, exec_lo, s63
	s_waitcnt vmcnt(2) lgkmcnt(2)
	v_cmp_gt_i16_sdwa s63, v81, v115 src0_sel:BYTE_0 src1_sel:DWORD
	s_mov_b32 s16, 0
	s_and_saveexec_b32 s72, s63
	s_xor_b32 s63, exec_lo, s72
	s_cbranch_execz .LBB4_1895
; %bb.1790:                             ;   in Loop: Header=BB4_1523 Depth=4
	v_cmp_eq_u16_sdwa s73, v81, v116 src0_sel:BYTE_0 src1_sel:DWORD
	s_mov_b32 s16, -1
	s_and_saveexec_b32 s72, s73
; %bb.1791:                             ;   in Loop: Header=BB4_1523 Depth=4
	s_xor_b32 s16, exec_lo, -1
; %bb.1792:                             ;   in Loop: Header=BB4_1523 Depth=4
	s_or_b32 exec_lo, exec_lo, s72
	s_and_b32 s16, s16, exec_lo
	s_or_saveexec_b32 s63, s63
	v_mov_b32_e32 v82, 0x7f800001
	s_xor_b32 exec_lo, exec_lo, s63
	s_cbranch_execnz .LBB4_1896
.LBB4_1793:                             ;   in Loop: Header=BB4_1523 Depth=4
	s_or_b32 exec_lo, exec_lo, s63
	s_and_saveexec_b32 s63, s16
	s_cbranch_execz .LBB4_1795
.LBB4_1794:                             ;   in Loop: Header=BB4_1523 Depth=4
	v_and_b32_e32 v26, 3, v81
	v_lshrrev_b16 v82, 2, v81
	v_ffbh_u32_e32 v27, v26
	v_and_b32_e32 v82, 31, v82
	v_min_u32_e32 v27, 32, v27
	v_cmp_eq_u32_e32 vcc_lo, 0, v82
	v_subrev_nc_u32_e32 v96, 29, v27
	v_sub_nc_u32_e32 v27, 30, v27
	v_lshlrev_b32_e32 v96, v96, v81
	v_lshlrev_b32_e32 v81, 24, v81
	v_cndmask_b32_e32 v27, v82, v27, vcc_lo
	v_and_b32_e32 v96, 3, v96
	v_and_b32_e32 v81, 0x80000000, v81
	v_lshl_add_u32 v27, v27, 23, 0x37800000
	v_cndmask_b32_e32 v26, v26, v96, vcc_lo
	v_lshlrev_b32_e32 v26, 21, v26
	v_or3_b32 v82, v81, v27, v26
.LBB4_1795:                             ;   in Loop: Header=BB4_1523 Depth=4
	s_or_b32 exec_lo, exec_lo, s63
	v_mul_f32_e32 v82, v85, v82
	v_mov_b32_e32 v81, 0x80
	s_mov_b32 s63, exec_lo
	v_and_b32_e32 v26, 0x7f800000, v82
	v_cmpx_ne_u32_e32 0x7f800000, v26
	s_cbranch_execz .LBB4_1803
; %bb.1796:                             ;   in Loop: Header=BB4_1523 Depth=4
	v_mov_b32_e32 v81, 0
	s_mov_b32 s72, exec_lo
	v_cmpx_ne_u32_e32 0, v82
	s_cbranch_execz .LBB4_1802
; %bb.1797:                             ;   in Loop: Header=BB4_1523 Depth=4
	v_bfe_u32 v26, v82, 23, 8
	v_and_b32_e32 v27, 0x7fffff, v82
	v_sub_nc_u32_e32 v81, 0x70, v26
	v_cmp_gt_u32_e32 vcc_lo, 0x71, v26
	v_or_b32_e32 v85, 0x800000, v27
	v_cndmask_b32_e32 v81, 0, v81, vcc_lo
	v_cmp_eq_u32_e32 vcc_lo, 0, v26
	v_add_nc_u32_e32 v26, 0xffffff91, v26
	v_cndmask_b32_e64 v81, v81, 0x6f, vcc_lo
	v_cndmask_b32_e32 v27, v85, v27, vcc_lo
	v_cndmask_b32_e64 v26, v26, 0xffffff92, vcc_lo
	v_lshl_add_u32 v96, 0x200000, v81, -1
	v_lshrrev_b32_e32 v85, v81, v27
	v_lshlrev_b32_e64 v89, v81, 0x100000
	v_and_b32_e32 v27, v96, v27
	v_bfe_u32 v78, v85, 21, 1
	v_cmp_eq_u32_e64 s16, v27, v89
	v_add_nc_u32_e32 v96, -1, v78
	v_lshrrev_b32_e32 v78, 23, v85
	v_cndmask_b32_e64 v27, 0, v96, s16
	v_add_nc_u32_e32 v96, v81, v26
	v_xor_b32_e32 v78, 1, v78
	s_mov_b32 s16, exec_lo
                                        ; implicit-def: $vgpr81
	v_add_nc_u32_e32 v27, v27, v85
	v_and_b32_e32 v26, 0x1fffff, v27
	v_add_nc_u32_e32 v85, v26, v85
	v_cmpx_ne_u32_e64 v96, v78
	s_xor_b32 s16, exec_lo, s16
; %bb.1798:                             ;   in Loop: Header=BB4_1523 Depth=4
	v_cmp_lt_u32_e32 vcc_lo, 0xffffff, v85
	v_sub_nc_u32_e32 v26, v96, v78
	v_cndmask_b32_e64 v27, 0, 1, vcc_lo
	v_add_co_ci_u32_e64 v81, null, 0, v26, vcc_lo
	v_lshrrev_b32_e32 v85, v27, v85
; %bb.1799:                             ;   in Loop: Header=BB4_1523 Depth=4
	s_andn2_saveexec_b32 s16, s16
; %bb.1800:                             ;   in Loop: Header=BB4_1523 Depth=4
	v_bfe_u32 v81, v85, 23, 1
; %bb.1801:                             ;   in Loop: Header=BB4_1523 Depth=4
	s_or_b32 exec_lo, exec_lo, s16
	v_lshrrev_b32_e32 v26, 21, v85
	v_cmp_gt_i32_e32 vcc_lo, 32, v81
	v_min_i32_e32 v27, 31, v81
	v_and_b32_sdwa v82, v82, v116 dst_sel:DWORD dst_unused:UNUSED_PAD src0_sel:BYTE_3 src1_sel:DWORD
	v_cndmask_b32_e32 v26, 3, v26, vcc_lo
	v_lshlrev_b32_e32 v27, 2, v27
	v_and_b32_e32 v85, 3, v26
	v_or_b32_e32 v26, v81, v26
	v_or3_b32 v27, v27, v82, v85
	v_cmp_ne_u32_e32 vcc_lo, 0, v26
	v_cndmask_b32_e32 v81, 0, v27, vcc_lo
.LBB4_1802:                             ;   in Loop: Header=BB4_1523 Depth=4
	s_or_b32 exec_lo, exec_lo, s72
.LBB4_1803:                             ;   in Loop: Header=BB4_1523 Depth=4
	s_or_b32 exec_lo, exec_lo, s63
	v_cmp_gt_i16_sdwa s63, v69, v115 src0_sel:BYTE_0 src1_sel:DWORD
	s_mov_b32 s16, 0
	s_and_saveexec_b32 s72, s63
	s_xor_b32 s63, exec_lo, s72
	s_cbranch_execz .LBB4_1897
; %bb.1804:                             ;   in Loop: Header=BB4_1523 Depth=4
	v_cmp_eq_u16_sdwa s73, v69, v116 src0_sel:BYTE_0 src1_sel:DWORD
	s_mov_b32 s16, -1
	s_and_saveexec_b32 s72, s73
; %bb.1805:                             ;   in Loop: Header=BB4_1523 Depth=4
	s_xor_b32 s16, exec_lo, -1
; %bb.1806:                             ;   in Loop: Header=BB4_1523 Depth=4
	s_or_b32 exec_lo, exec_lo, s72
	s_and_b32 s16, s16, exec_lo
	s_or_saveexec_b32 s63, s63
	v_mov_b32_e32 v82, 0x7f800001
	s_xor_b32 exec_lo, exec_lo, s63
	s_cbranch_execnz .LBB4_1898
.LBB4_1807:                             ;   in Loop: Header=BB4_1523 Depth=4
	s_or_b32 exec_lo, exec_lo, s63
	s_and_saveexec_b32 s63, s16
	s_cbranch_execz .LBB4_1809
.LBB4_1808:                             ;   in Loop: Header=BB4_1523 Depth=4
	v_and_b32_e32 v26, 3, v69
	v_lshrrev_b16 v82, 2, v69
	v_ffbh_u32_e32 v27, v26
	v_and_b32_e32 v82, 31, v82
	v_min_u32_e32 v27, 32, v27
	v_cmp_eq_u32_e32 vcc_lo, 0, v82
	v_subrev_nc_u32_e32 v85, 29, v27
	v_sub_nc_u32_e32 v27, 30, v27
	v_lshlrev_b32_e32 v85, v85, v69
	v_lshlrev_b32_e32 v69, 24, v69
	v_cndmask_b32_e32 v27, v82, v27, vcc_lo
	v_and_b32_e32 v85, 3, v85
	v_and_b32_e32 v69, 0x80000000, v69
	v_lshl_add_u32 v27, v27, 23, 0x37800000
	v_cndmask_b32_e32 v26, v26, v85, vcc_lo
	v_lshlrev_b32_e32 v26, 21, v26
	v_or3_b32 v82, v69, v27, v26
.LBB4_1809:                             ;   in Loop: Header=BB4_1523 Depth=4
	s_or_b32 exec_lo, exec_lo, s63
	s_waitcnt vmcnt(1) lgkmcnt(1)
	v_cmp_gt_i16_sdwa s63, v23, v115 src0_sel:BYTE_0 src1_sel:DWORD
	s_mov_b32 s16, 0
	s_and_saveexec_b32 s72, s63
	s_xor_b32 s63, exec_lo, s72
	s_cbranch_execz .LBB4_1899
; %bb.1810:                             ;   in Loop: Header=BB4_1523 Depth=4
	v_cmp_eq_u16_sdwa s73, v23, v116 src0_sel:BYTE_0 src1_sel:DWORD
	s_mov_b32 s16, -1
	s_and_saveexec_b32 s72, s73
; %bb.1811:                             ;   in Loop: Header=BB4_1523 Depth=4
	s_xor_b32 s16, exec_lo, -1
; %bb.1812:                             ;   in Loop: Header=BB4_1523 Depth=4
	s_or_b32 exec_lo, exec_lo, s72
	s_and_b32 s16, s16, exec_lo
	s_or_saveexec_b32 s63, s63
	v_mov_b32_e32 v69, 0x7f800001
	s_xor_b32 exec_lo, exec_lo, s63
	s_cbranch_execnz .LBB4_1900
.LBB4_1813:                             ;   in Loop: Header=BB4_1523 Depth=4
	s_or_b32 exec_lo, exec_lo, s63
	s_and_saveexec_b32 s63, s16
	s_cbranch_execz .LBB4_1815
.LBB4_1814:                             ;   in Loop: Header=BB4_1523 Depth=4
	v_and_b32_e32 v26, 3, v23
	v_lshrrev_b16 v69, 2, v23
	v_ffbh_u32_e32 v27, v26
	v_and_b32_e32 v69, 31, v69
	v_min_u32_e32 v27, 32, v27
	v_cmp_eq_u32_e32 vcc_lo, 0, v69
	v_subrev_nc_u32_e32 v85, 29, v27
	v_sub_nc_u32_e32 v27, 30, v27
	v_lshlrev_b32_e32 v85, v85, v23
	v_lshlrev_b32_e32 v23, 24, v23
	v_cndmask_b32_e32 v27, v69, v27, vcc_lo
	v_and_b32_e32 v85, 3, v85
	v_and_b32_e32 v23, 0x80000000, v23
	v_lshl_add_u32 v27, v27, 23, 0x37800000
	v_cndmask_b32_e32 v26, v26, v85, vcc_lo
	v_lshlrev_b32_e32 v26, 21, v26
	v_or3_b32 v69, v23, v27, v26
.LBB4_1815:                             ;   in Loop: Header=BB4_1523 Depth=4
	s_or_b32 exec_lo, exec_lo, s63
	v_mul_f32_e32 v69, v82, v69
	v_and_b32_e32 v23, 0x7f800000, v69
	v_cmp_ne_u32_e32 vcc_lo, 0x7f800000, v23
	v_mov_b32_e32 v23, 0x80
	s_and_saveexec_b32 s63, vcc_lo
	s_cbranch_execz .LBB4_1823
; %bb.1816:                             ;   in Loop: Header=BB4_1523 Depth=4
	v_mov_b32_e32 v23, 0
	s_mov_b32 s72, exec_lo
	v_cmpx_ne_u32_e32 0, v69
	s_cbranch_execz .LBB4_1822
; %bb.1817:                             ;   in Loop: Header=BB4_1523 Depth=4
	v_bfe_u32 v23, v69, 23, 8
	v_and_b32_e32 v26, 0x7fffff, v69
	v_sub_nc_u32_e32 v27, 0x70, v23
	v_cmp_gt_u32_e32 vcc_lo, 0x71, v23
	v_or_b32_e32 v82, 0x800000, v26
	v_cndmask_b32_e32 v27, 0, v27, vcc_lo
	v_cmp_eq_u32_e32 vcc_lo, 0, v23
	v_add_nc_u32_e32 v23, 0xffffff91, v23
	v_cndmask_b32_e64 v27, v27, 0x6f, vcc_lo
	v_cndmask_b32_e32 v26, v82, v26, vcc_lo
	v_cndmask_b32_e64 v23, v23, 0xffffff92, vcc_lo
	v_lshl_add_u32 v85, 0x200000, v27, -1
	v_lshrrev_b32_e32 v82, v27, v26
	v_lshlrev_b32_e64 v78, v27, 0x100000
	v_and_b32_e32 v26, v85, v26
	v_bfe_u32 v96, v82, 21, 1
	v_cmp_eq_u32_e64 s16, v26, v78
	v_add_nc_u32_e32 v85, -1, v96
	v_lshrrev_b32_e32 v96, 23, v82
	v_cndmask_b32_e64 v26, 0, v85, s16
	v_add_nc_u32_e32 v85, v27, v23
	v_xor_b32_e32 v96, 1, v96
	s_mov_b32 s16, exec_lo
	v_add_nc_u32_e32 v26, v26, v82
	v_and_b32_e32 v23, 0x1fffff, v26
	v_add_nc_u32_e32 v82, v23, v82
                                        ; implicit-def: $vgpr23
	v_cmpx_ne_u32_e64 v85, v96
	s_xor_b32 s16, exec_lo, s16
; %bb.1818:                             ;   in Loop: Header=BB4_1523 Depth=4
	v_cmp_lt_u32_e32 vcc_lo, 0xffffff, v82
	v_sub_nc_u32_e32 v23, v85, v96
	v_cndmask_b32_e64 v26, 0, 1, vcc_lo
	v_add_co_ci_u32_e64 v23, null, 0, v23, vcc_lo
	v_lshrrev_b32_e32 v82, v26, v82
; %bb.1819:                             ;   in Loop: Header=BB4_1523 Depth=4
	s_andn2_saveexec_b32 s16, s16
; %bb.1820:                             ;   in Loop: Header=BB4_1523 Depth=4
	v_bfe_u32 v23, v82, 23, 1
; %bb.1821:                             ;   in Loop: Header=BB4_1523 Depth=4
	s_or_b32 exec_lo, exec_lo, s16
	v_lshrrev_b32_e32 v26, 21, v82
	v_cmp_gt_i32_e32 vcc_lo, 32, v23
	v_min_i32_e32 v27, 31, v23
	v_and_b32_sdwa v69, v69, v116 dst_sel:DWORD dst_unused:UNUSED_PAD src0_sel:BYTE_3 src1_sel:DWORD
	v_cndmask_b32_e32 v26, 3, v26, vcc_lo
	v_lshlrev_b32_e32 v27, 2, v27
	v_and_b32_e32 v82, 3, v26
	v_or_b32_e32 v23, v23, v26
	v_or3_b32 v26, v27, v69, v82
	v_cmp_ne_u32_e32 vcc_lo, 0, v23
	v_cndmask_b32_e32 v23, 0, v26, vcc_lo
.LBB4_1822:                             ;   in Loop: Header=BB4_1523 Depth=4
	s_or_b32 exec_lo, exec_lo, s72
.LBB4_1823:                             ;   in Loop: Header=BB4_1523 Depth=4
	s_or_b32 exec_lo, exec_lo, s63
	v_cmp_gt_i16_sdwa s63, v21, v115 src0_sel:BYTE_0 src1_sel:DWORD
	s_mov_b32 s16, 0
	s_and_saveexec_b32 s72, s63
	s_xor_b32 s63, exec_lo, s72
	s_cbranch_execz .LBB4_1901
; %bb.1824:                             ;   in Loop: Header=BB4_1523 Depth=4
	v_cmp_eq_u16_sdwa s73, v21, v116 src0_sel:BYTE_0 src1_sel:DWORD
	s_mov_b32 s16, -1
	s_and_saveexec_b32 s72, s73
; %bb.1825:                             ;   in Loop: Header=BB4_1523 Depth=4
	s_xor_b32 s16, exec_lo, -1
; %bb.1826:                             ;   in Loop: Header=BB4_1523 Depth=4
	s_or_b32 exec_lo, exec_lo, s72
	s_and_b32 s16, s16, exec_lo
	s_or_saveexec_b32 s63, s63
	v_mov_b32_e32 v69, 0x7f800001
	s_xor_b32 exec_lo, exec_lo, s63
	s_cbranch_execnz .LBB4_1902
.LBB4_1827:                             ;   in Loop: Header=BB4_1523 Depth=4
	s_or_b32 exec_lo, exec_lo, s63
	s_and_saveexec_b32 s63, s16
	s_cbranch_execz .LBB4_1829
.LBB4_1828:                             ;   in Loop: Header=BB4_1523 Depth=4
	v_and_b32_e32 v26, 3, v21
	v_lshrrev_b16 v69, 2, v21
	v_ffbh_u32_e32 v27, v26
	v_and_b32_e32 v69, 31, v69
	v_min_u32_e32 v27, 32, v27
	v_cmp_eq_u32_e32 vcc_lo, 0, v69
	v_subrev_nc_u32_e32 v82, 29, v27
	v_sub_nc_u32_e32 v27, 30, v27
	v_lshlrev_b32_e32 v82, v82, v21
	v_lshlrev_b32_e32 v21, 24, v21
	v_cndmask_b32_e32 v27, v69, v27, vcc_lo
	v_and_b32_e32 v82, 3, v82
	v_and_b32_e32 v21, 0x80000000, v21
	v_lshl_add_u32 v27, v27, 23, 0x37800000
	v_cndmask_b32_e32 v26, v26, v82, vcc_lo
	v_lshlrev_b32_e32 v26, 21, v26
	v_or3_b32 v69, v21, v27, v26
.LBB4_1829:                             ;   in Loop: Header=BB4_1523 Depth=4
	s_or_b32 exec_lo, exec_lo, s63
	s_waitcnt vmcnt(0) lgkmcnt(0)
	v_cmp_gt_i16_sdwa s63, v20, v115 src0_sel:BYTE_0 src1_sel:DWORD
	s_mov_b32 s16, 0
	s_and_saveexec_b32 s72, s63
	s_xor_b32 s63, exec_lo, s72
	s_cbranch_execz .LBB4_1903
; %bb.1830:                             ;   in Loop: Header=BB4_1523 Depth=4
	v_cmp_eq_u16_sdwa s73, v20, v116 src0_sel:BYTE_0 src1_sel:DWORD
	s_mov_b32 s16, -1
	s_and_saveexec_b32 s72, s73
; %bb.1831:                             ;   in Loop: Header=BB4_1523 Depth=4
	s_xor_b32 s16, exec_lo, -1
; %bb.1832:                             ;   in Loop: Header=BB4_1523 Depth=4
	s_or_b32 exec_lo, exec_lo, s72
	s_and_b32 s16, s16, exec_lo
	s_or_saveexec_b32 s63, s63
	v_mov_b32_e32 v21, 0x7f800001
	s_xor_b32 exec_lo, exec_lo, s63
	s_cbranch_execnz .LBB4_1904
.LBB4_1833:                             ;   in Loop: Header=BB4_1523 Depth=4
	s_or_b32 exec_lo, exec_lo, s63
	s_and_saveexec_b32 s63, s16
	s_cbranch_execz .LBB4_1835
.LBB4_1834:                             ;   in Loop: Header=BB4_1523 Depth=4
	v_and_b32_e32 v21, 3, v20
	v_lshrrev_b16 v27, 2, v20
	v_ffbh_u32_e32 v26, v21
	v_and_b32_e32 v27, 31, v27
	v_min_u32_e32 v26, 32, v26
	v_cmp_eq_u32_e32 vcc_lo, 0, v27
	v_subrev_nc_u32_e32 v82, 29, v26
	v_sub_nc_u32_e32 v26, 30, v26
	v_lshlrev_b32_e32 v82, v82, v20
	v_lshlrev_b32_e32 v20, 24, v20
	v_cndmask_b32_e32 v26, v27, v26, vcc_lo
	v_and_b32_e32 v82, 3, v82
	v_and_b32_e32 v20, 0x80000000, v20
	v_lshl_add_u32 v26, v26, 23, 0x37800000
	v_cndmask_b32_e32 v21, v21, v82, vcc_lo
	v_lshlrev_b32_e32 v21, 21, v21
	v_or3_b32 v21, v20, v26, v21
.LBB4_1835:                             ;   in Loop: Header=BB4_1523 Depth=4
	s_or_b32 exec_lo, exec_lo, s63
	v_mul_f32_e32 v21, v69, v21
	v_and_b32_e32 v20, 0x7f800000, v21
	v_cmp_ne_u32_e32 vcc_lo, 0x7f800000, v20
	v_mov_b32_e32 v20, 0x80
	s_and_saveexec_b32 s63, vcc_lo
	s_cbranch_execz .LBB4_1522
; %bb.1836:                             ;   in Loop: Header=BB4_1523 Depth=4
	v_mov_b32_e32 v20, 0
	s_mov_b32 s72, exec_lo
	v_cmpx_ne_u32_e32 0, v21
	s_cbranch_execz .LBB4_1521
; %bb.1837:                             ;   in Loop: Header=BB4_1523 Depth=4
	v_bfe_u32 v20, v21, 23, 8
	v_and_b32_e32 v26, 0x7fffff, v21
	v_sub_nc_u32_e32 v27, 0x70, v20
	v_cmp_gt_u32_e32 vcc_lo, 0x71, v20
	v_or_b32_e32 v69, 0x800000, v26
	v_cndmask_b32_e32 v27, 0, v27, vcc_lo
	v_cmp_eq_u32_e32 vcc_lo, 0, v20
	v_add_nc_u32_e32 v20, 0xffffff91, v20
	v_cndmask_b32_e64 v27, v27, 0x6f, vcc_lo
	v_cndmask_b32_e32 v26, v69, v26, vcc_lo
	v_cndmask_b32_e64 v20, v20, 0xffffff92, vcc_lo
	v_lshl_add_u32 v82, 0x200000, v27, -1
	v_lshrrev_b32_e32 v69, v27, v26
	v_lshlrev_b32_e64 v96, v27, 0x100000
	v_and_b32_e32 v26, v82, v26
	v_bfe_u32 v85, v69, 21, 1
	v_cmp_eq_u32_e64 s16, v26, v96
	v_add_nc_u32_e32 v82, -1, v85
	v_lshrrev_b32_e32 v85, 23, v69
	v_cndmask_b32_e64 v26, 0, v82, s16
	v_add_nc_u32_e32 v82, v27, v20
	v_xor_b32_e32 v85, 1, v85
	s_mov_b32 s16, exec_lo
	v_add_nc_u32_e32 v26, v26, v69
	v_and_b32_e32 v20, 0x1fffff, v26
	v_add_nc_u32_e32 v69, v20, v69
                                        ; implicit-def: $vgpr20
	v_cmpx_ne_u32_e64 v82, v85
	s_xor_b32 s16, exec_lo, s16
; %bb.1838:                             ;   in Loop: Header=BB4_1523 Depth=4
	v_cmp_lt_u32_e32 vcc_lo, 0xffffff, v69
	v_sub_nc_u32_e32 v20, v82, v85
	v_cndmask_b32_e64 v26, 0, 1, vcc_lo
	v_add_co_ci_u32_e64 v20, null, 0, v20, vcc_lo
	v_lshrrev_b32_e32 v69, v26, v69
; %bb.1839:                             ;   in Loop: Header=BB4_1523 Depth=4
	s_andn2_saveexec_b32 s16, s16
	s_cbranch_execz .LBB4_1520
; %bb.1840:                             ;   in Loop: Header=BB4_1523 Depth=4
	v_bfe_u32 v20, v69, 23, 1
	s_branch .LBB4_1520
.LBB4_1841:                             ;   in Loop: Header=BB4_1523 Depth=4
	s_or_saveexec_b32 s63, s63
	v_mov_b32_e32 v109, 0x7f800001
	s_xor_b32 exec_lo, exec_lo, s63
	s_cbranch_execz .LBB4_1527
.LBB4_1842:                             ;   in Loop: Header=BB4_1523 Depth=4
	v_cmp_ne_u16_e32 vcc_lo, 0, v110
	v_mov_b32_e32 v109, 0
	s_andn2_b32 s16, s16, exec_lo
	s_and_b32 s72, vcc_lo, exec_lo
	s_or_b32 s16, s16, s72
	s_or_b32 exec_lo, exec_lo, s63
	s_and_saveexec_b32 s63, s16
	s_cbranch_execnz .LBB4_1528
	s_branch .LBB4_1529
.LBB4_1843:                             ;   in Loop: Header=BB4_1523 Depth=4
	s_or_saveexec_b32 s63, s63
	v_mov_b32_e32 v110, 0x7f800001
	s_xor_b32 exec_lo, exec_lo, s63
	s_cbranch_execz .LBB4_1533
.LBB4_1844:                             ;   in Loop: Header=BB4_1523 Depth=4
	v_cmp_ne_u16_sdwa s72, v22, v2 src0_sel:BYTE_0 src1_sel:DWORD
	v_mov_b32_e32 v110, 0
	s_andn2_b32 s16, s16, exec_lo
	s_and_b32 s72, s72, exec_lo
	s_or_b32 s16, s16, s72
	s_or_b32 exec_lo, exec_lo, s63
	s_and_saveexec_b32 s63, s16
	s_cbranch_execnz .LBB4_1534
	s_branch .LBB4_1535
.LBB4_1845:                             ;   in Loop: Header=BB4_1523 Depth=4
	s_or_saveexec_b32 s63, s63
	v_mov_b32_e32 v109, 0x7f800001
	s_xor_b32 exec_lo, exec_lo, s63
	s_cbranch_execz .LBB4_1547
.LBB4_1846:                             ;   in Loop: Header=BB4_1523 Depth=4
	v_cmp_ne_u16_sdwa s72, v108, v2 src0_sel:BYTE_0 src1_sel:DWORD
	v_mov_b32_e32 v109, 0
	s_andn2_b32 s16, s16, exec_lo
	s_and_b32 s72, s72, exec_lo
	s_or_b32 s16, s16, s72
	s_or_b32 exec_lo, exec_lo, s63
	s_and_saveexec_b32 s63, s16
	s_cbranch_execnz .LBB4_1548
	s_branch .LBB4_1549
.LBB4_1847:                             ;   in Loop: Header=BB4_1523 Depth=4
	s_or_saveexec_b32 s63, s63
	v_mov_b32_e32 v108, 0x7f800001
	s_xor_b32 exec_lo, exec_lo, s63
	s_cbranch_execz .LBB4_1553
.LBB4_1848:                             ;   in Loop: Header=BB4_1523 Depth=4
	v_cmp_ne_u16_sdwa s72, v80, v2 src0_sel:BYTE_0 src1_sel:DWORD
	v_mov_b32_e32 v108, 0
	s_andn2_b32 s16, s16, exec_lo
	s_and_b32 s72, s72, exec_lo
	s_or_b32 s16, s16, s72
	s_or_b32 exec_lo, exec_lo, s63
	s_and_saveexec_b32 s63, s16
	s_cbranch_execnz .LBB4_1554
	s_branch .LBB4_1555
.LBB4_1849:                             ;   in Loop: Header=BB4_1523 Depth=4
	s_or_saveexec_b32 s63, s63
	v_mov_b32_e32 v108, 0x7f800001
	s_xor_b32 exec_lo, exec_lo, s63
	s_cbranch_execz .LBB4_1567
.LBB4_1850:                             ;   in Loop: Header=BB4_1523 Depth=4
	v_cmp_ne_u16_sdwa s72, v107, v2 src0_sel:BYTE_0 src1_sel:DWORD
	v_mov_b32_e32 v108, 0
	s_andn2_b32 s16, s16, exec_lo
	s_and_b32 s72, s72, exec_lo
	s_or_b32 s16, s16, s72
	s_or_b32 exec_lo, exec_lo, s63
	s_and_saveexec_b32 s63, s16
	s_cbranch_execnz .LBB4_1568
	s_branch .LBB4_1569
.LBB4_1851:                             ;   in Loop: Header=BB4_1523 Depth=4
	s_or_saveexec_b32 s63, s63
	v_mov_b32_e32 v107, 0x7f800001
	s_xor_b32 exec_lo, exec_lo, s63
	s_cbranch_execz .LBB4_1573
.LBB4_1852:                             ;   in Loop: Header=BB4_1523 Depth=4
	v_cmp_ne_u16_sdwa s72, v83, v2 src0_sel:BYTE_0 src1_sel:DWORD
	v_mov_b32_e32 v107, 0
	s_andn2_b32 s16, s16, exec_lo
	s_and_b32 s72, s72, exec_lo
	s_or_b32 s16, s16, s72
	s_or_b32 exec_lo, exec_lo, s63
	s_and_saveexec_b32 s63, s16
	s_cbranch_execnz .LBB4_1574
	s_branch .LBB4_1575
.LBB4_1853:                             ;   in Loop: Header=BB4_1523 Depth=4
	s_or_saveexec_b32 s63, s63
	v_mov_b32_e32 v107, 0x7f800001
	s_xor_b32 exec_lo, exec_lo, s63
	s_cbranch_execz .LBB4_1587
.LBB4_1854:                             ;   in Loop: Header=BB4_1523 Depth=4
	v_cmp_ne_u16_sdwa s72, v106, v2 src0_sel:BYTE_0 src1_sel:DWORD
	v_mov_b32_e32 v107, 0
	s_andn2_b32 s16, s16, exec_lo
	s_and_b32 s72, s72, exec_lo
	s_or_b32 s16, s16, s72
	s_or_b32 exec_lo, exec_lo, s63
	s_and_saveexec_b32 s63, s16
	s_cbranch_execnz .LBB4_1588
	s_branch .LBB4_1589
.LBB4_1855:                             ;   in Loop: Header=BB4_1523 Depth=4
	s_or_saveexec_b32 s63, s63
	v_mov_b32_e32 v106, 0x7f800001
	s_xor_b32 exec_lo, exec_lo, s63
	s_cbranch_execz .LBB4_1593
.LBB4_1856:                             ;   in Loop: Header=BB4_1523 Depth=4
	v_cmp_ne_u16_sdwa s72, v86, v2 src0_sel:BYTE_0 src1_sel:DWORD
	v_mov_b32_e32 v106, 0
	s_andn2_b32 s16, s16, exec_lo
	s_and_b32 s72, s72, exec_lo
	s_or_b32 s16, s16, s72
	s_or_b32 exec_lo, exec_lo, s63
	s_and_saveexec_b32 s63, s16
	s_cbranch_execnz .LBB4_1594
	s_branch .LBB4_1595
.LBB4_1857:                             ;   in Loop: Header=BB4_1523 Depth=4
	s_or_saveexec_b32 s63, s63
	v_mov_b32_e32 v106, 0x7f800001
	s_xor_b32 exec_lo, exec_lo, s63
	s_cbranch_execz .LBB4_1607
.LBB4_1858:                             ;   in Loop: Header=BB4_1523 Depth=4
	v_cmp_ne_u16_sdwa s72, v105, v2 src0_sel:BYTE_0 src1_sel:DWORD
	v_mov_b32_e32 v106, 0
	s_andn2_b32 s16, s16, exec_lo
	s_and_b32 s72, s72, exec_lo
	s_or_b32 s16, s16, s72
	s_or_b32 exec_lo, exec_lo, s63
	s_and_saveexec_b32 s63, s16
	s_cbranch_execnz .LBB4_1608
	s_branch .LBB4_1609
.LBB4_1859:                             ;   in Loop: Header=BB4_1523 Depth=4
	s_or_saveexec_b32 s63, s63
	v_mov_b32_e32 v105, 0x7f800001
	s_xor_b32 exec_lo, exec_lo, s63
	s_cbranch_execz .LBB4_1613
.LBB4_1860:                             ;   in Loop: Header=BB4_1523 Depth=4
	v_cmp_ne_u16_sdwa s72, v97, v2 src0_sel:BYTE_0 src1_sel:DWORD
	v_mov_b32_e32 v105, 0
	s_andn2_b32 s16, s16, exec_lo
	s_and_b32 s72, s72, exec_lo
	s_or_b32 s16, s16, s72
	s_or_b32 exec_lo, exec_lo, s63
	s_and_saveexec_b32 s63, s16
	s_cbranch_execnz .LBB4_1614
	s_branch .LBB4_1615
.LBB4_1861:                             ;   in Loop: Header=BB4_1523 Depth=4
	s_or_saveexec_b32 s63, s63
	v_mov_b32_e32 v105, 0x7f800001
	s_xor_b32 exec_lo, exec_lo, s63
	s_cbranch_execz .LBB4_1627
.LBB4_1862:                             ;   in Loop: Header=BB4_1523 Depth=4
	v_cmp_ne_u16_sdwa s72, v104, v2 src0_sel:BYTE_0 src1_sel:DWORD
	v_mov_b32_e32 v105, 0
	s_andn2_b32 s16, s16, exec_lo
	s_and_b32 s72, s72, exec_lo
	s_or_b32 s16, s16, s72
	s_or_b32 exec_lo, exec_lo, s63
	s_and_saveexec_b32 s63, s16
	s_cbranch_execnz .LBB4_1628
	s_branch .LBB4_1629
.LBB4_1863:                             ;   in Loop: Header=BB4_1523 Depth=4
	s_or_saveexec_b32 s63, s63
	v_mov_b32_e32 v104, 0x7f800001
	s_xor_b32 exec_lo, exec_lo, s63
	s_cbranch_execz .LBB4_1633
.LBB4_1864:                             ;   in Loop: Header=BB4_1523 Depth=4
	v_cmp_ne_u16_sdwa s72, v79, v2 src0_sel:BYTE_0 src1_sel:DWORD
	v_mov_b32_e32 v104, 0
	s_andn2_b32 s16, s16, exec_lo
	s_and_b32 s72, s72, exec_lo
	s_or_b32 s16, s16, s72
	s_or_b32 exec_lo, exec_lo, s63
	s_and_saveexec_b32 s63, s16
	s_cbranch_execnz .LBB4_1634
	s_branch .LBB4_1635
.LBB4_1865:                             ;   in Loop: Header=BB4_1523 Depth=4
	s_or_saveexec_b32 s63, s63
	v_mov_b32_e32 v104, 0x7f800001
	s_xor_b32 exec_lo, exec_lo, s63
	s_cbranch_execz .LBB4_1647
.LBB4_1866:                             ;   in Loop: Header=BB4_1523 Depth=4
	v_cmp_ne_u16_sdwa s72, v95, v2 src0_sel:BYTE_0 src1_sel:DWORD
	v_mov_b32_e32 v104, 0
	s_andn2_b32 s16, s16, exec_lo
	s_and_b32 s72, s72, exec_lo
	s_or_b32 s16, s16, s72
	s_or_b32 exec_lo, exec_lo, s63
	s_and_saveexec_b32 s63, s16
	s_cbranch_execnz .LBB4_1648
	s_branch .LBB4_1649
.LBB4_1867:                             ;   in Loop: Header=BB4_1523 Depth=4
	s_or_saveexec_b32 s63, s63
	v_mov_b32_e32 v95, 0x7f800001
	s_xor_b32 exec_lo, exec_lo, s63
	s_cbranch_execz .LBB4_1653
.LBB4_1868:                             ;   in Loop: Header=BB4_1523 Depth=4
	v_cmp_ne_u16_sdwa s72, v90, v2 src0_sel:BYTE_0 src1_sel:DWORD
	v_mov_b32_e32 v95, 0
	s_andn2_b32 s16, s16, exec_lo
	s_and_b32 s72, s72, exec_lo
	s_or_b32 s16, s16, s72
	s_or_b32 exec_lo, exec_lo, s63
	s_and_saveexec_b32 s63, s16
	s_cbranch_execnz .LBB4_1654
	s_branch .LBB4_1655
.LBB4_1869:                             ;   in Loop: Header=BB4_1523 Depth=4
	s_or_saveexec_b32 s63, s63
	v_mov_b32_e32 v95, 0x7f800001
	s_xor_b32 exec_lo, exec_lo, s63
	s_cbranch_execz .LBB4_1667
.LBB4_1870:                             ;   in Loop: Header=BB4_1523 Depth=4
	v_cmp_ne_u16_sdwa s72, v94, v2 src0_sel:BYTE_0 src1_sel:DWORD
	v_mov_b32_e32 v95, 0
	s_andn2_b32 s16, s16, exec_lo
	s_and_b32 s72, s72, exec_lo
	s_or_b32 s16, s16, s72
	s_or_b32 exec_lo, exec_lo, s63
	s_and_saveexec_b32 s63, s16
	s_cbranch_execnz .LBB4_1668
	s_branch .LBB4_1669
.LBB4_1871:                             ;   in Loop: Header=BB4_1523 Depth=4
	s_or_saveexec_b32 s63, s63
	v_mov_b32_e32 v94, 0x7f800001
	s_xor_b32 exec_lo, exec_lo, s63
	s_cbranch_execz .LBB4_1673
.LBB4_1872:                             ;   in Loop: Header=BB4_1523 Depth=4
	v_cmp_ne_u16_sdwa s72, v93, v2 src0_sel:BYTE_0 src1_sel:DWORD
	v_mov_b32_e32 v94, 0
	s_andn2_b32 s16, s16, exec_lo
	s_and_b32 s72, s72, exec_lo
	s_or_b32 s16, s16, s72
	s_or_b32 exec_lo, exec_lo, s63
	s_and_saveexec_b32 s63, s16
	s_cbranch_execnz .LBB4_1674
	s_branch .LBB4_1675
.LBB4_1873:                             ;   in Loop: Header=BB4_1523 Depth=4
	s_or_saveexec_b32 s63, s63
	v_mov_b32_e32 v94, 0x7f800001
	s_xor_b32 exec_lo, exec_lo, s63
	s_cbranch_execz .LBB4_1687
.LBB4_1874:                             ;   in Loop: Header=BB4_1523 Depth=4
	v_cmp_ne_u16_sdwa s72, v92, v2 src0_sel:BYTE_0 src1_sel:DWORD
	v_mov_b32_e32 v94, 0
	s_andn2_b32 s16, s16, exec_lo
	s_and_b32 s72, s72, exec_lo
	s_or_b32 s16, s16, s72
	s_or_b32 exec_lo, exec_lo, s63
	s_and_saveexec_b32 s63, s16
	s_cbranch_execnz .LBB4_1688
	s_branch .LBB4_1689
.LBB4_1875:                             ;   in Loop: Header=BB4_1523 Depth=4
	s_or_saveexec_b32 s63, s63
	v_mov_b32_e32 v92, 0x7f800001
	s_xor_b32 exec_lo, exec_lo, s63
	s_cbranch_execz .LBB4_1693
.LBB4_1876:                             ;   in Loop: Header=BB4_1523 Depth=4
	v_cmp_ne_u16_sdwa s72, v91, v2 src0_sel:BYTE_0 src1_sel:DWORD
	v_mov_b32_e32 v92, 0
	s_andn2_b32 s16, s16, exec_lo
	s_and_b32 s72, s72, exec_lo
	s_or_b32 s16, s16, s72
	s_or_b32 exec_lo, exec_lo, s63
	s_and_saveexec_b32 s63, s16
	s_cbranch_execnz .LBB4_1694
	s_branch .LBB4_1695
.LBB4_1877:                             ;   in Loop: Header=BB4_1523 Depth=4
	s_or_saveexec_b32 s63, s63
	v_mov_b32_e32 v92, 0x7f800001
	s_xor_b32 exec_lo, exec_lo, s63
	s_cbranch_execz .LBB4_1707
.LBB4_1878:                             ;   in Loop: Header=BB4_1523 Depth=4
	v_cmp_ne_u16_sdwa s72, v89, v2 src0_sel:BYTE_0 src1_sel:DWORD
	v_mov_b32_e32 v92, 0
	s_andn2_b32 s16, s16, exec_lo
	s_and_b32 s72, s72, exec_lo
	s_or_b32 s16, s16, s72
	s_or_b32 exec_lo, exec_lo, s63
	s_and_saveexec_b32 s63, s16
	s_cbranch_execnz .LBB4_1708
	s_branch .LBB4_1709
.LBB4_1879:                             ;   in Loop: Header=BB4_1523 Depth=4
	s_or_saveexec_b32 s63, s63
	v_mov_b32_e32 v89, 0x7f800001
	s_xor_b32 exec_lo, exec_lo, s63
	s_cbranch_execz .LBB4_1713
.LBB4_1880:                             ;   in Loop: Header=BB4_1523 Depth=4
	v_cmp_ne_u16_sdwa s72, v88, v2 src0_sel:BYTE_0 src1_sel:DWORD
	v_mov_b32_e32 v89, 0
	s_andn2_b32 s16, s16, exec_lo
	s_and_b32 s72, s72, exec_lo
	s_or_b32 s16, s16, s72
	s_or_b32 exec_lo, exec_lo, s63
	s_and_saveexec_b32 s63, s16
	s_cbranch_execnz .LBB4_1714
	s_branch .LBB4_1715
.LBB4_1881:                             ;   in Loop: Header=BB4_1523 Depth=4
	s_or_saveexec_b32 s63, s63
	v_mov_b32_e32 v89, 0x7f800001
	s_xor_b32 exec_lo, exec_lo, s63
	s_cbranch_execz .LBB4_1727
.LBB4_1882:                             ;   in Loop: Header=BB4_1523 Depth=4
	v_cmp_ne_u16_sdwa s72, v78, v2 src0_sel:BYTE_0 src1_sel:DWORD
	v_mov_b32_e32 v89, 0
	s_andn2_b32 s16, s16, exec_lo
	s_and_b32 s72, s72, exec_lo
	s_or_b32 s16, s16, s72
	s_or_b32 exec_lo, exec_lo, s63
	s_and_saveexec_b32 s63, s16
	s_cbranch_execnz .LBB4_1728
	s_branch .LBB4_1729
.LBB4_1883:                             ;   in Loop: Header=BB4_1523 Depth=4
	s_or_saveexec_b32 s63, s63
	v_mov_b32_e32 v78, 0x7f800001
	s_xor_b32 exec_lo, exec_lo, s63
	s_cbranch_execz .LBB4_1733
.LBB4_1884:                             ;   in Loop: Header=BB4_1523 Depth=4
	v_cmp_ne_u16_sdwa s72, v77, v2 src0_sel:BYTE_0 src1_sel:DWORD
	v_mov_b32_e32 v78, 0
	s_andn2_b32 s16, s16, exec_lo
	s_and_b32 s72, s72, exec_lo
	s_or_b32 s16, s16, s72
	s_or_b32 exec_lo, exec_lo, s63
	s_and_saveexec_b32 s63, s16
	s_cbranch_execnz .LBB4_1734
	s_branch .LBB4_1735
.LBB4_1885:                             ;   in Loop: Header=BB4_1523 Depth=4
	s_or_saveexec_b32 s63, s63
	v_mov_b32_e32 v78, 0x7f800001
	s_xor_b32 exec_lo, exec_lo, s63
	s_cbranch_execz .LBB4_1747
.LBB4_1886:                             ;   in Loop: Header=BB4_1523 Depth=4
	v_cmp_ne_u16_sdwa s72, v96, v2 src0_sel:BYTE_0 src1_sel:DWORD
	v_mov_b32_e32 v78, 0
	s_andn2_b32 s16, s16, exec_lo
	s_and_b32 s72, s72, exec_lo
	s_or_b32 s16, s16, s72
	s_or_b32 exec_lo, exec_lo, s63
	s_and_saveexec_b32 s63, s16
	s_cbranch_execnz .LBB4_1748
	s_branch .LBB4_1749
.LBB4_1887:                             ;   in Loop: Header=BB4_1523 Depth=4
	s_or_saveexec_b32 s63, s63
	v_mov_b32_e32 v96, 0x7f800001
	s_xor_b32 exec_lo, exec_lo, s63
	s_cbranch_execz .LBB4_1753
.LBB4_1888:                             ;   in Loop: Header=BB4_1523 Depth=4
	v_cmp_ne_u16_sdwa s72, v87, v2 src0_sel:BYTE_0 src1_sel:DWORD
	v_mov_b32_e32 v96, 0
	s_andn2_b32 s16, s16, exec_lo
	s_and_b32 s72, s72, exec_lo
	s_or_b32 s16, s16, s72
	s_or_b32 exec_lo, exec_lo, s63
	s_and_saveexec_b32 s63, s16
	s_cbranch_execnz .LBB4_1754
	s_branch .LBB4_1755
.LBB4_1889:                             ;   in Loop: Header=BB4_1523 Depth=4
	s_or_saveexec_b32 s63, s63
	v_mov_b32_e32 v96, 0x7f800001
	s_xor_b32 exec_lo, exec_lo, s63
	s_cbranch_execz .LBB4_1767
.LBB4_1890:                             ;   in Loop: Header=BB4_1523 Depth=4
	v_cmp_ne_u16_sdwa s72, v85, v2 src0_sel:BYTE_0 src1_sel:DWORD
	v_mov_b32_e32 v96, 0
	s_andn2_b32 s16, s16, exec_lo
	s_and_b32 s72, s72, exec_lo
	s_or_b32 s16, s16, s72
	s_or_b32 exec_lo, exec_lo, s63
	s_and_saveexec_b32 s63, s16
	s_cbranch_execnz .LBB4_1768
	s_branch .LBB4_1769
.LBB4_1891:                             ;   in Loop: Header=BB4_1523 Depth=4
	s_or_saveexec_b32 s63, s63
	v_mov_b32_e32 v85, 0x7f800001
	s_xor_b32 exec_lo, exec_lo, s63
	s_cbranch_execz .LBB4_1773
.LBB4_1892:                             ;   in Loop: Header=BB4_1523 Depth=4
	v_cmp_ne_u16_sdwa s72, v84, v2 src0_sel:BYTE_0 src1_sel:DWORD
	v_mov_b32_e32 v85, 0
	s_andn2_b32 s16, s16, exec_lo
	s_and_b32 s72, s72, exec_lo
	s_or_b32 s16, s16, s72
	s_or_b32 exec_lo, exec_lo, s63
	s_and_saveexec_b32 s63, s16
	s_cbranch_execnz .LBB4_1774
	s_branch .LBB4_1775
.LBB4_1893:                             ;   in Loop: Header=BB4_1523 Depth=4
	s_or_saveexec_b32 s63, s63
	v_mov_b32_e32 v85, 0x7f800001
	s_xor_b32 exec_lo, exec_lo, s63
	s_cbranch_execz .LBB4_1787
.LBB4_1894:                             ;   in Loop: Header=BB4_1523 Depth=4
	v_cmp_ne_u16_sdwa s72, v82, v2 src0_sel:BYTE_0 src1_sel:DWORD
	v_mov_b32_e32 v85, 0
	s_andn2_b32 s16, s16, exec_lo
	s_and_b32 s72, s72, exec_lo
	s_or_b32 s16, s16, s72
	s_or_b32 exec_lo, exec_lo, s63
	s_and_saveexec_b32 s63, s16
	s_cbranch_execnz .LBB4_1788
	s_branch .LBB4_1789
.LBB4_1895:                             ;   in Loop: Header=BB4_1523 Depth=4
	s_or_saveexec_b32 s63, s63
	v_mov_b32_e32 v82, 0x7f800001
	s_xor_b32 exec_lo, exec_lo, s63
	s_cbranch_execz .LBB4_1793
.LBB4_1896:                             ;   in Loop: Header=BB4_1523 Depth=4
	v_cmp_ne_u16_sdwa s72, v81, v2 src0_sel:BYTE_0 src1_sel:DWORD
	v_mov_b32_e32 v82, 0
	s_andn2_b32 s16, s16, exec_lo
	s_and_b32 s72, s72, exec_lo
	s_or_b32 s16, s16, s72
	s_or_b32 exec_lo, exec_lo, s63
	s_and_saveexec_b32 s63, s16
	s_cbranch_execnz .LBB4_1794
	s_branch .LBB4_1795
.LBB4_1897:                             ;   in Loop: Header=BB4_1523 Depth=4
	s_or_saveexec_b32 s63, s63
	v_mov_b32_e32 v82, 0x7f800001
	s_xor_b32 exec_lo, exec_lo, s63
	s_cbranch_execz .LBB4_1807
.LBB4_1898:                             ;   in Loop: Header=BB4_1523 Depth=4
	v_cmp_ne_u16_sdwa s72, v69, v2 src0_sel:BYTE_0 src1_sel:DWORD
	v_mov_b32_e32 v82, 0
	s_andn2_b32 s16, s16, exec_lo
	s_and_b32 s72, s72, exec_lo
	s_or_b32 s16, s16, s72
	s_or_b32 exec_lo, exec_lo, s63
	s_and_saveexec_b32 s63, s16
	s_cbranch_execnz .LBB4_1808
	s_branch .LBB4_1809
.LBB4_1899:                             ;   in Loop: Header=BB4_1523 Depth=4
	s_or_saveexec_b32 s63, s63
	v_mov_b32_e32 v69, 0x7f800001
	s_xor_b32 exec_lo, exec_lo, s63
	s_cbranch_execz .LBB4_1813
.LBB4_1900:                             ;   in Loop: Header=BB4_1523 Depth=4
	v_cmp_ne_u16_sdwa s72, v23, v2 src0_sel:BYTE_0 src1_sel:DWORD
	v_mov_b32_e32 v69, 0
	s_andn2_b32 s16, s16, exec_lo
	s_and_b32 s72, s72, exec_lo
	s_or_b32 s16, s16, s72
	s_or_b32 exec_lo, exec_lo, s63
	s_and_saveexec_b32 s63, s16
	s_cbranch_execnz .LBB4_1814
	s_branch .LBB4_1815
.LBB4_1901:                             ;   in Loop: Header=BB4_1523 Depth=4
	s_or_saveexec_b32 s63, s63
	v_mov_b32_e32 v69, 0x7f800001
	s_xor_b32 exec_lo, exec_lo, s63
	s_cbranch_execz .LBB4_1827
.LBB4_1902:                             ;   in Loop: Header=BB4_1523 Depth=4
	v_cmp_ne_u16_sdwa s72, v21, v2 src0_sel:BYTE_0 src1_sel:DWORD
	v_mov_b32_e32 v69, 0
	s_andn2_b32 s16, s16, exec_lo
	s_and_b32 s72, s72, exec_lo
	s_or_b32 s16, s16, s72
	s_or_b32 exec_lo, exec_lo, s63
	s_and_saveexec_b32 s63, s16
	s_cbranch_execnz .LBB4_1828
	s_branch .LBB4_1829
.LBB4_1903:                             ;   in Loop: Header=BB4_1523 Depth=4
	s_or_saveexec_b32 s63, s63
	v_mov_b32_e32 v21, 0x7f800001
	s_xor_b32 exec_lo, exec_lo, s63
	s_cbranch_execz .LBB4_1833
.LBB4_1904:                             ;   in Loop: Header=BB4_1523 Depth=4
	v_cmp_ne_u16_sdwa s72, v20, v2 src0_sel:BYTE_0 src1_sel:DWORD
	v_mov_b32_e32 v21, 0
	s_andn2_b32 s16, s16, exec_lo
	s_and_b32 s72, s72, exec_lo
	s_or_b32 s16, s16, s72
	s_or_b32 exec_lo, exec_lo, s63
	s_and_saveexec_b32 s63, s16
	s_cbranch_execnz .LBB4_1834
	s_branch .LBB4_1835
.LBB4_1905:                             ;   in Loop: Header=BB4_274 Depth=3
	s_or_b32 exec_lo, exec_lo, s62
.LBB4_1906:                             ;   in Loop: Header=BB4_274 Depth=3
	s_or_b32 exec_lo, exec_lo, s61
	v_lshlrev_b32_e32 v8, 9, v19
	v_cmp_ne_u32_e32 vcc_lo, v15, v8
	s_and_b32 exec_lo, exec_lo, vcc_lo
	s_cbranch_execz .LBB4_1934
; %bb.1907:                             ;   in Loop: Header=BB4_274 Depth=3
	v_add_nc_u32_e32 v9, v16, v18
	v_lshlrev_b32_e32 v10, 5, v17
	v_and_b32_e32 v9, 0xffffffe0, v9
	v_sub_nc_u32_e32 v9, v16, v9
	v_sub_nc_u32_e32 v9, v9, v10
	v_add_nc_u32_e32 v8, v8, v9
	v_sub_nc_u32_e32 v15, v15, v8
	v_cmp_lt_i32_e32 vcc_lo, 0, v15
	s_and_b32 exec_lo, exec_lo, vcc_lo
	s_cbranch_execz .LBB4_1934
; %bb.1908:                             ;   in Loop: Header=BB4_274 Depth=3
	s_trap 2
	ds_read_b128 v[9:12], v0
	ds_read_b64 v[16:17], v0
	v_add_nc_u32_e32 v13, v8, v14
	s_mov_b32 s61, 0
	v_ashrrev_i32_e32 v14, 31, v13
	s_waitcnt lgkmcnt(1)
	v_add_co_u32 v8, vcc_lo, v9, v13
	v_add_co_ci_u32_e64 v9, null, v10, v14, vcc_lo
	v_add_co_u32 v10, vcc_lo, v11, v13
	v_add_co_ci_u32_e64 v11, null, v12, v14, vcc_lo
	s_waitcnt lgkmcnt(0)
	v_add_co_u32 v12, vcc_lo, v16, v13
	v_add_co_ci_u32_e64 v13, null, v17, v14, vcc_lo
	s_branch .LBB4_1912
.LBB4_1909:                             ;   in Loop: Header=BB4_1912 Depth=4
	s_or_b32 exec_lo, exec_lo, s16
	v_lshrrev_b32_e32 v17, 21, v17
	v_cmp_gt_i32_e32 vcc_lo, 32, v16
	v_min_i32_e32 v18, 31, v16
	v_and_b32_sdwa v14, v14, v116 dst_sel:DWORD dst_unused:UNUSED_PAD src0_sel:BYTE_3 src1_sel:DWORD
	v_cndmask_b32_e32 v17, 3, v17, vcc_lo
	v_lshlrev_b32_e32 v18, 2, v18
	v_and_b32_e32 v19, 3, v17
	v_or_b32_e32 v16, v16, v17
	v_or3_b32 v14, v18, v14, v19
	v_cmp_ne_u32_e32 vcc_lo, 0, v16
	v_cndmask_b32_e32 v16, 0, v14, vcc_lo
.LBB4_1910:                             ;   in Loop: Header=BB4_1912 Depth=4
	s_or_b32 exec_lo, exec_lo, s63
.LBB4_1911:                             ;   in Loop: Header=BB4_1912 Depth=4
	s_or_b32 exec_lo, exec_lo, s62
	v_sub_nc_u32_e32 v15, v15, v112
	v_add_co_u32 v8, vcc_lo, v8, v112
	v_add_co_ci_u32_e64 v9, null, 0, v9, vcc_lo
	v_add_co_u32 v10, vcc_lo, v10, v112
	flat_store_byte v[12:13], v16 glc slc
	v_add_co_ci_u32_e64 v11, null, 0, v11, vcc_lo
	v_cmp_gt_i32_e32 vcc_lo, 1, v15
	v_add_co_u32 v12, s16, v12, v112
	v_add_co_ci_u32_e64 v13, null, 0, v13, s16
	s_or_b32 s61, vcc_lo, s61
	s_andn2_b32 exec_lo, exec_lo, s61
	s_cbranch_execz .LBB4_1934
.LBB4_1912:                             ;   Parent Loop BB4_47 Depth=1
                                        ;     Parent Loop BB4_271 Depth=2
                                        ;       Parent Loop BB4_274 Depth=3
                                        ; =>      This Inner Loop Header: Depth=4
	flat_load_ubyte v17, v[8:9] slc
	flat_load_ubyte v14, v[10:11] slc
	s_mov_b32 s16, 0
	s_mov_b32 s62, exec_lo
	s_waitcnt vmcnt(1) lgkmcnt(1)
	v_cmpx_lt_i16_e32 0x7f, v17
	s_xor_b32 s62, exec_lo, s62
	s_cbranch_execz .LBB4_1930
; %bb.1913:                             ;   in Loop: Header=BB4_1912 Depth=4
	s_mov_b32 s16, -1
	s_mov_b32 s63, exec_lo
	v_cmpx_eq_u16_e32 0x80, v17
; %bb.1914:                             ;   in Loop: Header=BB4_1912 Depth=4
	s_xor_b32 s16, exec_lo, -1
; %bb.1915:                             ;   in Loop: Header=BB4_1912 Depth=4
	s_or_b32 exec_lo, exec_lo, s63
	s_and_b32 s16, s16, exec_lo
	s_or_saveexec_b32 s62, s62
	v_mov_b32_e32 v16, 0x7f800001
	s_xor_b32 exec_lo, exec_lo, s62
	s_cbranch_execnz .LBB4_1931
.LBB4_1916:                             ;   in Loop: Header=BB4_1912 Depth=4
	s_or_b32 exec_lo, exec_lo, s62
	s_and_saveexec_b32 s62, s16
	s_cbranch_execz .LBB4_1918
.LBB4_1917:                             ;   in Loop: Header=BB4_1912 Depth=4
	v_and_b32_e32 v16, 0xffff, v17
	v_lshlrev_b32_e32 v17, 24, v17
	v_and_b32_e32 v18, 3, v16
	v_bfe_u32 v21, v16, 2, 5
	v_and_b32_e32 v17, 0x80000000, v17
	v_ffbh_u32_e32 v19, v18
	v_cmp_eq_u32_e32 vcc_lo, 0, v21
	v_min_u32_e32 v19, 32, v19
	v_subrev_nc_u32_e32 v20, 29, v19
	v_sub_nc_u32_e32 v19, 30, v19
	v_lshlrev_b32_e32 v16, v20, v16
	v_cndmask_b32_e32 v19, v21, v19, vcc_lo
	v_and_b32_e32 v16, 3, v16
	v_cndmask_b32_e32 v16, v18, v16, vcc_lo
	v_lshl_add_u32 v18, v19, 23, 0x37800000
	v_lshlrev_b32_e32 v16, 21, v16
	v_or3_b32 v16, v17, v18, v16
.LBB4_1918:                             ;   in Loop: Header=BB4_1912 Depth=4
	s_or_b32 exec_lo, exec_lo, s62
	s_waitcnt vmcnt(0) lgkmcnt(0)
	v_cmp_gt_i16_sdwa s62, v14, v115 src0_sel:BYTE_0 src1_sel:DWORD
	s_mov_b32 s16, 0
	s_and_saveexec_b32 s63, s62
	s_xor_b32 s62, exec_lo, s63
	s_cbranch_execz .LBB4_1932
; %bb.1919:                             ;   in Loop: Header=BB4_1912 Depth=4
	v_cmp_eq_u16_sdwa s72, v14, v116 src0_sel:BYTE_0 src1_sel:DWORD
	s_mov_b32 s16, -1
	s_and_saveexec_b32 s63, s72
; %bb.1920:                             ;   in Loop: Header=BB4_1912 Depth=4
	s_xor_b32 s16, exec_lo, -1
; %bb.1921:                             ;   in Loop: Header=BB4_1912 Depth=4
	s_or_b32 exec_lo, exec_lo, s63
	s_and_b32 s16, s16, exec_lo
	s_or_saveexec_b32 s62, s62
	v_mov_b32_e32 v17, 0x7f800001
	s_xor_b32 exec_lo, exec_lo, s62
	s_cbranch_execnz .LBB4_1933
.LBB4_1922:                             ;   in Loop: Header=BB4_1912 Depth=4
	s_or_b32 exec_lo, exec_lo, s62
	s_and_saveexec_b32 s62, s16
	s_cbranch_execz .LBB4_1924
.LBB4_1923:                             ;   in Loop: Header=BB4_1912 Depth=4
	v_and_b32_e32 v17, 3, v14
	v_lshrrev_b16 v19, 2, v14
	v_ffbh_u32_e32 v18, v17
	v_and_b32_e32 v19, 31, v19
	v_min_u32_e32 v18, 32, v18
	v_cmp_eq_u32_e32 vcc_lo, 0, v19
	v_subrev_nc_u32_e32 v20, 29, v18
	v_sub_nc_u32_e32 v18, 30, v18
	v_lshlrev_b32_e32 v20, v20, v14
	v_lshlrev_b32_e32 v14, 24, v14
	v_cndmask_b32_e32 v18, v19, v18, vcc_lo
	v_and_b32_e32 v20, 3, v20
	v_and_b32_e32 v14, 0x80000000, v14
	v_lshl_add_u32 v18, v18, 23, 0x37800000
	v_cndmask_b32_e32 v17, v17, v20, vcc_lo
	v_lshlrev_b32_e32 v17, 21, v17
	v_or3_b32 v17, v14, v18, v17
.LBB4_1924:                             ;   in Loop: Header=BB4_1912 Depth=4
	s_or_b32 exec_lo, exec_lo, s62
	v_mul_f32_e32 v14, v16, v17
	v_and_b32_e32 v16, 0x7f800000, v14
	v_cmp_ne_u32_e32 vcc_lo, 0x7f800000, v16
	v_mov_b32_e32 v16, 0x80
	s_and_saveexec_b32 s62, vcc_lo
	s_cbranch_execz .LBB4_1911
; %bb.1925:                             ;   in Loop: Header=BB4_1912 Depth=4
	v_mov_b32_e32 v16, 0
	s_mov_b32 s63, exec_lo
	v_cmpx_ne_u32_e32 0, v14
	s_cbranch_execz .LBB4_1910
; %bb.1926:                             ;   in Loop: Header=BB4_1912 Depth=4
	v_bfe_u32 v16, v14, 23, 8
	v_and_b32_e32 v17, 0x7fffff, v14
	v_sub_nc_u32_e32 v18, 0x70, v16
	v_cmp_gt_u32_e32 vcc_lo, 0x71, v16
	v_or_b32_e32 v19, 0x800000, v17
	v_cndmask_b32_e32 v18, 0, v18, vcc_lo
	v_cmp_eq_u32_e32 vcc_lo, 0, v16
	v_add_nc_u32_e32 v16, 0xffffff91, v16
	v_cndmask_b32_e64 v18, v18, 0x6f, vcc_lo
	v_cndmask_b32_e32 v17, v19, v17, vcc_lo
	v_cndmask_b32_e64 v16, v16, 0xffffff92, vcc_lo
	v_lshl_add_u32 v19, 0x200000, v18, -1
	v_lshrrev_b32_e32 v20, v18, v17
	v_lshlrev_b32_e64 v22, v18, 0x100000
	v_add_nc_u32_e32 v18, v18, v16
	v_and_b32_e32 v17, v19, v17
	v_bfe_u32 v21, v20, 21, 1
	v_cmp_eq_u32_e64 s16, v17, v22
	v_add_nc_u32_e32 v19, -1, v21
	v_cndmask_b32_e64 v17, 0, v19, s16
	v_lshrrev_b32_e32 v19, 23, v20
	s_mov_b32 s16, exec_lo
	v_add_nc_u32_e32 v17, v17, v20
	v_xor_b32_e32 v19, 1, v19
	v_and_b32_e32 v16, 0x1fffff, v17
	v_add_nc_u32_e32 v17, v16, v20
                                        ; implicit-def: $vgpr16
	v_cmpx_ne_u32_e64 v18, v19
	s_xor_b32 s16, exec_lo, s16
; %bb.1927:                             ;   in Loop: Header=BB4_1912 Depth=4
	v_cmp_lt_u32_e32 vcc_lo, 0xffffff, v17
	v_sub_nc_u32_e32 v16, v18, v19
	v_cndmask_b32_e64 v18, 0, 1, vcc_lo
	v_add_co_ci_u32_e64 v16, null, 0, v16, vcc_lo
	v_lshrrev_b32_e32 v17, v18, v17
; %bb.1928:                             ;   in Loop: Header=BB4_1912 Depth=4
	s_andn2_saveexec_b32 s16, s16
	s_cbranch_execz .LBB4_1909
; %bb.1929:                             ;   in Loop: Header=BB4_1912 Depth=4
	v_bfe_u32 v16, v17, 23, 1
	s_branch .LBB4_1909
.LBB4_1930:                             ;   in Loop: Header=BB4_1912 Depth=4
	s_or_saveexec_b32 s62, s62
	v_mov_b32_e32 v16, 0x7f800001
	s_xor_b32 exec_lo, exec_lo, s62
	s_cbranch_execz .LBB4_1916
.LBB4_1931:                             ;   in Loop: Header=BB4_1912 Depth=4
	v_cmp_ne_u16_e32 vcc_lo, 0, v17
	v_mov_b32_e32 v16, 0
	s_andn2_b32 s16, s16, exec_lo
	s_and_b32 s63, vcc_lo, exec_lo
	s_or_b32 s16, s16, s63
	s_or_b32 exec_lo, exec_lo, s62
	s_and_saveexec_b32 s62, s16
	s_cbranch_execnz .LBB4_1917
	s_branch .LBB4_1918
.LBB4_1932:                             ;   in Loop: Header=BB4_1912 Depth=4
	s_or_saveexec_b32 s62, s62
	v_mov_b32_e32 v17, 0x7f800001
	s_xor_b32 exec_lo, exec_lo, s62
	s_cbranch_execz .LBB4_1922
.LBB4_1933:                             ;   in Loop: Header=BB4_1912 Depth=4
	v_cmp_ne_u16_sdwa s63, v14, v2 src0_sel:BYTE_0 src1_sel:DWORD
	v_mov_b32_e32 v17, 0
	s_andn2_b32 s16, s16, exec_lo
	s_and_b32 s63, s63, exec_lo
	s_or_b32 s16, s16, s63
	s_or_b32 exec_lo, exec_lo, s62
	s_and_saveexec_b32 s62, s16
	s_cbranch_execnz .LBB4_1923
	s_branch .LBB4_1924
.LBB4_1934:                             ;   in Loop: Header=BB4_274 Depth=3
	s_or_b32 exec_lo, exec_lo, s17
	v_cmp_lt_i32_e64 s16, 0, v3
	s_and_saveexec_b32 s17, s6
	s_cbranch_execz .LBB4_349
.LBB4_1935:                             ;   in Loop: Header=BB4_274 Depth=3
	s_and_saveexec_b32 s61, s29
	s_xor_b32 s61, exec_lo, s61
	s_cbranch_execz .LBB4_1950
; %bb.1936:                             ;   in Loop: Header=BB4_274 Depth=3
	s_and_saveexec_b32 s62, s11
	s_cbranch_execz .LBB4_1949
; %bb.1937:                             ;   in Loop: Header=BB4_274 Depth=3
	s_mov_b32 s72, exec_lo
	s_mov_b32 s63, exec_lo
	v_mbcnt_lo_u32_b32 v3, s72, 0
	s_waitcnt vmcnt(0) lgkmcnt(0)
	s_waitcnt_vscnt null, 0x0
	buffer_gl1_inv
	buffer_gl0_inv
	v_cmpx_eq_u32_e32 0, v3
	s_cbranch_execz .LBB4_1939
; %bb.1938:                             ;   in Loop: Header=BB4_274 Depth=3
	s_bcnt1_i32_b32 s72, s72
	v_mov_b32_e32 v9, v2
	v_mov_b32_e32 v8, s72
	ds_add_u64 v0, v[8:9]
	s_trap 2
.LBB4_1939:                             ;   in Loop: Header=BB4_274 Depth=3
	s_or_b32 exec_lo, exec_lo, s63
	s_trap 2
	ds_read_b64 v[8:9], v0
	s_waitcnt lgkmcnt(0)
	buffer_gl0_inv
	v_add_co_u32 v38, vcc_lo, v38, v103
	v_add_co_ci_u32_e64 v39, null, 0, v39, vcc_lo
	s_mov_b32 s63, exec_lo
	v_cmpx_lt_u64_e64 v[8:9], v[38:39]
	s_cbranch_execz .LBB4_1948
; %bb.1940:                             ;   in Loop: Header=BB4_274 Depth=3
	s_mov_b32 s72, 0
	s_mov_b32 s75, 0
                                        ; implicit-def: $sgpr73
                                        ; implicit-def: $sgpr74
	s_inst_prefetch 0x1
	s_branch .LBB4_1942
	.p2align	6
.LBB4_1941:                             ;   in Loop: Header=BB4_1942 Depth=4
	s_or_b32 exec_lo, exec_lo, s77
	s_and_b32 s76, exec_lo, s78
	s_or_b32 s72, s76, s72
	s_andn2_b32 s73, s73, exec_lo
	s_and_b32 s76, s74, exec_lo
	s_or_b32 s73, s73, s76
	s_andn2_b32 exec_lo, exec_lo, s72
	s_cbranch_execz .LBB4_1946
.LBB4_1942:                             ;   Parent Loop BB4_47 Depth=1
                                        ;     Parent Loop BB4_271 Depth=2
                                        ;       Parent Loop BB4_274 Depth=3
                                        ; =>      This Inner Loop Header: Depth=4
	s_add_i32 s75, s75, 1
	s_cmpk_lg_i32 s75, 0x2710
	s_cselect_b32 s76, -1, 0
	s_and_b32 vcc_lo, exec_lo, s76
	s_cbranch_vccz .LBB4_1944
; %bb.1943:                             ;   in Loop: Header=BB4_1942 Depth=4
	s_mov_b32 s78, -1
	s_or_b32 s74, s74, exec_lo
	s_and_saveexec_b32 s77, s76
	s_cbranch_execz .LBB4_1941
	s_branch .LBB4_1945
	.p2align	6
.LBB4_1944:                             ;   in Loop: Header=BB4_1942 Depth=4
	s_trap 2
	ds_read_b64 v[8:9], v0
	s_andn2_b32 s76, s76, exec_lo
	s_mov_b32 s75, 0
	s_waitcnt lgkmcnt(0)
	flat_load_dword v3, v[8:9] glc dlc
	s_waitcnt vmcnt(0) lgkmcnt(0)
	buffer_gl1_inv
	buffer_gl0_inv
	v_cmp_eq_u32_e32 vcc_lo, 0, v3
	s_and_b32 s77, vcc_lo, exec_lo
	s_or_b32 s76, s76, s77
	s_mov_b32 s78, -1
	s_or_b32 s74, s74, exec_lo
	s_and_saveexec_b32 s77, s76
	s_cbranch_execz .LBB4_1941
.LBB4_1945:                             ;   in Loop: Header=BB4_1942 Depth=4
	s_sleep 1
	s_trap 2
	ds_read_b64 v[8:9], v0
	s_waitcnt lgkmcnt(0)
	buffer_gl0_inv
	s_andn2_b32 s74, s74, exec_lo
	v_cmp_ge_u64_e32 vcc_lo, v[8:9], v[38:39]
	s_orn2_b32 s78, vcc_lo, exec_lo
	s_branch .LBB4_1941
.LBB4_1946:                             ;   in Loop: Header=BB4_274 Depth=3
	s_inst_prefetch 0x2
	s_or_b32 exec_lo, exec_lo, s72
	s_and_saveexec_b32 s72, s73
	s_xor_b32 s72, exec_lo, s72
	s_cbranch_execz .LBB4_1948
; %bb.1947:                             ;   in Loop: Header=BB4_274 Depth=3
	ds_write_b32 v0, v113
	s_trap 2
.LBB4_1948:                             ;   in Loop: Header=BB4_274 Depth=3
	s_or_b32 exec_lo, exec_lo, s63
	;;#ASMSTART
	s_wakeup
	;;#ASMEND
.LBB4_1949:                             ;   in Loop: Header=BB4_274 Depth=3
	s_or_b32 exec_lo, exec_lo, s62
.LBB4_1950:                             ;   in Loop: Header=BB4_274 Depth=3
	s_andn2_saveexec_b32 s61, s61
	s_cbranch_execz .LBB4_1952
; %bb.1951:                             ;   in Loop: Header=BB4_274 Depth=3
	s_waitcnt vmcnt(0) lgkmcnt(0)
	s_waitcnt_vscnt null, 0x0
	buffer_gl1_inv
	buffer_gl0_inv
	s_barrier
.LBB4_1952:                             ;   in Loop: Header=BB4_274 Depth=3
	s_or_b32 exec_lo, exec_lo, s61
	s_or_b32 exec_lo, exec_lo, s17
                                        ; implicit-def: $vgpr3
	s_and_saveexec_b32 s17, s13
	s_xor_b32 s17, exec_lo, s17
	s_cbranch_execnz .LBB4_350
.LBB4_1953:                             ;   in Loop: Header=BB4_274 Depth=3
	s_andn2_saveexec_b32 s16, s17
	s_cbranch_execz .LBB4_1972
.LBB4_1954:                             ;   in Loop: Header=BB4_274 Depth=3
	s_and_saveexec_b32 s17, s29
	s_xor_b32 s17, exec_lo, s17
	s_cbranch_execz .LBB4_1969
; %bb.1955:                             ;   in Loop: Header=BB4_274 Depth=3
	s_and_saveexec_b32 s61, s11
	s_cbranch_execz .LBB4_1968
; %bb.1956:                             ;   in Loop: Header=BB4_274 Depth=3
	s_mov_b32 s63, exec_lo
	s_mov_b32 s62, exec_lo
	v_mbcnt_lo_u32_b32 v3, s63, 0
	;;#ASMSTART
	s_waitcnt lgkmcnt(0) vmcnt(0)
	;;#ASMEND
	v_cmpx_eq_u32_e32 0, v3
	s_cbranch_execz .LBB4_1958
; %bb.1957:                             ;   in Loop: Header=BB4_274 Depth=3
	s_bcnt1_i32_b32 s63, s63
	v_mov_b32_e32 v9, v2
	v_mov_b32_e32 v8, s63
	s_waitcnt vmcnt(0) lgkmcnt(0)
	s_waitcnt_vscnt null, 0x0
	ds_add_u64 v0, v[8:9]
	s_trap 2
.LBB4_1958:                             ;   in Loop: Header=BB4_274 Depth=3
	s_or_b32 exec_lo, exec_lo, s62
	s_trap 2
	ds_read_b64 v[8:9], v0
	s_waitcnt vmcnt(0) lgkmcnt(0)
	buffer_gl0_inv
	v_add_co_u32 v38, vcc_lo, v38, v103
	v_add_co_ci_u32_e64 v39, null, 0, v39, vcc_lo
	s_mov_b32 s62, exec_lo
	v_cmpx_lt_u64_e64 v[8:9], v[38:39]
	s_cbranch_execz .LBB4_1967
; %bb.1959:                             ;   in Loop: Header=BB4_274 Depth=3
	s_mov_b32 s63, 0
	s_mov_b32 s74, 0
                                        ; implicit-def: $sgpr72
                                        ; implicit-def: $sgpr73
	s_inst_prefetch 0x1
	s_branch .LBB4_1961
	.p2align	6
.LBB4_1960:                             ;   in Loop: Header=BB4_1961 Depth=4
	s_or_b32 exec_lo, exec_lo, s76
	s_and_b32 s75, exec_lo, s77
	s_or_b32 s63, s75, s63
	s_andn2_b32 s72, s72, exec_lo
	s_and_b32 s75, s73, exec_lo
	s_or_b32 s72, s72, s75
	s_andn2_b32 exec_lo, exec_lo, s63
	s_cbranch_execz .LBB4_1965
.LBB4_1961:                             ;   Parent Loop BB4_47 Depth=1
                                        ;     Parent Loop BB4_271 Depth=2
                                        ;       Parent Loop BB4_274 Depth=3
                                        ; =>      This Inner Loop Header: Depth=4
	s_add_i32 s74, s74, 1
	s_cmpk_lg_i32 s74, 0x2710
	s_cselect_b32 s75, -1, 0
	s_and_b32 vcc_lo, exec_lo, s75
	s_cbranch_vccz .LBB4_1963
; %bb.1962:                             ;   in Loop: Header=BB4_1961 Depth=4
	s_mov_b32 s77, -1
	s_or_b32 s73, s73, exec_lo
	s_and_saveexec_b32 s76, s75
	s_cbranch_execz .LBB4_1960
	s_branch .LBB4_1964
	.p2align	6
.LBB4_1963:                             ;   in Loop: Header=BB4_1961 Depth=4
	s_trap 2
	ds_read_b64 v[8:9], v0
	s_andn2_b32 s75, s75, exec_lo
	s_mov_b32 s74, 0
	s_waitcnt lgkmcnt(0)
	s_waitcnt_vscnt null, 0x0
	flat_load_dword v3, v[8:9] glc dlc
	s_waitcnt vmcnt(0) lgkmcnt(0)
	buffer_gl1_inv
	buffer_gl0_inv
	v_cmp_eq_u32_e32 vcc_lo, 0, v3
	s_and_b32 s76, vcc_lo, exec_lo
	s_or_b32 s75, s75, s76
	s_mov_b32 s77, -1
	s_or_b32 s73, s73, exec_lo
	s_and_saveexec_b32 s76, s75
	s_cbranch_execz .LBB4_1960
.LBB4_1964:                             ;   in Loop: Header=BB4_1961 Depth=4
	s_sleep 1
	s_trap 2
	ds_read_b64 v[8:9], v0
	s_waitcnt lgkmcnt(0)
	buffer_gl0_inv
	s_andn2_b32 s73, s73, exec_lo
	v_cmp_ge_u64_e32 vcc_lo, v[8:9], v[38:39]
	s_orn2_b32 s77, vcc_lo, exec_lo
	s_branch .LBB4_1960
.LBB4_1965:                             ;   in Loop: Header=BB4_274 Depth=3
	s_inst_prefetch 0x2
	s_or_b32 exec_lo, exec_lo, s63
	s_and_saveexec_b32 s63, s72
	s_xor_b32 s63, exec_lo, s63
	s_cbranch_execz .LBB4_1967
; %bb.1966:                             ;   in Loop: Header=BB4_274 Depth=3
	ds_write_b32 v0, v113
	s_trap 2
.LBB4_1967:                             ;   in Loop: Header=BB4_274 Depth=3
	s_or_b32 exec_lo, exec_lo, s62
	;;#ASMSTART
	s_wakeup
	;;#ASMEND
.LBB4_1968:                             ;   in Loop: Header=BB4_274 Depth=3
	s_or_b32 exec_lo, exec_lo, s61
.LBB4_1969:                             ;   in Loop: Header=BB4_274 Depth=3
	s_andn2_saveexec_b32 s17, s17
	s_cbranch_execz .LBB4_1971
; %bb.1970:                             ;   in Loop: Header=BB4_274 Depth=3
	;;#ASMSTART
	s_waitcnt lgkmcnt(0) vmcnt(0)
	;;#ASMEND
	s_barrier
.LBB4_1971:                             ;   in Loop: Header=BB4_274 Depth=3
	s_or_b32 exec_lo, exec_lo, s17
	v_and_b32_e32 v3, 16, v100
.LBB4_1972:                             ;   in Loop: Header=BB4_274 Depth=3
	s_or_b32 exec_lo, exec_lo, s16
	v_cmp_ne_u32_e32 vcc_lo, 0, v3
	s_xor_b32 s16, s7, -1
	s_and_b32 s17, vcc_lo, s16
	s_and_saveexec_b32 s16, s17
	s_cbranch_execz .LBB4_1974
; %bb.1973:                             ;   in Loop: Header=BB4_274 Depth=3
	s_waitcnt vmcnt(0) lgkmcnt(0)
	s_waitcnt_vscnt null, 0x0
	flat_store_dword v[36:37], v113
.LBB4_1974:                             ;   in Loop: Header=BB4_274 Depth=3
	s_or_b32 exec_lo, exec_lo, s16
	v_and_b32_e32 v3, 48, v100
	s_mov_b32 s16, exec_lo
	v_cmpx_ne_u32_e32 0, v3
	s_cbranch_execz .LBB4_273
; %bb.1975:                             ;   in Loop: Header=BB4_274 Depth=3
	v_add_co_u32 v64, vcc_lo, v64, 2
	v_add_co_ci_u32_e64 v65, null, 0, v65, vcc_lo
	s_waitcnt vmcnt(0) lgkmcnt(0)
	s_waitcnt_vscnt null, 0x0
	flat_store_dwordx2 v[32:33], v[64:65]
	s_branch .LBB4_273
.LBB4_1976:                             ;   in Loop: Header=BB4_271 Depth=2
	s_or_b32 exec_lo, exec_lo, s21
.LBB4_1977:                             ;   in Loop: Header=BB4_271 Depth=2
	s_or_b32 exec_lo, exec_lo, s19
	s_mov_b32 s17, exec_lo
	v_cmpx_gt_i32_e32 2, v3
	s_cbranch_execz .LBB4_270
; %bb.1978:                             ;   in Loop: Header=BB4_271 Depth=2
	v_cmp_eq_u32_e64 s21, 0, v3
	s_mov_b32 s19, 0
	s_branch .LBB4_1980
.LBB4_1979:                             ;   in Loop: Header=BB4_1980 Depth=3
	s_or_b32 exec_lo, exec_lo, s16
	v_add_nc_u32_e32 v99, v68, v99
	s_mov_b32 s21, 0
	s_andn2_b32 exec_lo, exec_lo, s19
	s_cbranch_execz .LBB4_269
.LBB4_1980:                             ;   Parent Loop BB4_47 Depth=1
                                        ;     Parent Loop BB4_271 Depth=2
                                        ; =>    This Loop Header: Depth=3
                                        ;         Child Loop BB4_1986 Depth 4
                                        ;         Child Loop BB4_2014 Depth 4
	;; [unrolled: 1-line block ×3, first 2 shown]
	v_sub_nc_u32_e32 v3, v98, v99
	v_and_b32_e32 v8, 12, v100
	s_mov_b32 s22, exec_lo
	v_min_i32_e32 v68, v68, v3
	v_cmpx_ne_u32_e32 0, v8
	s_cbranch_execz .LBB4_2006
; %bb.1981:                             ;   in Loop: Header=BB4_1980 Depth=3
	v_and_b32_e32 v3, 8, v100
	s_mov_b32 s23, exec_lo
	s_waitcnt vmcnt(0) lgkmcnt(1)
	v_add_co_u32 v10, vcc_lo, v48, v3
	v_add_co_ci_u32_e64 v11, null, 0, v49, vcc_lo
	v_add_co_u32 v8, vcc_lo, v64, 2
	v_add_co_ci_u32_e64 v9, null, 0, v65, vcc_lo
	v_cmpx_lt_u64_e64 v[10:11], v[8:9]
	s_cbranch_execz .LBB4_1993
; %bb.1982:                             ;   in Loop: Header=BB4_1980 Depth=3
	v_and_b32_e32 v10, 64, v100
	s_mov_b32 s61, 0
	s_mov_b32 s73, 0
                                        ; implicit-def: $sgpr62
                                        ; implicit-def: $sgpr63
                                        ; implicit-def: $sgpr72
	v_cmp_eq_u32_e32 vcc_lo, 0, v10
	s_branch .LBB4_1986
.LBB4_1983:                             ;   in Loop: Header=BB4_1986 Depth=4
	s_waitcnt vmcnt(0) lgkmcnt(0)
	v_add_co_u32 v11, s16, v48, v3
	v_add_co_ci_u32_e64 v12, null, 0, v49, s16
	s_or_b32 s76, s76, exec_lo
	v_cmp_ge_u64_e64 s16, v[11:12], v[8:9]
	s_orn2_b32 s75, s16, exec_lo
.LBB4_1984:                             ;   in Loop: Header=BB4_1986 Depth=4
	s_or_b32 exec_lo, exec_lo, s78
	s_andn2_b32 s16, s72, exec_lo
	s_and_b32 s72, s76, exec_lo
	s_andn2_b32 s63, s63, exec_lo
	s_and_b32 s75, s75, exec_lo
	s_or_b32 s72, s16, s72
	s_or_b32 s63, s63, s75
.LBB4_1985:                             ;   in Loop: Header=BB4_1986 Depth=4
	s_or_b32 exec_lo, exec_lo, s74
	s_and_b32 s16, exec_lo, s63
	s_or_b32 s61, s16, s61
	s_andn2_b32 s16, s62, exec_lo
	s_and_b32 s62, s72, exec_lo
	s_or_b32 s62, s16, s62
	s_andn2_b32 exec_lo, exec_lo, s61
	s_cbranch_execz .LBB4_1990
.LBB4_1986:                             ;   Parent Loop BB4_47 Depth=1
                                        ;     Parent Loop BB4_271 Depth=2
                                        ;       Parent Loop BB4_1980 Depth=3
                                        ; =>      This Inner Loop Header: Depth=4
	s_sleep 1
	s_waitcnt vmcnt(0) lgkmcnt(0)
	flat_load_dwordx2 v[48:49], v[32:33] glc dlc
	s_or_b32 s72, s72, exec_lo
	s_or_b32 s63, s63, exec_lo
                                        ; implicit-def: $vgpr10
	s_and_saveexec_b32 s74, vcc_lo
	s_cbranch_execz .LBB4_1985
; %bb.1987:                             ;   in Loop: Header=BB4_1986 Depth=4
	s_cmpk_lt_i32 s73, 0x270f
	s_mov_b32 s75, -1
	s_cselect_b32 s77, -1, 0
	s_cmpk_gt_i32 s73, 0x270e
	s_cbranch_scc0 .LBB4_1989
; %bb.1988:                             ;   in Loop: Header=BB4_1986 Depth=4
	s_trap 2
	ds_read_b64 v[10:11], v0
	s_andn2_b32 s73, s77, exec_lo
	s_mov_b32 s76, 0
	s_waitcnt vmcnt(0) lgkmcnt(0)
	s_waitcnt_vscnt null, 0x0
	flat_load_dword v10, v[10:11] glc dlc
	s_waitcnt vmcnt(0) lgkmcnt(0)
	buffer_gl1_inv
	buffer_gl0_inv
	v_cmp_eq_u32_e64 s16, 0, v10
	s_and_b32 s16, s16, exec_lo
	s_or_b32 s77, s73, s16
	s_mov_b32 s73, 0
	s_and_saveexec_b32 s78, s77
	s_cbranch_execz .LBB4_1984
	s_branch .LBB4_1983
.LBB4_1989:                             ;   in Loop: Header=BB4_1986 Depth=4
	s_add_i32 s73, s73, 1
	s_mov_b32 s76, -1
                                        ; implicit-def: $vgpr10
	s_and_saveexec_b32 s78, s77
	s_cbranch_execz .LBB4_1984
	s_branch .LBB4_1983
.LBB4_1990:                             ;   in Loop: Header=BB4_1980 Depth=3
	s_or_b32 exec_lo, exec_lo, s61
	s_xor_b32 s16, s62, -1
	s_and_saveexec_b32 s61, s16
	s_xor_b32 s16, exec_lo, s61
	s_cbranch_execz .LBB4_1992
; %bb.1991:                             ;   in Loop: Header=BB4_1980 Depth=3
	v_or_b32_e32 v100, 64, v100
	s_waitcnt vmcnt(0) lgkmcnt(0)
	s_waitcnt_vscnt null, 0x0
	ds_write_b32 v0, v10
	s_trap 2
.LBB4_1992:                             ;   in Loop: Header=BB4_1980 Depth=3
	s_or_b32 exec_lo, exec_lo, s16
.LBB4_1993:                             ;   in Loop: Header=BB4_1980 Depth=3
	s_or_b32 exec_lo, exec_lo, s23
	v_and_b32_e32 v10, 0x108, v100
	;;#ASMSTART
	s_wakeup
	;;#ASMEND
	v_cmp_ne_u32_e32 vcc_lo, 0x108, v10
                                        ; implicit-def: $vgpr10_vgpr11
	s_and_saveexec_b32 s16, vcc_lo
	s_xor_b32 s16, exec_lo, s16
; %bb.1994:                             ;   in Loop: Header=BB4_1980 Depth=3
	v_and_b32_e32 v10, 7, v64
	v_mov_b32_e32 v11, v2
                                        ; implicit-def: $vgpr64_vgpr65
; %bb.1995:                             ;   in Loop: Header=BB4_1980 Depth=3
	s_andn2_saveexec_b32 s16, s16
	s_cbranch_execz .LBB4_1997
; %bb.1996:                             ;   in Loop: Header=BB4_1980 Depth=3
	v_and_b32_e32 v10, 7, v64
	v_ashrrev_i32_e32 v69, 31, v68
	v_mov_b32_e32 v11, v2
	v_mad_u64_u32 v[12:13], null, v10, 24, v[6:7]
	flat_store_dwordx2 v[12:13], v[68:69] offset:8
.LBB4_1997:                             ;   in Loop: Header=BB4_1980 Depth=3
	s_or_b32 exec_lo, exec_lo, s16
	v_and_b32_e32 v12, 0x100, v100
	s_mov_b32 s16, -1
	v_cmp_ne_u32_e32 vcc_lo, 0, v12
                                        ; implicit-def: $vgpr12_vgpr13
	s_and_saveexec_b32 s23, vcc_lo
	s_cbranch_execz .LBB4_2001
; %bb.1998:                             ;   in Loop: Header=BB4_1980 Depth=3
	v_mad_u64_u32 v[14:15], null, v10, 24, v[6:7]
	v_mov_b32_e32 v12, v15
	v_mad_u64_u32 v[12:13], null, v11, 24, v[12:13]
	v_mov_b32_e32 v15, v12
	flat_load_dword v12, v[14:15]
	s_waitcnt vmcnt(0) lgkmcnt(0)
	v_cmp_eq_u32_e64 s16, 1, v12
	v_cmp_ne_u32_e32 vcc_lo, 1, v12
                                        ; implicit-def: $vgpr12_vgpr13
	s_and_saveexec_b32 s61, s16
	s_cbranch_execz .LBB4_2000
; %bb.1999:                             ;   in Loop: Header=BB4_1980 Depth=3
	flat_load_dword v12, v[14:15] offset:4 glc dlc
	s_waitcnt vmcnt(0) lgkmcnt(0)
	v_ashrrev_i32_e32 v13, 31, v12
.LBB4_2000:                             ;   in Loop: Header=BB4_1980 Depth=3
	s_or_b32 exec_lo, exec_lo, s61
	s_orn2_b32 s16, vcc_lo, exec_lo
.LBB4_2001:                             ;   in Loop: Header=BB4_1980 Depth=3
	s_or_b32 exec_lo, exec_lo, s23
	s_and_saveexec_b32 s23, s16
; %bb.2002:                             ;   in Loop: Header=BB4_1980 Depth=3
	v_mul_lo_u32 v11, v11, v101
	v_mul_lo_u32 v14, v10, v102
	v_mad_u64_u32 v[12:13], null, v10, v101, 0
	v_add3_u32 v13, v13, v14, v11
; %bb.2003:                             ;   in Loop: Header=BB4_1980 Depth=3
	s_or_b32 exec_lo, exec_lo, s23
	v_cmp_eq_u32_e32 vcc_lo, 0, v3
	v_and_b32_e32 v14, 0x2000, v100
	s_mov_b32 s16, exec_lo
	v_cndmask_b32_e32 v3, 0xc8, v114, vcc_lo
	v_add_co_u32 v10, vcc_lo, v34, v12
	v_add_co_ci_u32_e64 v11, null, v35, v13, vcc_lo
	v_add_nc_u32_e32 v3, v0, v3
	ds_write_b64 v3, v[10:11] offset:584
	v_cmpx_ne_u32_e32 0, v14
	s_cbranch_execz .LBB4_2005
; %bb.2004:                             ;   in Loop: Header=BB4_1980 Depth=3
	ds_read_b64 v[10:11], v0 offset:872
	s_waitcnt lgkmcnt(0)
	v_add_co_u32 v10, vcc_lo, v10, 1
	v_add_co_ci_u32_e64 v11, null, 0, v11, vcc_lo
	ds_write_b64 v0, v[10:11] offset:872
.LBB4_2005:                             ;   in Loop: Header=BB4_1980 Depth=3
	s_or_b32 exec_lo, exec_lo, s16
	v_mov_b32_e32 v65, v9
	v_mov_b32_e32 v64, v8
.LBB4_2006:                             ;   in Loop: Header=BB4_1980 Depth=3
	s_or_b32 exec_lo, exec_lo, s22
	s_xor_b32 s16, s21, -1
	s_and_b32 s16, exec_lo, s16
	s_or_b32 s19, s16, s19
	s_and_saveexec_b32 s16, s6
	s_cbranch_execz .LBB4_2025
; %bb.2007:                             ;   in Loop: Header=BB4_1980 Depth=3
	s_and_saveexec_b32 s21, s29
	s_xor_b32 s21, exec_lo, s21
	s_cbranch_execz .LBB4_2022
; %bb.2008:                             ;   in Loop: Header=BB4_1980 Depth=3
	s_and_saveexec_b32 s22, s11
	s_cbranch_execz .LBB4_2021
; %bb.2009:                             ;   in Loop: Header=BB4_1980 Depth=3
	s_mov_b32 s61, exec_lo
	s_mov_b32 s23, exec_lo
	v_mbcnt_lo_u32_b32 v3, s61, 0
	s_waitcnt vmcnt(0) lgkmcnt(0)
	s_waitcnt_vscnt null, 0x0
	buffer_gl1_inv
	buffer_gl0_inv
	v_cmpx_eq_u32_e32 0, v3
	s_cbranch_execz .LBB4_2011
; %bb.2010:                             ;   in Loop: Header=BB4_1980 Depth=3
	s_bcnt1_i32_b32 s61, s61
	v_mov_b32_e32 v9, v2
	v_mov_b32_e32 v8, s61
	ds_add_u64 v0, v[8:9]
	s_trap 2
.LBB4_2011:                             ;   in Loop: Header=BB4_1980 Depth=3
	s_or_b32 exec_lo, exec_lo, s23
	s_trap 2
	ds_read_b64 v[8:9], v0
	s_waitcnt lgkmcnt(0)
	buffer_gl0_inv
	v_add_co_u32 v38, vcc_lo, v38, v103
	v_add_co_ci_u32_e64 v39, null, 0, v39, vcc_lo
	s_mov_b32 s23, exec_lo
	v_cmpx_lt_u64_e64 v[8:9], v[38:39]
	s_cbranch_execz .LBB4_2020
; %bb.2012:                             ;   in Loop: Header=BB4_1980 Depth=3
	s_mov_b32 s61, 0
	s_mov_b32 s72, 0
                                        ; implicit-def: $sgpr62
                                        ; implicit-def: $sgpr63
	s_inst_prefetch 0x1
	s_branch .LBB4_2014
	.p2align	6
.LBB4_2013:                             ;   in Loop: Header=BB4_2014 Depth=4
	s_or_b32 exec_lo, exec_lo, s74
	s_and_b32 s73, exec_lo, s75
	s_or_b32 s61, s73, s61
	s_andn2_b32 s62, s62, exec_lo
	s_and_b32 s73, s63, exec_lo
	s_or_b32 s62, s62, s73
	s_andn2_b32 exec_lo, exec_lo, s61
	s_cbranch_execz .LBB4_2018
.LBB4_2014:                             ;   Parent Loop BB4_47 Depth=1
                                        ;     Parent Loop BB4_271 Depth=2
                                        ;       Parent Loop BB4_1980 Depth=3
                                        ; =>      This Inner Loop Header: Depth=4
	s_add_i32 s72, s72, 1
	s_cmpk_lg_i32 s72, 0x2710
	s_cselect_b32 s73, -1, 0
	s_and_b32 vcc_lo, exec_lo, s73
	s_cbranch_vccz .LBB4_2016
; %bb.2015:                             ;   in Loop: Header=BB4_2014 Depth=4
	s_mov_b32 s75, -1
	s_or_b32 s63, s63, exec_lo
	s_and_saveexec_b32 s74, s73
	s_cbranch_execz .LBB4_2013
	s_branch .LBB4_2017
	.p2align	6
.LBB4_2016:                             ;   in Loop: Header=BB4_2014 Depth=4
	s_trap 2
	ds_read_b64 v[8:9], v0
	s_andn2_b32 s73, s73, exec_lo
	s_mov_b32 s72, 0
	s_waitcnt lgkmcnt(0)
	flat_load_dword v3, v[8:9] glc dlc
	s_waitcnt vmcnt(0) lgkmcnt(0)
	buffer_gl1_inv
	buffer_gl0_inv
	v_cmp_eq_u32_e32 vcc_lo, 0, v3
	s_and_b32 s74, vcc_lo, exec_lo
	s_or_b32 s73, s73, s74
	s_mov_b32 s75, -1
	s_or_b32 s63, s63, exec_lo
	s_and_saveexec_b32 s74, s73
	s_cbranch_execz .LBB4_2013
.LBB4_2017:                             ;   in Loop: Header=BB4_2014 Depth=4
	s_sleep 1
	s_trap 2
	ds_read_b64 v[8:9], v0
	s_waitcnt lgkmcnt(0)
	buffer_gl0_inv
	s_andn2_b32 s63, s63, exec_lo
	v_cmp_ge_u64_e32 vcc_lo, v[8:9], v[38:39]
	s_orn2_b32 s75, vcc_lo, exec_lo
	s_branch .LBB4_2013
.LBB4_2018:                             ;   in Loop: Header=BB4_1980 Depth=3
	s_inst_prefetch 0x2
	s_or_b32 exec_lo, exec_lo, s61
	s_and_saveexec_b32 s61, s62
	s_xor_b32 s61, exec_lo, s61
	s_cbranch_execz .LBB4_2020
; %bb.2019:                             ;   in Loop: Header=BB4_1980 Depth=3
	ds_write_b32 v0, v113
	s_trap 2
.LBB4_2020:                             ;   in Loop: Header=BB4_1980 Depth=3
	s_or_b32 exec_lo, exec_lo, s23
	;;#ASMSTART
	s_wakeup
	;;#ASMEND
.LBB4_2021:                             ;   in Loop: Header=BB4_1980 Depth=3
	s_or_b32 exec_lo, exec_lo, s22
.LBB4_2022:                             ;   in Loop: Header=BB4_1980 Depth=3
	s_andn2_saveexec_b32 s21, s21
	s_cbranch_execz .LBB4_2024
; %bb.2023:                             ;   in Loop: Header=BB4_1980 Depth=3
	s_waitcnt vmcnt(0) lgkmcnt(0)
	s_waitcnt_vscnt null, 0x0
	buffer_gl1_inv
	buffer_gl0_inv
	s_barrier
.LBB4_2024:                             ;   in Loop: Header=BB4_1980 Depth=3
	s_or_b32 exec_lo, exec_lo, s21
.LBB4_2025:                             ;   in Loop: Header=BB4_1980 Depth=3
	s_or_b32 exec_lo, exec_lo, s16
                                        ; implicit-def: $vgpr3
	s_and_saveexec_b32 s16, s47
	s_xor_b32 s16, exec_lo, s16
	s_cbranch_execz .LBB4_2037
; %bb.2026:                             ;   in Loop: Header=BB4_1980 Depth=3
	s_and_saveexec_b32 s21, s29
	s_xor_b32 s21, exec_lo, s21
	s_cbranch_execz .LBB4_2042
; %bb.2027:                             ;   in Loop: Header=BB4_1980 Depth=3
	s_and_saveexec_b32 s22, s11
	s_cbranch_execz .LBB4_2041
; %bb.2028:                             ;   in Loop: Header=BB4_1980 Depth=3
	s_mov_b32 s61, exec_lo
	s_mov_b32 s23, exec_lo
	v_mbcnt_lo_u32_b32 v3, s61, 0
	;;#ASMSTART
	s_waitcnt lgkmcnt(0) vmcnt(0)
	;;#ASMEND
	v_cmpx_eq_u32_e32 0, v3
	s_cbranch_execz .LBB4_2030
; %bb.2029:                             ;   in Loop: Header=BB4_1980 Depth=3
	s_bcnt1_i32_b32 s61, s61
	v_mov_b32_e32 v9, v2
	v_mov_b32_e32 v8, s61
	s_waitcnt vmcnt(0) lgkmcnt(0)
	s_waitcnt_vscnt null, 0x0
	ds_add_u64 v0, v[8:9]
	s_trap 2
.LBB4_2030:                             ;   in Loop: Header=BB4_1980 Depth=3
	s_or_b32 exec_lo, exec_lo, s23
	s_trap 2
	ds_read_b64 v[8:9], v0
	s_waitcnt vmcnt(0) lgkmcnt(0)
	buffer_gl0_inv
	v_add_co_u32 v38, vcc_lo, v38, v103
	v_add_co_ci_u32_e64 v39, null, 0, v39, vcc_lo
	s_mov_b32 s23, exec_lo
	v_cmpx_lt_u64_e64 v[8:9], v[38:39]
	s_cbranch_execz .LBB4_2040
; %bb.2031:                             ;   in Loop: Header=BB4_1980 Depth=3
	s_mov_b32 s61, 0
	s_mov_b32 s72, 0
                                        ; implicit-def: $sgpr62
                                        ; implicit-def: $sgpr63
	s_inst_prefetch 0x1
	s_branch .LBB4_2033
	.p2align	6
.LBB4_2032:                             ;   in Loop: Header=BB4_2033 Depth=4
	s_or_b32 exec_lo, exec_lo, s74
	s_and_b32 s73, exec_lo, s75
	s_or_b32 s61, s73, s61
	s_andn2_b32 s62, s62, exec_lo
	s_and_b32 s73, s63, exec_lo
	s_or_b32 s62, s62, s73
	s_andn2_b32 exec_lo, exec_lo, s61
	s_cbranch_execz .LBB4_2038
.LBB4_2033:                             ;   Parent Loop BB4_47 Depth=1
                                        ;     Parent Loop BB4_271 Depth=2
                                        ;       Parent Loop BB4_1980 Depth=3
                                        ; =>      This Inner Loop Header: Depth=4
	s_add_i32 s72, s72, 1
	s_cmpk_lg_i32 s72, 0x2710
	s_cselect_b32 s73, -1, 0
	s_and_b32 vcc_lo, exec_lo, s73
	s_cbranch_vccz .LBB4_2035
; %bb.2034:                             ;   in Loop: Header=BB4_2033 Depth=4
	s_mov_b32 s75, -1
	s_or_b32 s63, s63, exec_lo
	s_and_saveexec_b32 s74, s73
	s_cbranch_execz .LBB4_2032
	s_branch .LBB4_2036
	.p2align	6
.LBB4_2035:                             ;   in Loop: Header=BB4_2033 Depth=4
	s_trap 2
	ds_read_b64 v[8:9], v0
	s_andn2_b32 s73, s73, exec_lo
	s_mov_b32 s72, 0
	s_waitcnt lgkmcnt(0)
	s_waitcnt_vscnt null, 0x0
	flat_load_dword v3, v[8:9] glc dlc
	s_waitcnt vmcnt(0) lgkmcnt(0)
	buffer_gl1_inv
	buffer_gl0_inv
	v_cmp_eq_u32_e32 vcc_lo, 0, v3
	s_and_b32 s74, vcc_lo, exec_lo
	s_or_b32 s73, s73, s74
	s_mov_b32 s75, -1
	s_or_b32 s63, s63, exec_lo
	s_and_saveexec_b32 s74, s73
	s_cbranch_execz .LBB4_2032
.LBB4_2036:                             ;   in Loop: Header=BB4_2033 Depth=4
	s_sleep 1
	s_trap 2
	ds_read_b64 v[8:9], v0
	s_waitcnt lgkmcnt(0)
	buffer_gl0_inv
	s_andn2_b32 s63, s63, exec_lo
	v_cmp_ge_u64_e32 vcc_lo, v[8:9], v[38:39]
	s_orn2_b32 s75, vcc_lo, exec_lo
	s_branch .LBB4_2032
.LBB4_2037:                             ;   in Loop: Header=BB4_1980 Depth=3
	s_andn2_saveexec_b32 s21, s16
	s_cbranch_execnz .LBB4_2045
	s_branch .LBB4_2048
.LBB4_2038:                             ;   in Loop: Header=BB4_1980 Depth=3
	s_inst_prefetch 0x2
	s_or_b32 exec_lo, exec_lo, s61
	s_and_saveexec_b32 s61, s62
	s_xor_b32 s61, exec_lo, s61
	s_cbranch_execz .LBB4_2040
; %bb.2039:                             ;   in Loop: Header=BB4_1980 Depth=3
	ds_write_b32 v0, v113
	s_trap 2
.LBB4_2040:                             ;   in Loop: Header=BB4_1980 Depth=3
	s_or_b32 exec_lo, exec_lo, s23
	;;#ASMSTART
	s_wakeup
	;;#ASMEND
.LBB4_2041:                             ;   in Loop: Header=BB4_1980 Depth=3
	s_or_b32 exec_lo, exec_lo, s22
.LBB4_2042:                             ;   in Loop: Header=BB4_1980 Depth=3
	s_andn2_saveexec_b32 s21, s21
	s_cbranch_execz .LBB4_2044
; %bb.2043:                             ;   in Loop: Header=BB4_1980 Depth=3
	;;#ASMSTART
	s_waitcnt lgkmcnt(0) vmcnt(0)
	;;#ASMEND
	s_barrier
.LBB4_2044:                             ;   in Loop: Header=BB4_1980 Depth=3
	s_or_b32 exec_lo, exec_lo, s21
	v_and_b32_e32 v3, 16, v100
	s_andn2_saveexec_b32 s21, s16
	s_cbranch_execz .LBB4_2048
.LBB4_2045:                             ;   in Loop: Header=BB4_1980 Depth=3
	s_trap 2
	ds_read_b32 v3, v0
	v_cmp_lt_i32_e32 vcc_lo, 0, v68
	s_waitcnt lgkmcnt(0)
	v_readfirstlane_b32 s16, v3
	v_and_b32_e32 v3, 16, v100
	s_cmp_eq_u32 s16, 0
	v_cmp_ne_u32_e64 s16, 0, v3
	s_cselect_b32 s22, -1, 0
	v_and_b32_e32 v3, 16, v100
	s_and_b32 s22, vcc_lo, s22
	s_and_b32 s22, s16, s22
	s_and_saveexec_b32 s16, s22
	s_cbranch_execz .LBB4_2047
; %bb.2046:                             ;   in Loop: Header=BB4_1980 Depth=3
	v_mov_b32_e32 v3, 1
	s_waitcnt vmcnt(0)
	s_waitcnt_vscnt null, 0x0
	buffer_gl1_inv
	buffer_gl0_inv
.LBB4_2047:                             ;   in Loop: Header=BB4_1980 Depth=3
	s_or_b32 exec_lo, exec_lo, s16
.LBB4_2048:                             ;   in Loop: Header=BB4_1980 Depth=3
	s_or_b32 exec_lo, exec_lo, s21
	v_cmp_ne_u32_e32 vcc_lo, 0, v3
	s_xor_b32 s16, s7, -1
	s_and_b32 s21, vcc_lo, s16
	s_and_saveexec_b32 s16, s21
	s_cbranch_execz .LBB4_2050
; %bb.2049:                             ;   in Loop: Header=BB4_1980 Depth=3
	s_waitcnt vmcnt(0) lgkmcnt(0)
	s_waitcnt_vscnt null, 0x0
	flat_store_dword v[36:37], v113
.LBB4_2050:                             ;   in Loop: Header=BB4_1980 Depth=3
	s_or_b32 exec_lo, exec_lo, s16
	v_and_b32_e32 v3, 48, v100
	s_mov_b32 s16, exec_lo
	v_cmpx_ne_u32_e32 0, v3
	s_cbranch_execz .LBB4_1979
; %bb.2051:                             ;   in Loop: Header=BB4_1980 Depth=3
	v_add_co_u32 v64, vcc_lo, v64, 2
	v_add_co_ci_u32_e64 v65, null, 0, v65, vcc_lo
	s_waitcnt vmcnt(0) lgkmcnt(0)
	s_waitcnt_vscnt null, 0x0
	flat_store_dwordx2 v[32:33], v[64:65]
	s_branch .LBB4_1979
.LBB4_2052:                             ;   in Loop: Header=BB4_47 Depth=1
	v_mul_lo_u32 v3, v55, s25
	v_mul_lo_u32 v10, v54, s28
	v_mad_u64_u32 v[8:9], null, v54, s25, 0
	v_mov_b32_e32 v71, 0
	v_add3_u32 v9, v9, v10, v3
	v_sub_co_u32 v10, vcc_lo, v66, v8
	v_sub_co_ci_u32_e64 v11, null, v67, v9, vcc_lo
	v_cmp_lt_i64_e32 vcc_lo, v[54:55], v[10:11]
	v_cndmask_b32_e32 v11, v10, v54, vcc_lo
	v_max_i32_e32 v3, 0, v11
	v_cmp_lt_i32_e32 vcc_lo, 0, v11
	v_add_nc_u32_e32 v10, 31, v3
	s_and_b32 s16, s57, vcc_lo
	v_lshrrev_b32_e32 v10, 1, v10
	v_and_b32_e32 v12, 0x3ffffff0, v10
	v_mov_b32_e32 v10, 0
	v_max_i32_e32 v68, s45, v12
	s_and_saveexec_b32 s21, s16
	s_cbranch_execz .LBB4_5353
; %bb.2053:                             ;   in Loop: Header=BB4_47 Depth=1
	v_add_co_u32 v77, vcc_lo, v8, v75
	v_add_co_ci_u32_e64 v78, null, v9, v76, vcc_lo
	v_mov_b32_e32 v71, 0
	s_mov_b32 s63, 1
	s_mov_b32 s62, -1
	s_mov_b32 s61, 0
	s_branch .LBB4_2055
.LBB4_2054:                             ;   in Loop: Header=BB4_2055 Depth=2
	s_or_b32 exec_lo, exec_lo, s16
	v_add_nc_u32_e32 v71, v68, v71
	s_xor_b32 s16, s62, -1
	v_mov_b32_e32 v10, s63
	s_mov_b32 s62, 0
	s_mov_b32 s63, 2
	v_cmp_ge_i32_e32 vcc_lo, v71, v3
	s_or_b32 s16, s16, vcc_lo
	s_and_b32 s16, exec_lo, s16
	s_or_b32 s61, s16, s61
	s_andn2_b32 exec_lo, exec_lo, s61
	s_cbranch_execz .LBB4_5352
.LBB4_2055:                             ;   Parent Loop BB4_47 Depth=1
                                        ; =>  This Loop Header: Depth=2
                                        ;       Child Loop BB4_2063 Depth 3
                                        ;       Child Loop BB4_2091 Depth 3
                                        ;       Child Loop BB4_2110 Depth 3
                                        ;       Child Loop BB4_2140 Depth 3
                                        ;       Child Loop BB4_2910 Depth 3
                                        ;         Child Loop BB4_3231 Depth 4
                                        ;       Child Loop BB4_3307 Depth 3
                                        ;       Child Loop BB4_3693 Depth 3
                                        ;         Child Loop BB4_3714 Depth 4
                                        ;       Child Loop BB4_3733 Depth 3
                                        ;       Child Loop BB4_4506 Depth 3
	;; [unrolled: 1-line block ×6, first 2 shown]
	s_and_saveexec_b32 s17, s4
	s_cbranch_execz .LBB4_2057
; %bb.2056:                             ;   in Loop: Header=BB4_2055 Depth=2
	s_trap 2
	ds_read2_b64 v[8:11], v0 offset1:1
	ds_read_b64 v[12:13], v0
	v_ashrrev_i32_e32 v14, 31, v71
	s_waitcnt lgkmcnt(1)
	v_add_co_u32 v8, vcc_lo, v8, v77
	v_add_co_ci_u32_e64 v9, null, v9, v78, vcc_lo
	v_add_co_u32 v10, vcc_lo, v10, v77
	v_add_co_ci_u32_e64 v11, null, v11, v78, vcc_lo
	s_waitcnt lgkmcnt(0)
	v_add_co_u32 v15, vcc_lo, v12, v77
	v_add_co_ci_u32_e64 v16, null, v13, v78, vcc_lo
	v_add_co_u32 v8, vcc_lo, v8, v71
	v_add_co_ci_u32_e64 v9, null, v9, v14, vcc_lo
	;; [unrolled: 2-line block ×3, first 2 shown]
	v_cmp_ne_u64_e32 vcc_lo, 0, v[12:13]
	v_add_co_u32 v10, s16, v10, v71
	v_add_co_ci_u32_e64 v11, null, v11, v14, s16
	v_cndmask_b32_e32 v13, 0, v16, vcc_lo
	v_cndmask_b32_e32 v12, 0, v15, vcc_lo
	ds_write_b64 v0, v[8:9]
	ds_write_b64 v0, v[10:11]
	;; [unrolled: 1-line block ×3, first 2 shown]
.LBB4_2057:                             ;   in Loop: Header=BB4_2055 Depth=2
	s_or_b32 exec_lo, exec_lo, s17
	v_sub_nc_u32_e32 v8, v3, v71
	v_and_b32_e32 v9, 12, v100
	s_mov_b32 s17, exec_lo
	v_min_i32_e32 v68, v68, v8
	v_cmpx_ne_u32_e32 0, v9
	s_cbranch_execz .LBB4_2083
; %bb.2058:                             ;   in Loop: Header=BB4_2055 Depth=2
	v_and_b32_e32 v16, 8, v100
	s_mov_b32 s18, exec_lo
	s_waitcnt vmcnt(0) lgkmcnt(1)
	v_add_co_u32 v10, vcc_lo, v48, v16
	v_add_co_ci_u32_e64 v11, null, 0, v49, vcc_lo
	v_add_co_u32 v8, vcc_lo, v64, 2
	v_add_co_ci_u32_e64 v9, null, 0, v65, vcc_lo
	v_cmpx_lt_u64_e64 v[10:11], v[8:9]
	s_cbranch_execz .LBB4_2070
; %bb.2059:                             ;   in Loop: Header=BB4_2055 Depth=2
	v_and_b32_e32 v10, 64, v100
	s_mov_b32 s19, 0
	s_mov_b32 s73, 0
                                        ; implicit-def: $sgpr22
                                        ; implicit-def: $sgpr23
                                        ; implicit-def: $sgpr72
	v_cmp_eq_u32_e32 vcc_lo, 0, v10
	s_branch .LBB4_2063
.LBB4_2060:                             ;   in Loop: Header=BB4_2063 Depth=3
	s_waitcnt vmcnt(0) lgkmcnt(0)
	v_add_co_u32 v11, s16, v48, v16
	v_add_co_ci_u32_e64 v12, null, 0, v49, s16
	s_or_b32 s76, s76, exec_lo
	v_cmp_ge_u64_e64 s16, v[11:12], v[8:9]
	s_orn2_b32 s75, s16, exec_lo
.LBB4_2061:                             ;   in Loop: Header=BB4_2063 Depth=3
	s_or_b32 exec_lo, exec_lo, s78
	s_andn2_b32 s16, s72, exec_lo
	s_and_b32 s72, s76, exec_lo
	s_andn2_b32 s23, s23, exec_lo
	s_and_b32 s75, s75, exec_lo
	s_or_b32 s72, s16, s72
	s_or_b32 s23, s23, s75
.LBB4_2062:                             ;   in Loop: Header=BB4_2063 Depth=3
	s_or_b32 exec_lo, exec_lo, s74
	s_and_b32 s16, exec_lo, s23
	s_or_b32 s19, s16, s19
	s_andn2_b32 s16, s22, exec_lo
	s_and_b32 s22, s72, exec_lo
	s_or_b32 s22, s16, s22
	s_andn2_b32 exec_lo, exec_lo, s19
	s_cbranch_execz .LBB4_2067
.LBB4_2063:                             ;   Parent Loop BB4_47 Depth=1
                                        ;     Parent Loop BB4_2055 Depth=2
                                        ; =>    This Inner Loop Header: Depth=3
	s_sleep 1
	s_waitcnt vmcnt(0) lgkmcnt(0)
	flat_load_dwordx2 v[48:49], v[32:33] glc dlc
	s_or_b32 s72, s72, exec_lo
	s_or_b32 s23, s23, exec_lo
                                        ; implicit-def: $vgpr10
	s_and_saveexec_b32 s74, vcc_lo
	s_cbranch_execz .LBB4_2062
; %bb.2064:                             ;   in Loop: Header=BB4_2063 Depth=3
	s_cmpk_lt_i32 s73, 0x270f
	s_mov_b32 s75, -1
	s_cselect_b32 s77, -1, 0
	s_cmpk_gt_i32 s73, 0x270e
	s_cbranch_scc0 .LBB4_2066
; %bb.2065:                             ;   in Loop: Header=BB4_2063 Depth=3
	s_trap 2
	ds_read_b64 v[10:11], v0
	s_andn2_b32 s73, s77, exec_lo
	s_mov_b32 s76, 0
	s_waitcnt vmcnt(0) lgkmcnt(0)
	s_waitcnt_vscnt null, 0x0
	flat_load_dword v10, v[10:11] glc dlc
	s_waitcnt vmcnt(0) lgkmcnt(0)
	buffer_gl1_inv
	buffer_gl0_inv
	v_cmp_eq_u32_e64 s16, 0, v10
	s_and_b32 s16, s16, exec_lo
	s_or_b32 s77, s73, s16
	s_mov_b32 s73, 0
	s_and_saveexec_b32 s78, s77
	s_cbranch_execz .LBB4_2061
	s_branch .LBB4_2060
.LBB4_2066:                             ;   in Loop: Header=BB4_2063 Depth=3
	s_add_i32 s73, s73, 1
	s_mov_b32 s76, -1
                                        ; implicit-def: $vgpr10
	s_and_saveexec_b32 s78, s77
	s_cbranch_execz .LBB4_2061
	s_branch .LBB4_2060
.LBB4_2067:                             ;   in Loop: Header=BB4_2055 Depth=2
	s_or_b32 exec_lo, exec_lo, s19
	s_xor_b32 s16, s22, -1
	s_and_saveexec_b32 s19, s16
	s_xor_b32 s16, exec_lo, s19
	s_cbranch_execz .LBB4_2069
; %bb.2068:                             ;   in Loop: Header=BB4_2055 Depth=2
	v_or_b32_e32 v100, 64, v100
	s_waitcnt vmcnt(0) lgkmcnt(0)
	s_waitcnt_vscnt null, 0x0
	ds_write_b32 v0, v10
	s_trap 2
.LBB4_2069:                             ;   in Loop: Header=BB4_2055 Depth=2
	s_or_b32 exec_lo, exec_lo, s16
.LBB4_2070:                             ;   in Loop: Header=BB4_2055 Depth=2
	s_or_b32 exec_lo, exec_lo, s18
	v_and_b32_e32 v10, 0x108, v100
	;;#ASMSTART
	s_wakeup
	;;#ASMEND
	v_cmp_ne_u32_e32 vcc_lo, 0x108, v10
                                        ; implicit-def: $vgpr10_vgpr11
	s_and_saveexec_b32 s16, vcc_lo
	s_xor_b32 s16, exec_lo, s16
; %bb.2071:                             ;   in Loop: Header=BB4_2055 Depth=2
	v_and_b32_e32 v10, 7, v64
	v_mov_b32_e32 v11, v2
                                        ; implicit-def: $vgpr64_vgpr65
; %bb.2072:                             ;   in Loop: Header=BB4_2055 Depth=2
	s_andn2_saveexec_b32 s16, s16
	s_cbranch_execz .LBB4_2074
; %bb.2073:                             ;   in Loop: Header=BB4_2055 Depth=2
	v_and_b32_e32 v10, 7, v64
	v_ashrrev_i32_e32 v69, 31, v68
	v_mov_b32_e32 v11, v2
	v_mad_u64_u32 v[12:13], null, v10, 24, v[6:7]
	flat_store_dwordx2 v[12:13], v[68:69] offset:8
.LBB4_2074:                             ;   in Loop: Header=BB4_2055 Depth=2
	s_or_b32 exec_lo, exec_lo, s16
	v_and_b32_e32 v12, 0x100, v100
	s_mov_b32 s16, -1
	v_cmp_ne_u32_e32 vcc_lo, 0, v12
                                        ; implicit-def: $vgpr12_vgpr13
	s_and_saveexec_b32 s18, vcc_lo
	s_cbranch_execz .LBB4_2078
; %bb.2075:                             ;   in Loop: Header=BB4_2055 Depth=2
	v_mad_u64_u32 v[14:15], null, v10, 24, v[6:7]
	v_mov_b32_e32 v12, v15
	v_mad_u64_u32 v[12:13], null, v11, 24, v[12:13]
	v_mov_b32_e32 v15, v12
	flat_load_dword v12, v[14:15]
	s_waitcnt vmcnt(0) lgkmcnt(0)
	v_cmp_eq_u32_e64 s16, 1, v12
	v_cmp_ne_u32_e32 vcc_lo, 1, v12
                                        ; implicit-def: $vgpr12_vgpr13
	s_and_saveexec_b32 s19, s16
	s_cbranch_execz .LBB4_2077
; %bb.2076:                             ;   in Loop: Header=BB4_2055 Depth=2
	flat_load_dword v12, v[14:15] offset:4 glc dlc
	s_waitcnt vmcnt(0) lgkmcnt(0)
	v_ashrrev_i32_e32 v13, 31, v12
.LBB4_2077:                             ;   in Loop: Header=BB4_2055 Depth=2
	s_or_b32 exec_lo, exec_lo, s19
	s_orn2_b32 s16, vcc_lo, exec_lo
.LBB4_2078:                             ;   in Loop: Header=BB4_2055 Depth=2
	s_or_b32 exec_lo, exec_lo, s18
	s_and_saveexec_b32 s18, s16
; %bb.2079:                             ;   in Loop: Header=BB4_2055 Depth=2
	v_mul_lo_u32 v11, v11, v101
	v_mul_lo_u32 v14, v10, v102
	v_mad_u64_u32 v[12:13], null, v10, v101, 0
	v_add3_u32 v13, v13, v14, v11
; %bb.2080:                             ;   in Loop: Header=BB4_2055 Depth=2
	s_or_b32 exec_lo, exec_lo, s18
	v_cmp_eq_u32_e32 vcc_lo, 0, v16
	v_and_b32_e32 v15, 0x2000, v100
	s_mov_b32 s16, exec_lo
	v_cndmask_b32_e32 v14, 0xd0, v114, vcc_lo
	v_add_co_u32 v10, vcc_lo, v34, v12
	v_add_co_ci_u32_e64 v11, null, v35, v13, vcc_lo
	v_add_nc_u32_e32 v12, v0, v14
	ds_write_b64 v12, v[10:11] offset:584
	v_cmpx_ne_u32_e32 0, v15
	s_cbranch_execz .LBB4_2082
; %bb.2081:                             ;   in Loop: Header=BB4_2055 Depth=2
	ds_read_b64 v[10:11], v0 offset:872
	s_waitcnt lgkmcnt(0)
	v_add_co_u32 v10, vcc_lo, v10, 1
	v_add_co_ci_u32_e64 v11, null, 0, v11, vcc_lo
	ds_write_b64 v0, v[10:11] offset:872
.LBB4_2082:                             ;   in Loop: Header=BB4_2055 Depth=2
	s_or_b32 exec_lo, exec_lo, s16
	v_mov_b32_e32 v65, v9
	v_mov_b32_e32 v64, v8
.LBB4_2083:                             ;   in Loop: Header=BB4_2055 Depth=2
	s_or_b32 exec_lo, exec_lo, s17
	s_and_saveexec_b32 s16, s6
	s_cbranch_execz .LBB4_2102
; %bb.2084:                             ;   in Loop: Header=BB4_2055 Depth=2
	s_and_saveexec_b32 s17, s29
	s_xor_b32 s17, exec_lo, s17
	s_cbranch_execz .LBB4_2099
; %bb.2085:                             ;   in Loop: Header=BB4_2055 Depth=2
	s_and_saveexec_b32 s18, s11
	s_cbranch_execz .LBB4_2098
; %bb.2086:                             ;   in Loop: Header=BB4_2055 Depth=2
	s_mov_b32 s22, exec_lo
	s_mov_b32 s19, exec_lo
	v_mbcnt_lo_u32_b32 v8, s22, 0
	s_waitcnt vmcnt(0) lgkmcnt(0)
	s_waitcnt_vscnt null, 0x0
	buffer_gl1_inv
	buffer_gl0_inv
	v_cmpx_eq_u32_e32 0, v8
	s_cbranch_execz .LBB4_2088
; %bb.2087:                             ;   in Loop: Header=BB4_2055 Depth=2
	s_bcnt1_i32_b32 s22, s22
	v_mov_b32_e32 v9, v2
	v_mov_b32_e32 v8, s22
	ds_add_u64 v0, v[8:9]
	s_trap 2
.LBB4_2088:                             ;   in Loop: Header=BB4_2055 Depth=2
	s_or_b32 exec_lo, exec_lo, s19
	s_trap 2
	ds_read_b64 v[8:9], v0
	s_waitcnt lgkmcnt(0)
	buffer_gl0_inv
	v_add_co_u32 v38, vcc_lo, v38, v103
	v_add_co_ci_u32_e64 v39, null, 0, v39, vcc_lo
	s_mov_b32 s19, exec_lo
	v_cmpx_lt_u64_e64 v[8:9], v[38:39]
	s_cbranch_execz .LBB4_2097
; %bb.2089:                             ;   in Loop: Header=BB4_2055 Depth=2
	s_mov_b32 s22, 0
	s_mov_b32 s73, 0
                                        ; implicit-def: $sgpr23
                                        ; implicit-def: $sgpr72
	s_inst_prefetch 0x1
	s_branch .LBB4_2091
	.p2align	6
.LBB4_2090:                             ;   in Loop: Header=BB4_2091 Depth=3
	s_or_b32 exec_lo, exec_lo, s75
	s_and_b32 s74, exec_lo, s76
	s_or_b32 s22, s74, s22
	s_andn2_b32 s23, s23, exec_lo
	s_and_b32 s74, s72, exec_lo
	s_or_b32 s23, s23, s74
	s_andn2_b32 exec_lo, exec_lo, s22
	s_cbranch_execz .LBB4_2095
.LBB4_2091:                             ;   Parent Loop BB4_47 Depth=1
                                        ;     Parent Loop BB4_2055 Depth=2
                                        ; =>    This Inner Loop Header: Depth=3
	s_add_i32 s73, s73, 1
	s_cmpk_lg_i32 s73, 0x2710
	s_cselect_b32 s74, -1, 0
	s_and_b32 vcc_lo, exec_lo, s74
	s_cbranch_vccz .LBB4_2093
; %bb.2092:                             ;   in Loop: Header=BB4_2091 Depth=3
	s_mov_b32 s76, -1
	s_or_b32 s72, s72, exec_lo
	s_and_saveexec_b32 s75, s74
	s_cbranch_execz .LBB4_2090
	s_branch .LBB4_2094
	.p2align	6
.LBB4_2093:                             ;   in Loop: Header=BB4_2091 Depth=3
	s_trap 2
	ds_read_b64 v[8:9], v0
	s_andn2_b32 s74, s74, exec_lo
	s_mov_b32 s73, 0
	s_waitcnt lgkmcnt(0)
	flat_load_dword v8, v[8:9] glc dlc
	s_waitcnt vmcnt(0) lgkmcnt(0)
	buffer_gl1_inv
	buffer_gl0_inv
	v_cmp_eq_u32_e32 vcc_lo, 0, v8
	s_and_b32 s75, vcc_lo, exec_lo
	s_or_b32 s74, s74, s75
	s_mov_b32 s76, -1
	s_or_b32 s72, s72, exec_lo
	s_and_saveexec_b32 s75, s74
	s_cbranch_execz .LBB4_2090
.LBB4_2094:                             ;   in Loop: Header=BB4_2091 Depth=3
	s_sleep 1
	s_trap 2
	ds_read_b64 v[8:9], v0
	s_waitcnt lgkmcnt(0)
	buffer_gl0_inv
	s_andn2_b32 s72, s72, exec_lo
	v_cmp_ge_u64_e32 vcc_lo, v[8:9], v[38:39]
	s_orn2_b32 s76, vcc_lo, exec_lo
	s_branch .LBB4_2090
.LBB4_2095:                             ;   in Loop: Header=BB4_2055 Depth=2
	s_inst_prefetch 0x2
	s_or_b32 exec_lo, exec_lo, s22
	s_and_saveexec_b32 s22, s23
	s_xor_b32 s22, exec_lo, s22
	s_cbranch_execz .LBB4_2097
; %bb.2096:                             ;   in Loop: Header=BB4_2055 Depth=2
	ds_write_b32 v0, v113
	s_trap 2
.LBB4_2097:                             ;   in Loop: Header=BB4_2055 Depth=2
	s_or_b32 exec_lo, exec_lo, s19
	;;#ASMSTART
	s_wakeup
	;;#ASMEND
.LBB4_2098:                             ;   in Loop: Header=BB4_2055 Depth=2
	s_or_b32 exec_lo, exec_lo, s18
.LBB4_2099:                             ;   in Loop: Header=BB4_2055 Depth=2
	s_andn2_saveexec_b32 s17, s17
	s_cbranch_execz .LBB4_2101
; %bb.2100:                             ;   in Loop: Header=BB4_2055 Depth=2
	s_waitcnt vmcnt(0) lgkmcnt(0)
	s_waitcnt_vscnt null, 0x0
	buffer_gl1_inv
	buffer_gl0_inv
	s_barrier
.LBB4_2101:                             ;   in Loop: Header=BB4_2055 Depth=2
	s_or_b32 exec_lo, exec_lo, s17
.LBB4_2102:                             ;   in Loop: Header=BB4_2055 Depth=2
	s_or_b32 exec_lo, exec_lo, s16
	s_trap 2
	ds_read_b32 v8, v0
	v_and_b32_e32 v9, 0x4000, v100
	s_xor_b32 s16, s5, -1
	v_cmp_ne_u32_e32 vcc_lo, 0, v9
	s_and_b32 s17, s16, vcc_lo
	s_and_saveexec_b32 s16, s17
	s_cbranch_execz .LBB4_2121
; %bb.2103:                             ;   in Loop: Header=BB4_2055 Depth=2
	s_and_saveexec_b32 s17, s29
	s_xor_b32 s17, exec_lo, s17
	s_cbranch_execz .LBB4_2118
; %bb.2104:                             ;   in Loop: Header=BB4_2055 Depth=2
	s_and_saveexec_b32 s18, s11
	s_cbranch_execz .LBB4_2117
; %bb.2105:                             ;   in Loop: Header=BB4_2055 Depth=2
	s_mov_b32 s22, exec_lo
	s_mov_b32 s19, exec_lo
	v_mbcnt_lo_u32_b32 v9, s22, 0
	s_waitcnt vmcnt(0) lgkmcnt(0)
	s_waitcnt_vscnt null, 0x0
	buffer_gl1_inv
	buffer_gl0_inv
	v_cmpx_eq_u32_e32 0, v9
	s_cbranch_execz .LBB4_2107
; %bb.2106:                             ;   in Loop: Header=BB4_2055 Depth=2
	s_bcnt1_i32_b32 s22, s22
	v_mov_b32_e32 v10, v2
	v_mov_b32_e32 v9, s22
	ds_add_u64 v0, v[9:10]
	s_trap 2
.LBB4_2107:                             ;   in Loop: Header=BB4_2055 Depth=2
	s_or_b32 exec_lo, exec_lo, s19
	s_trap 2
	ds_read_b64 v[9:10], v0
	s_waitcnt lgkmcnt(0)
	buffer_gl0_inv
	v_add_co_u32 v38, vcc_lo, v38, v103
	v_add_co_ci_u32_e64 v39, null, 0, v39, vcc_lo
	s_mov_b32 s19, exec_lo
	v_cmpx_lt_u64_e64 v[9:10], v[38:39]
	s_cbranch_execz .LBB4_2116
; %bb.2108:                             ;   in Loop: Header=BB4_2055 Depth=2
	s_mov_b32 s22, 0
	s_mov_b32 s73, 0
                                        ; implicit-def: $sgpr23
                                        ; implicit-def: $sgpr72
	s_inst_prefetch 0x1
	s_branch .LBB4_2110
	.p2align	6
.LBB4_2109:                             ;   in Loop: Header=BB4_2110 Depth=3
	s_or_b32 exec_lo, exec_lo, s75
	s_and_b32 s74, exec_lo, s76
	s_or_b32 s22, s74, s22
	s_andn2_b32 s23, s23, exec_lo
	s_and_b32 s74, s72, exec_lo
	s_or_b32 s23, s23, s74
	s_andn2_b32 exec_lo, exec_lo, s22
	s_cbranch_execz .LBB4_2114
.LBB4_2110:                             ;   Parent Loop BB4_47 Depth=1
                                        ;     Parent Loop BB4_2055 Depth=2
                                        ; =>    This Inner Loop Header: Depth=3
	s_add_i32 s73, s73, 1
	s_cmpk_lg_i32 s73, 0x2710
	s_cselect_b32 s74, -1, 0
	s_and_b32 vcc_lo, exec_lo, s74
	s_cbranch_vccz .LBB4_2112
; %bb.2111:                             ;   in Loop: Header=BB4_2110 Depth=3
	s_mov_b32 s76, -1
	s_or_b32 s72, s72, exec_lo
	s_and_saveexec_b32 s75, s74
	s_cbranch_execz .LBB4_2109
	s_branch .LBB4_2113
	.p2align	6
.LBB4_2112:                             ;   in Loop: Header=BB4_2110 Depth=3
	s_trap 2
	ds_read_b64 v[9:10], v0
	s_andn2_b32 s74, s74, exec_lo
	s_mov_b32 s73, 0
	s_waitcnt lgkmcnt(0)
	flat_load_dword v9, v[9:10] glc dlc
	s_waitcnt vmcnt(0) lgkmcnt(0)
	buffer_gl1_inv
	buffer_gl0_inv
	v_cmp_eq_u32_e32 vcc_lo, 0, v9
	s_and_b32 s75, vcc_lo, exec_lo
	s_or_b32 s74, s74, s75
	s_mov_b32 s76, -1
	s_or_b32 s72, s72, exec_lo
	s_and_saveexec_b32 s75, s74
	s_cbranch_execz .LBB4_2109
.LBB4_2113:                             ;   in Loop: Header=BB4_2110 Depth=3
	s_sleep 1
	s_trap 2
	ds_read_b64 v[9:10], v0
	s_waitcnt lgkmcnt(0)
	buffer_gl0_inv
	s_andn2_b32 s72, s72, exec_lo
	v_cmp_ge_u64_e32 vcc_lo, v[9:10], v[38:39]
	s_orn2_b32 s76, vcc_lo, exec_lo
	s_branch .LBB4_2109
.LBB4_2114:                             ;   in Loop: Header=BB4_2055 Depth=2
	s_inst_prefetch 0x2
	s_or_b32 exec_lo, exec_lo, s22
	s_and_saveexec_b32 s22, s23
	s_xor_b32 s22, exec_lo, s22
	s_cbranch_execz .LBB4_2116
; %bb.2115:                             ;   in Loop: Header=BB4_2055 Depth=2
	ds_write_b32 v0, v113
	s_trap 2
.LBB4_2116:                             ;   in Loop: Header=BB4_2055 Depth=2
	s_or_b32 exec_lo, exec_lo, s19
	;;#ASMSTART
	s_wakeup
	;;#ASMEND
.LBB4_2117:                             ;   in Loop: Header=BB4_2055 Depth=2
	s_or_b32 exec_lo, exec_lo, s18
.LBB4_2118:                             ;   in Loop: Header=BB4_2055 Depth=2
	s_andn2_saveexec_b32 s17, s17
	s_cbranch_execz .LBB4_2120
; %bb.2119:                             ;   in Loop: Header=BB4_2055 Depth=2
	s_waitcnt vmcnt(0) lgkmcnt(0)
	s_waitcnt_vscnt null, 0x0
	buffer_gl1_inv
	buffer_gl0_inv
	s_barrier
.LBB4_2120:                             ;   in Loop: Header=BB4_2055 Depth=2
	s_or_b32 exec_lo, exec_lo, s17
.LBB4_2121:                             ;   in Loop: Header=BB4_2055 Depth=2
	s_or_b32 exec_lo, exec_lo, s16
	s_trap 2
	ds_read_b64 v[69:70], v0
	s_waitcnt lgkmcnt(0)
	v_cmp_eq_u64_e32 vcc_lo, 0, v[69:70]
	s_cbranch_vccnz .LBB4_2130
; %bb.2122:                             ;   in Loop: Header=BB4_2055 Depth=2
	s_trap 2
	ds_read_b64 v[80:81], v0
	s_waitcnt lgkmcnt(0)
	v_cmp_eq_u64_e32 vcc_lo, 0, v[80:81]
	s_cbranch_vccnz .LBB4_2130
; %bb.2123:                             ;   in Loop: Header=BB4_2055 Depth=2
	s_trap 2
	ds_read_b64 v[82:83], v0
	v_cmp_eq_u32_e64 s16, 0, v8
	v_cndmask_b32_e64 v79, 0, v68, s16
	s_mov_b32 s16, -1
	s_waitcnt lgkmcnt(0)
	v_cmp_ne_u64_e32 vcc_lo, 0, v[82:83]
	s_cbranch_vccz .LBB4_3721
; %bb.2124:                             ;   in Loop: Header=BB4_2055 Depth=2
	s_and_saveexec_b32 s17, s15
	s_cbranch_execz .LBB4_2126
; %bb.2125:                             ;   in Loop: Header=BB4_2055 Depth=2
	ds_read_b32 v8, v0 offset:720
	s_waitcnt lgkmcnt(0)
	v_and_b32_e32 v8, 15, v8
	v_cmp_eq_u32_e32 vcc_lo, 0, v8
	s_orn2_b32 s16, vcc_lo, exec_lo
.LBB4_2126:                             ;   in Loop: Header=BB4_2055 Depth=2
	s_or_b32 exec_lo, exec_lo, s17
	s_and_saveexec_b32 s17, s15
	s_cbranch_execz .LBB4_2128
; %bb.2127:                             ;   in Loop: Header=BB4_2055 Depth=2
	ds_read_b32 v8, v0 offset:784
	s_waitcnt lgkmcnt(0)
	v_and_b32_e32 v8, 15, v8
	v_cmp_eq_u32_e32 vcc_lo, 0, v8
	s_and_b32 s18, s16, vcc_lo
	s_andn2_b32 s16, s16, exec_lo
	s_and_b32 s18, s18, exec_lo
	s_or_b32 s16, s16, s18
.LBB4_2128:                             ;   in Loop: Header=BB4_2055 Depth=2
	s_or_b32 exec_lo, exec_lo, s17
	s_xor_b32 s16, s16, -1
	v_mov_b32_e32 v16, 0
	v_cndmask_b32_e64 v8, 0, 1, s16
	v_mov_b32_e32 v17, v79
	v_mov_b32_e32 v18, v0
	s_mov_b32 s16, -1
	v_cmp_ne_u32_e32 vcc_lo, 0, v8
	v_mov_b32_e32 v8, v56
	s_cbranch_vccz .LBB4_2135
; %bb.2129:                             ;   in Loop: Header=BB4_2055 Depth=2
	s_and_saveexec_b32 s22, s16
	s_cbranch_execz .LBB4_3720
	s_branch .LBB4_3302
.LBB4_2130:                             ;   in Loop: Header=BB4_2055 Depth=2
	s_mov_b32 s16, 0
	s_and_saveexec_b32 s17, s6
	s_cbranch_execnz .LBB4_5311
.LBB4_2131:                             ;   in Loop: Header=BB4_2055 Depth=2
	s_or_b32 exec_lo, exec_lo, s17
                                        ; implicit-def: $vgpr8
	s_and_saveexec_b32 s17, s13
	s_xor_b32 s17, exec_lo, s17
	s_cbranch_execz .LBB4_5329
.LBB4_2132:                             ;   in Loop: Header=BB4_2055 Depth=2
	v_and_b32_e32 v8, 16, v100
	v_cmp_ne_u32_e32 vcc_lo, 0, v8
	v_and_b32_e32 v8, 16, v100
	s_and_b32 s18, vcc_lo, s16
	s_and_saveexec_b32 s16, s18
	s_cbranch_execz .LBB4_2134
; %bb.2133:                             ;   in Loop: Header=BB4_2055 Depth=2
	v_mov_b32_e32 v8, 1
	s_waitcnt vmcnt(0) lgkmcnt(0)
	s_waitcnt_vscnt null, 0x0
	buffer_gl1_inv
	buffer_gl0_inv
.LBB4_2134:                             ;   in Loop: Header=BB4_2055 Depth=2
	s_or_b32 exec_lo, exec_lo, s16
	s_andn2_saveexec_b32 s16, s17
	s_cbranch_execz .LBB4_5348
	s_branch .LBB4_5330
.LBB4_2135:                             ;   in Loop: Header=BB4_2055 Depth=2
	v_ashrrev_i32_e32 v8, 31, v79
	s_mov_b32 s17, exec_lo
	v_lshrrev_b32_e32 v8, 22, v8
	v_add_nc_u32_e32 v8, v79, v8
	v_ashrrev_i32_e32 v89, 10, v8
	v_sub_nc_u32_e32 v88, v89, v56
	v_cmpx_lt_i32_e32 0, v88
	s_cbranch_execz .LBB4_2907
; %bb.2136:                             ;   in Loop: Header=BB4_2055 Depth=2
	s_trap 2
	ds_read_b64 v[8:9], v0
	v_add_co_u32 v84, vcc_lo, v80, v72
	v_add_co_ci_u32_e64 v85, null, v81, v74, vcc_lo
	v_add_co_u32 v86, vcc_lo, v82, v72
	v_add_co_ci_u32_e64 v87, null, v83, v74, vcc_lo
	;; [unrolled: 2-line block ×3, first 2 shown]
	s_mov_b32 s18, 0
	s_waitcnt lgkmcnt(0)
	v_add_co_u32 v98, vcc_lo, v8, v72
	v_add_co_ci_u32_e64 v99, null, v9, v74, vcc_lo
	s_branch .LBB4_2140
.LBB4_2137:                             ;   in Loop: Header=BB4_2140 Depth=3
	s_or_b32 exec_lo, exec_lo, s16
	v_lshrrev_b32_e32 v15, 21, v125
	v_min_i32_e32 v26, 31, v124
	v_cmp_gt_i32_e32 vcc_lo, 32, v124
	v_and_b32_sdwa v11, v11, v116 dst_sel:DWORD dst_unused:UNUSED_PAD src0_sel:BYTE_3 src1_sel:DWORD
	v_lshlrev_b32_e32 v26, 2, v26
	v_cndmask_b32_e32 v15, 3, v15, vcc_lo
	v_and_b32_e32 v26, 0xfc, v26
	v_and_b32_e32 v27, 3, v15
	v_or_b32_e32 v15, v124, v15
	v_or3_b32 v11, v11, v26, v27
	v_cmp_ne_u32_e32 vcc_lo, 0, v15
	v_lshlrev_b32_e32 v11, 8, v11
	v_cndmask_b32_e32 v15, 0, v11, vcc_lo
.LBB4_2138:                             ;   in Loop: Header=BB4_2140 Depth=3
	s_or_b32 exec_lo, exec_lo, s22
.LBB4_2139:                             ;   in Loop: Header=BB4_2140 Depth=3
	s_or_b32 exec_lo, exec_lo, s19
	v_or_b32_sdwa v11, v17, v94 dst_sel:WORD_1 dst_unused:UNUSED_PAD src0_sel:DWORD src1_sel:DWORD
	v_or_b32_sdwa v16, v16, v92 dst_sel:WORD_1 dst_unused:UNUSED_PAD src0_sel:DWORD src1_sel:DWORD
	;; [unrolled: 1-line block ×5, first 2 shown]
	v_or3_b32 v17, v93, v20, v11
	v_or_b32_sdwa v11, v19, v106 dst_sel:WORD_1 dst_unused:UNUSED_PAD src0_sel:DWORD src1_sel:DWORD
	v_or_b32_sdwa v10, v10, v120 dst_sel:WORD_1 dst_unused:UNUSED_PAD src0_sel:DWORD src1_sel:DWORD
	;; [unrolled: 1-line block ×3, first 2 shown]
	v_or3_b32 v16, v91, v90, v16
	v_or3_b32 v18, v95, v21, v18
	;; [unrolled: 1-line block ×7, first 2 shown]
	v_add_co_u32 v96, vcc_lo, v96, v44
	v_sub_nc_u32_e32 v88, v88, v103
	v_add_co_ci_u32_e64 v97, null, 0, v97, vcc_lo
	v_add_co_u32 v98, vcc_lo, v98, v44
	global_store_dwordx4 v[84:85], v[16:19], off glc slc
	global_store_dwordx4 v[84:85], v[8:11], off offset:512 glc slc
	global_store_dwordx4 v[86:87], v[16:19], off glc slc
	global_store_dwordx4 v[86:87], v[8:11], off offset:512 glc slc
	v_add_co_ci_u32_e64 v99, null, 0, v99, vcc_lo
	v_add_co_u32 v84, vcc_lo, v84, v44
	v_add_co_ci_u32_e64 v85, null, 0, v85, vcc_lo
	v_cmp_gt_i32_e32 vcc_lo, 1, v88
	v_add_co_u32 v86, s16, v86, v44
	v_add_co_ci_u32_e64 v87, null, 0, v87, s16
	s_or_b32 s18, vcc_lo, s18
	s_andn2_b32 exec_lo, exec_lo, s18
	s_cbranch_execz .LBB4_2906
.LBB4_2140:                             ;   Parent Loop BB4_47 Depth=1
                                        ;     Parent Loop BB4_2055 Depth=2
                                        ; =>    This Inner Loop Header: Depth=3
	s_clause 0x1
	global_load_dwordx4 v[20:23], v[96:97], off slc
	global_load_dwordx4 v[12:15], v[96:97], off offset:512 slc
	s_clause 0x1
	global_load_dwordx4 v[16:19], v[98:99], off slc
	global_load_dwordx4 v[8:11], v[98:99], off offset:512 slc
	s_mov_b32 s16, 0
	s_waitcnt vmcnt(3)
	v_cmp_gt_i16_sdwa s19, v20, v115 src0_sel:BYTE_0 src1_sel:DWORD
	s_and_saveexec_b32 s22, s19
	s_xor_b32 s19, exec_lo, s22
	s_cbranch_execz .LBB4_2778
; %bb.2141:                             ;   in Loop: Header=BB4_2140 Depth=3
	v_cmp_eq_u16_sdwa s23, v20, v116 src0_sel:BYTE_0 src1_sel:DWORD
	s_mov_b32 s16, -1
	s_and_saveexec_b32 s22, s23
; %bb.2142:                             ;   in Loop: Header=BB4_2140 Depth=3
	s_xor_b32 s16, exec_lo, -1
; %bb.2143:                             ;   in Loop: Header=BB4_2140 Depth=3
	s_or_b32 exec_lo, exec_lo, s22
	s_and_b32 s16, s16, exec_lo
	s_or_saveexec_b32 s19, s19
	v_mov_b32_e32 v90, 0x7f800001
	s_xor_b32 exec_lo, exec_lo, s19
	s_cbranch_execnz .LBB4_2779
.LBB4_2144:                             ;   in Loop: Header=BB4_2140 Depth=3
	s_or_b32 exec_lo, exec_lo, s19
	s_and_saveexec_b32 s19, s16
	s_cbranch_execz .LBB4_2146
.LBB4_2145:                             ;   in Loop: Header=BB4_2140 Depth=3
	v_and_b32_e32 v90, 3, v20
	v_bfe_u32 v93, v20, 2, 5
	v_lshlrev_b32_e32 v94, 24, v20
	v_ffbh_u32_e32 v91, v90
	v_cmp_eq_u32_e32 vcc_lo, 0, v93
	v_min_u32_e32 v91, 32, v91
	v_subrev_nc_u32_e32 v92, 29, v91
	v_sub_nc_u32_e32 v91, 30, v91
	v_lshlrev_b32_e32 v92, v92, v20
	v_cndmask_b32_e32 v91, v93, v91, vcc_lo
	v_and_b32_e32 v92, 3, v92
	v_lshl_add_u32 v91, v91, 23, 0x37800000
	v_cndmask_b32_e32 v90, v90, v92, vcc_lo
	v_and_b32_e32 v92, 0x80000000, v94
	v_lshlrev_b32_e32 v90, 21, v90
	v_or3_b32 v90, v92, v91, v90
.LBB4_2146:                             ;   in Loop: Header=BB4_2140 Depth=3
	s_or_b32 exec_lo, exec_lo, s19
	s_waitcnt vmcnt(1)
	v_cmp_gt_i16_sdwa s19, v16, v115 src0_sel:BYTE_0 src1_sel:DWORD
	s_mov_b32 s16, 0
	s_and_saveexec_b32 s22, s19
	s_xor_b32 s19, exec_lo, s22
	s_cbranch_execz .LBB4_2780
; %bb.2147:                             ;   in Loop: Header=BB4_2140 Depth=3
	v_cmp_eq_u16_sdwa s23, v16, v116 src0_sel:BYTE_0 src1_sel:DWORD
	s_mov_b32 s16, -1
	s_and_saveexec_b32 s22, s23
; %bb.2148:                             ;   in Loop: Header=BB4_2140 Depth=3
	s_xor_b32 s16, exec_lo, -1
; %bb.2149:                             ;   in Loop: Header=BB4_2140 Depth=3
	s_or_b32 exec_lo, exec_lo, s22
	s_and_b32 s16, s16, exec_lo
	s_or_saveexec_b32 s19, s19
	v_mov_b32_e32 v91, 0x7f800001
	s_xor_b32 exec_lo, exec_lo, s19
	s_cbranch_execnz .LBB4_2781
.LBB4_2150:                             ;   in Loop: Header=BB4_2140 Depth=3
	s_or_b32 exec_lo, exec_lo, s19
	s_and_saveexec_b32 s19, s16
	s_cbranch_execz .LBB4_2152
.LBB4_2151:                             ;   in Loop: Header=BB4_2140 Depth=3
	v_and_b32_e32 v91, 3, v16
	v_bfe_u32 v94, v16, 2, 5
	v_lshlrev_b32_e32 v95, 24, v16
	v_ffbh_u32_e32 v92, v91
	v_cmp_eq_u32_e32 vcc_lo, 0, v94
	v_min_u32_e32 v92, 32, v92
	v_subrev_nc_u32_e32 v93, 29, v92
	v_sub_nc_u32_e32 v92, 30, v92
	v_lshlrev_b32_e32 v93, v93, v16
	v_cndmask_b32_e32 v92, v94, v92, vcc_lo
	v_and_b32_e32 v93, 3, v93
	v_lshl_add_u32 v92, v92, 23, 0x37800000
	v_cndmask_b32_e32 v91, v91, v93, vcc_lo
	v_and_b32_e32 v93, 0x80000000, v95
	v_lshlrev_b32_e32 v91, 21, v91
	v_or3_b32 v91, v93, v92, v91
.LBB4_2152:                             ;   in Loop: Header=BB4_2140 Depth=3
	s_or_b32 exec_lo, exec_lo, s19
	v_mul_f32_e32 v91, v90, v91
	v_and_b32_e32 v90, 0x7f800000, v91
	v_cmp_ne_u32_e32 vcc_lo, 0x7f800000, v90
	v_mov_b32_e32 v90, 0x80
	s_and_saveexec_b32 s19, vcc_lo
	s_cbranch_execz .LBB4_2160
; %bb.2153:                             ;   in Loop: Header=BB4_2140 Depth=3
	v_mov_b32_e32 v90, 0
	s_mov_b32 s22, exec_lo
	v_cmpx_ne_u32_e32 0, v91
	s_cbranch_execz .LBB4_2159
; %bb.2154:                             ;   in Loop: Header=BB4_2140 Depth=3
	v_bfe_u32 v90, v91, 23, 8
	v_and_b32_e32 v92, 0x7fffff, v91
	v_sub_nc_u32_e32 v93, 0x70, v90
	v_cmp_gt_u32_e32 vcc_lo, 0x71, v90
	v_or_b32_e32 v94, 0x800000, v92
	v_cndmask_b32_e32 v93, 0, v93, vcc_lo
	v_cmp_eq_u32_e32 vcc_lo, 0, v90
	v_add_nc_u32_e32 v90, 0xffffff91, v90
	v_cndmask_b32_e64 v93, v93, 0x6f, vcc_lo
	v_cndmask_b32_e32 v92, v94, v92, vcc_lo
	v_cndmask_b32_e64 v90, v90, 0xffffff92, vcc_lo
	v_lshl_add_u32 v94, 0x200000, v93, -1
	v_lshrrev_b32_e32 v95, v93, v92
	v_lshlrev_b32_e64 v105, v93, 0x100000
	v_add_nc_u32_e32 v93, v93, v90
	v_and_b32_e32 v92, v94, v92
	v_bfe_u32 v104, v95, 21, 1
	v_cmp_eq_u32_e64 s16, v92, v105
	v_add_nc_u32_e32 v94, -1, v104
	v_cndmask_b32_e64 v92, 0, v94, s16
	v_lshrrev_b32_e32 v94, 23, v95
	s_mov_b32 s16, exec_lo
	v_add_nc_u32_e32 v92, v92, v95
	v_xor_b32_e32 v94, 1, v94
	v_and_b32_e32 v90, 0x1fffff, v92
	v_add_nc_u32_e32 v92, v90, v95
                                        ; implicit-def: $vgpr90
	v_cmpx_ne_u32_e64 v93, v94
	s_xor_b32 s16, exec_lo, s16
; %bb.2155:                             ;   in Loop: Header=BB4_2140 Depth=3
	v_cmp_lt_u32_e32 vcc_lo, 0xffffff, v92
	v_sub_nc_u32_e32 v90, v93, v94
	v_cndmask_b32_e64 v93, 0, 1, vcc_lo
	v_add_co_ci_u32_e64 v90, null, 0, v90, vcc_lo
	v_lshrrev_b32_e32 v92, v93, v92
; %bb.2156:                             ;   in Loop: Header=BB4_2140 Depth=3
	s_andn2_saveexec_b32 s16, s16
; %bb.2157:                             ;   in Loop: Header=BB4_2140 Depth=3
	v_bfe_u32 v90, v92, 23, 1
; %bb.2158:                             ;   in Loop: Header=BB4_2140 Depth=3
	s_or_b32 exec_lo, exec_lo, s16
	v_lshrrev_b32_e32 v92, 21, v92
	v_min_i32_e32 v93, 31, v90
	v_cmp_gt_i32_e32 vcc_lo, 32, v90
	v_and_b32_sdwa v91, v91, v116 dst_sel:DWORD dst_unused:UNUSED_PAD src0_sel:BYTE_3 src1_sel:DWORD
	v_lshlrev_b32_e32 v93, 2, v93
	v_cndmask_b32_e32 v92, 3, v92, vcc_lo
	v_and_b32_e32 v93, 0xfc, v93
	v_and_b32_e32 v94, 3, v92
	v_or_b32_e32 v90, v90, v92
	v_or3_b32 v91, v93, v91, v94
	v_cmp_ne_u32_e32 vcc_lo, 0, v90
	v_cndmask_b32_e32 v90, 0, v91, vcc_lo
.LBB4_2159:                             ;   in Loop: Header=BB4_2140 Depth=3
	s_or_b32 exec_lo, exec_lo, s22
.LBB4_2160:                             ;   in Loop: Header=BB4_2140 Depth=3
	s_or_b32 exec_lo, exec_lo, s19
	v_cmp_gt_i16_sdwa s19, v20, v115 src0_sel:BYTE_1 src1_sel:DWORD
	s_mov_b32 s16, 0
	s_and_saveexec_b32 s22, s19
	s_xor_b32 s19, exec_lo, s22
	s_cbranch_execz .LBB4_2782
; %bb.2161:                             ;   in Loop: Header=BB4_2140 Depth=3
	v_cmp_eq_u16_sdwa s23, v20, v116 src0_sel:BYTE_1 src1_sel:DWORD
	s_mov_b32 s16, -1
	s_and_saveexec_b32 s22, s23
; %bb.2162:                             ;   in Loop: Header=BB4_2140 Depth=3
	s_xor_b32 s16, exec_lo, -1
; %bb.2163:                             ;   in Loop: Header=BB4_2140 Depth=3
	s_or_b32 exec_lo, exec_lo, s22
	s_and_b32 s16, s16, exec_lo
	s_or_saveexec_b32 s19, s19
	v_mov_b32_e32 v91, 0x7f800001
	s_xor_b32 exec_lo, exec_lo, s19
	s_cbranch_execnz .LBB4_2783
.LBB4_2164:                             ;   in Loop: Header=BB4_2140 Depth=3
	s_or_b32 exec_lo, exec_lo, s19
	s_and_saveexec_b32 s19, s16
	s_cbranch_execz .LBB4_2166
.LBB4_2165:                             ;   in Loop: Header=BB4_2140 Depth=3
	v_and_b32_sdwa v91, v117, v20 dst_sel:DWORD dst_unused:UNUSED_PAD src0_sel:DWORD src1_sel:BYTE_1
	v_and_b32_e32 v92, 3, v91
	v_bfe_u32 v95, v91, 2, 5
	v_ffbh_u32_e32 v93, v92
	v_cmp_eq_u32_e32 vcc_lo, 0, v95
	v_min_u32_e32 v93, 32, v93
	v_subrev_nc_u32_e32 v94, 29, v93
	v_sub_nc_u32_e32 v93, 30, v93
	v_lshlrev_b32_e32 v91, v94, v91
	v_lshlrev_b32_sdwa v94, v118, v20 dst_sel:DWORD dst_unused:UNUSED_PAD src0_sel:DWORD src1_sel:BYTE_1
	v_cndmask_b32_e32 v93, v95, v93, vcc_lo
	v_and_b32_e32 v91, 3, v91
	v_lshl_add_u32 v93, v93, 23, 0x37800000
	v_cndmask_b32_e32 v91, v92, v91, vcc_lo
	v_and_b32_e32 v92, 0x80000000, v94
	v_lshlrev_b32_e32 v91, 21, v91
	v_or3_b32 v91, v92, v93, v91
.LBB4_2166:                             ;   in Loop: Header=BB4_2140 Depth=3
	s_or_b32 exec_lo, exec_lo, s19
	v_cmp_gt_i16_sdwa s19, v16, v115 src0_sel:BYTE_1 src1_sel:DWORD
	s_mov_b32 s16, 0
	s_and_saveexec_b32 s22, s19
	s_xor_b32 s19, exec_lo, s22
	s_cbranch_execz .LBB4_2784
; %bb.2167:                             ;   in Loop: Header=BB4_2140 Depth=3
	v_cmp_eq_u16_sdwa s23, v16, v116 src0_sel:BYTE_1 src1_sel:DWORD
	s_mov_b32 s16, -1
	s_and_saveexec_b32 s22, s23
; %bb.2168:                             ;   in Loop: Header=BB4_2140 Depth=3
	s_xor_b32 s16, exec_lo, -1
; %bb.2169:                             ;   in Loop: Header=BB4_2140 Depth=3
	s_or_b32 exec_lo, exec_lo, s22
	s_and_b32 s16, s16, exec_lo
	s_or_saveexec_b32 s19, s19
	v_mov_b32_e32 v92, 0x7f800001
	s_xor_b32 exec_lo, exec_lo, s19
	s_cbranch_execnz .LBB4_2785
.LBB4_2170:                             ;   in Loop: Header=BB4_2140 Depth=3
	s_or_b32 exec_lo, exec_lo, s19
	s_and_saveexec_b32 s19, s16
	s_cbranch_execz .LBB4_2172
.LBB4_2171:                             ;   in Loop: Header=BB4_2140 Depth=3
	v_and_b32_sdwa v92, v117, v16 dst_sel:DWORD dst_unused:UNUSED_PAD src0_sel:DWORD src1_sel:BYTE_1
	v_and_b32_e32 v93, 3, v92
	v_bfe_u32 v104, v92, 2, 5
	v_ffbh_u32_e32 v94, v93
	v_cmp_eq_u32_e32 vcc_lo, 0, v104
	v_min_u32_e32 v94, 32, v94
	v_subrev_nc_u32_e32 v95, 29, v94
	v_sub_nc_u32_e32 v94, 30, v94
	v_lshlrev_b32_e32 v92, v95, v92
	v_lshlrev_b32_sdwa v95, v118, v16 dst_sel:DWORD dst_unused:UNUSED_PAD src0_sel:DWORD src1_sel:BYTE_1
	v_cndmask_b32_e32 v94, v104, v94, vcc_lo
	v_and_b32_e32 v92, 3, v92
	v_lshl_add_u32 v94, v94, 23, 0x37800000
	v_cndmask_b32_e32 v92, v93, v92, vcc_lo
	v_and_b32_e32 v93, 0x80000000, v95
	v_lshlrev_b32_e32 v92, 21, v92
	v_or3_b32 v92, v93, v94, v92
.LBB4_2172:                             ;   in Loop: Header=BB4_2140 Depth=3
	s_or_b32 exec_lo, exec_lo, s19
	v_mul_f32_e32 v92, v91, v92
	v_and_b32_e32 v91, 0x7f800000, v92
	v_cmp_ne_u32_e32 vcc_lo, 0x7f800000, v91
	v_mov_b32_e32 v91, 0x8000
	s_and_saveexec_b32 s19, vcc_lo
	s_cbranch_execz .LBB4_2180
; %bb.2173:                             ;   in Loop: Header=BB4_2140 Depth=3
	v_mov_b32_e32 v91, 0
	s_mov_b32 s22, exec_lo
	v_cmpx_ne_u32_e32 0, v92
	s_cbranch_execz .LBB4_2179
; %bb.2174:                             ;   in Loop: Header=BB4_2140 Depth=3
	v_bfe_u32 v91, v92, 23, 8
	v_and_b32_e32 v93, 0x7fffff, v92
	v_sub_nc_u32_e32 v94, 0x70, v91
	v_cmp_gt_u32_e32 vcc_lo, 0x71, v91
	v_or_b32_e32 v95, 0x800000, v93
	v_cndmask_b32_e32 v94, 0, v94, vcc_lo
	v_cmp_eq_u32_e32 vcc_lo, 0, v91
	v_add_nc_u32_e32 v91, 0xffffff91, v91
	v_cndmask_b32_e64 v94, v94, 0x6f, vcc_lo
	v_cndmask_b32_e32 v93, v95, v93, vcc_lo
	v_cndmask_b32_e64 v91, v91, 0xffffff92, vcc_lo
	v_lshl_add_u32 v95, 0x200000, v94, -1
	v_lshrrev_b32_e32 v104, v94, v93
	v_lshlrev_b32_e64 v106, v94, 0x100000
	v_add_nc_u32_e32 v94, v94, v91
	v_and_b32_e32 v93, v95, v93
	v_bfe_u32 v105, v104, 21, 1
	v_cmp_eq_u32_e64 s16, v93, v106
	v_add_nc_u32_e32 v95, -1, v105
	v_cndmask_b32_e64 v93, 0, v95, s16
	v_lshrrev_b32_e32 v95, 23, v104
	s_mov_b32 s16, exec_lo
	v_add_nc_u32_e32 v93, v93, v104
	v_xor_b32_e32 v95, 1, v95
	v_and_b32_e32 v91, 0x1fffff, v93
	v_add_nc_u32_e32 v93, v91, v104
                                        ; implicit-def: $vgpr91
	v_cmpx_ne_u32_e64 v94, v95
	s_xor_b32 s16, exec_lo, s16
; %bb.2175:                             ;   in Loop: Header=BB4_2140 Depth=3
	v_cmp_lt_u32_e32 vcc_lo, 0xffffff, v93
	v_sub_nc_u32_e32 v91, v94, v95
	v_cndmask_b32_e64 v94, 0, 1, vcc_lo
	v_add_co_ci_u32_e64 v91, null, 0, v91, vcc_lo
	v_lshrrev_b32_e32 v93, v94, v93
; %bb.2176:                             ;   in Loop: Header=BB4_2140 Depth=3
	s_andn2_saveexec_b32 s16, s16
; %bb.2177:                             ;   in Loop: Header=BB4_2140 Depth=3
	v_bfe_u32 v91, v93, 23, 1
; %bb.2178:                             ;   in Loop: Header=BB4_2140 Depth=3
	s_or_b32 exec_lo, exec_lo, s16
	v_lshrrev_b32_e32 v93, 21, v93
	v_min_i32_e32 v94, 31, v91
	v_cmp_gt_i32_e32 vcc_lo, 32, v91
	v_and_b32_sdwa v92, v92, v116 dst_sel:DWORD dst_unused:UNUSED_PAD src0_sel:BYTE_3 src1_sel:DWORD
	v_lshlrev_b32_e32 v94, 2, v94
	v_cndmask_b32_e32 v93, 3, v93, vcc_lo
	v_and_b32_e32 v94, 0xfc, v94
	v_and_b32_e32 v95, 3, v93
	v_or_b32_e32 v91, v91, v93
	v_or3_b32 v92, v92, v94, v95
	v_cmp_ne_u32_e32 vcc_lo, 0, v91
	v_lshlrev_b32_e32 v92, 8, v92
	v_cndmask_b32_e32 v91, 0, v92, vcc_lo
.LBB4_2179:                             ;   in Loop: Header=BB4_2140 Depth=3
	s_or_b32 exec_lo, exec_lo, s22
.LBB4_2180:                             ;   in Loop: Header=BB4_2140 Depth=3
	s_or_b32 exec_lo, exec_lo, s19
	v_and_b32_sdwa v93, v20, v119 dst_sel:DWORD dst_unused:UNUSED_PAD src0_sel:WORD_1 src1_sel:DWORD
	s_mov_b32 s16, 0
	s_mov_b32 s19, exec_lo
	v_cmpx_lt_i16_e32 0x7f, v93
	s_xor_b32 s19, exec_lo, s19
	s_cbranch_execz .LBB4_2786
; %bb.2181:                             ;   in Loop: Header=BB4_2140 Depth=3
	s_mov_b32 s16, -1
	s_mov_b32 s22, exec_lo
	v_cmpx_eq_u16_e32 0x80, v93
; %bb.2182:                             ;   in Loop: Header=BB4_2140 Depth=3
	s_xor_b32 s16, exec_lo, -1
; %bb.2183:                             ;   in Loop: Header=BB4_2140 Depth=3
	s_or_b32 exec_lo, exec_lo, s22
	s_and_b32 s16, s16, exec_lo
                                        ; implicit-def: $vgpr93
	s_or_saveexec_b32 s19, s19
	v_mov_b32_e32 v92, 0x7f800001
	s_xor_b32 exec_lo, exec_lo, s19
	s_cbranch_execnz .LBB4_2787
.LBB4_2184:                             ;   in Loop: Header=BB4_2140 Depth=3
	s_or_b32 exec_lo, exec_lo, s19
	s_and_saveexec_b32 s19, s16
	s_cbranch_execz .LBB4_2186
.LBB4_2185:                             ;   in Loop: Header=BB4_2140 Depth=3
	v_bfe_u32 v92, v20, 16, 2
	v_bfe_u32 v95, v20, 18, 5
	v_lshlrev_b32_e32 v104, 8, v20
	v_ffbh_u32_e32 v93, v92
	v_cmp_eq_u32_e32 vcc_lo, 0, v95
	v_min_u32_e32 v93, 32, v93
	v_subrev_nc_u32_e32 v94, 29, v93
	v_sub_nc_u32_e32 v93, 30, v93
	v_lshlrev_b32_sdwa v94, v94, v20 dst_sel:DWORD dst_unused:UNUSED_PAD src0_sel:DWORD src1_sel:WORD_1
	v_cndmask_b32_e32 v93, v95, v93, vcc_lo
	v_and_b32_e32 v94, 3, v94
	v_lshl_add_u32 v93, v93, 23, 0x37800000
	v_cndmask_b32_e32 v92, v92, v94, vcc_lo
	v_and_b32_e32 v94, 0x80000000, v104
	v_lshlrev_b32_e32 v92, 21, v92
	v_or3_b32 v92, v94, v93, v92
.LBB4_2186:                             ;   in Loop: Header=BB4_2140 Depth=3
	s_or_b32 exec_lo, exec_lo, s19
	v_and_b32_sdwa v94, v16, v119 dst_sel:DWORD dst_unused:UNUSED_PAD src0_sel:WORD_1 src1_sel:DWORD
	s_mov_b32 s16, 0
	s_mov_b32 s19, exec_lo
	v_cmpx_lt_i16_e32 0x7f, v94
	s_xor_b32 s19, exec_lo, s19
	s_cbranch_execz .LBB4_2788
; %bb.2187:                             ;   in Loop: Header=BB4_2140 Depth=3
	s_mov_b32 s16, -1
	s_mov_b32 s22, exec_lo
	v_cmpx_eq_u16_e32 0x80, v94
; %bb.2188:                             ;   in Loop: Header=BB4_2140 Depth=3
	s_xor_b32 s16, exec_lo, -1
; %bb.2189:                             ;   in Loop: Header=BB4_2140 Depth=3
	s_or_b32 exec_lo, exec_lo, s22
	s_and_b32 s16, s16, exec_lo
                                        ; implicit-def: $vgpr94
	s_or_saveexec_b32 s19, s19
	v_mov_b32_e32 v93, 0x7f800001
	s_xor_b32 exec_lo, exec_lo, s19
	s_cbranch_execnz .LBB4_2789
.LBB4_2190:                             ;   in Loop: Header=BB4_2140 Depth=3
	s_or_b32 exec_lo, exec_lo, s19
	s_and_saveexec_b32 s19, s16
	s_cbranch_execz .LBB4_2192
.LBB4_2191:                             ;   in Loop: Header=BB4_2140 Depth=3
	v_bfe_u32 v93, v16, 16, 2
	v_bfe_u32 v104, v16, 18, 5
	v_lshlrev_b32_e32 v105, 8, v16
	v_ffbh_u32_e32 v94, v93
	v_cmp_eq_u32_e32 vcc_lo, 0, v104
	v_min_u32_e32 v94, 32, v94
	v_subrev_nc_u32_e32 v95, 29, v94
	v_sub_nc_u32_e32 v94, 30, v94
	v_lshlrev_b32_sdwa v95, v95, v16 dst_sel:DWORD dst_unused:UNUSED_PAD src0_sel:DWORD src1_sel:WORD_1
	v_cndmask_b32_e32 v94, v104, v94, vcc_lo
	v_and_b32_e32 v95, 3, v95
	v_lshl_add_u32 v94, v94, 23, 0x37800000
	v_cndmask_b32_e32 v93, v93, v95, vcc_lo
	v_and_b32_e32 v95, 0x80000000, v105
	v_lshlrev_b32_e32 v93, 21, v93
	v_or3_b32 v93, v95, v94, v93
.LBB4_2192:                             ;   in Loop: Header=BB4_2140 Depth=3
	s_or_b32 exec_lo, exec_lo, s19
	v_mul_f32_e32 v93, v92, v93
	v_and_b32_e32 v92, 0x7f800000, v93
	v_cmp_ne_u32_e32 vcc_lo, 0x7f800000, v92
	v_mov_b32_e32 v92, 0x80
	s_and_saveexec_b32 s19, vcc_lo
	s_cbranch_execz .LBB4_2200
; %bb.2193:                             ;   in Loop: Header=BB4_2140 Depth=3
	v_mov_b32_e32 v92, 0
	s_mov_b32 s22, exec_lo
	v_cmpx_ne_u32_e32 0, v93
	s_cbranch_execz .LBB4_2199
; %bb.2194:                             ;   in Loop: Header=BB4_2140 Depth=3
	v_bfe_u32 v92, v93, 23, 8
	v_and_b32_e32 v94, 0x7fffff, v93
	v_sub_nc_u32_e32 v95, 0x70, v92
	v_cmp_gt_u32_e32 vcc_lo, 0x71, v92
	v_or_b32_e32 v104, 0x800000, v94
	v_cndmask_b32_e32 v95, 0, v95, vcc_lo
	v_cmp_eq_u32_e32 vcc_lo, 0, v92
	v_add_nc_u32_e32 v92, 0xffffff91, v92
	v_cndmask_b32_e64 v95, v95, 0x6f, vcc_lo
	v_cndmask_b32_e32 v94, v104, v94, vcc_lo
	v_cndmask_b32_e64 v92, v92, 0xffffff92, vcc_lo
	v_lshl_add_u32 v104, 0x200000, v95, -1
	v_lshrrev_b32_e32 v105, v95, v94
	v_lshlrev_b32_e64 v107, v95, 0x100000
	v_add_nc_u32_e32 v95, v95, v92
	v_and_b32_e32 v94, v104, v94
	v_bfe_u32 v106, v105, 21, 1
	v_cmp_eq_u32_e64 s16, v94, v107
	v_add_nc_u32_e32 v104, -1, v106
	v_cndmask_b32_e64 v94, 0, v104, s16
	v_lshrrev_b32_e32 v104, 23, v105
	s_mov_b32 s16, exec_lo
	v_add_nc_u32_e32 v94, v94, v105
	v_xor_b32_e32 v104, 1, v104
	v_and_b32_e32 v92, 0x1fffff, v94
	v_add_nc_u32_e32 v94, v92, v105
                                        ; implicit-def: $vgpr92
	v_cmpx_ne_u32_e64 v95, v104
	s_xor_b32 s16, exec_lo, s16
; %bb.2195:                             ;   in Loop: Header=BB4_2140 Depth=3
	v_cmp_lt_u32_e32 vcc_lo, 0xffffff, v94
	v_sub_nc_u32_e32 v92, v95, v104
	v_cndmask_b32_e64 v95, 0, 1, vcc_lo
	v_add_co_ci_u32_e64 v92, null, 0, v92, vcc_lo
	v_lshrrev_b32_e32 v94, v95, v94
; %bb.2196:                             ;   in Loop: Header=BB4_2140 Depth=3
	s_andn2_saveexec_b32 s16, s16
; %bb.2197:                             ;   in Loop: Header=BB4_2140 Depth=3
	v_bfe_u32 v92, v94, 23, 1
; %bb.2198:                             ;   in Loop: Header=BB4_2140 Depth=3
	s_or_b32 exec_lo, exec_lo, s16
	v_lshrrev_b32_e32 v94, 21, v94
	v_min_i32_e32 v95, 31, v92
	v_cmp_gt_i32_e32 vcc_lo, 32, v92
	v_and_b32_sdwa v93, v93, v116 dst_sel:DWORD dst_unused:UNUSED_PAD src0_sel:BYTE_3 src1_sel:DWORD
	v_lshlrev_b32_e32 v95, 2, v95
	v_cndmask_b32_e32 v94, 3, v94, vcc_lo
	v_and_b32_e32 v95, 0xfc, v95
	v_and_b32_e32 v104, 3, v94
	v_or_b32_e32 v92, v92, v94
	v_or3_b32 v93, v95, v93, v104
	v_cmp_ne_u32_e32 vcc_lo, 0, v92
	v_cndmask_b32_e32 v92, 0, v93, vcc_lo
.LBB4_2199:                             ;   in Loop: Header=BB4_2140 Depth=3
	s_or_b32 exec_lo, exec_lo, s22
.LBB4_2200:                             ;   in Loop: Header=BB4_2140 Depth=3
	s_or_b32 exec_lo, exec_lo, s19
	v_cmp_gt_i16_sdwa s19, v20, v115 src0_sel:BYTE_3 src1_sel:DWORD
	s_mov_b32 s16, 0
	s_and_saveexec_b32 s22, s19
	s_xor_b32 s19, exec_lo, s22
	s_cbranch_execz .LBB4_2790
; %bb.2201:                             ;   in Loop: Header=BB4_2140 Depth=3
	v_cmp_eq_u16_sdwa s23, v20, v116 src0_sel:BYTE_3 src1_sel:DWORD
	s_mov_b32 s16, -1
	s_and_saveexec_b32 s22, s23
; %bb.2202:                             ;   in Loop: Header=BB4_2140 Depth=3
	s_xor_b32 s16, exec_lo, -1
; %bb.2203:                             ;   in Loop: Header=BB4_2140 Depth=3
	s_or_b32 exec_lo, exec_lo, s22
	s_and_b32 s16, s16, exec_lo
	s_or_saveexec_b32 s19, s19
	v_mov_b32_e32 v93, 0x7f800001
	s_xor_b32 exec_lo, exec_lo, s19
	s_cbranch_execnz .LBB4_2791
.LBB4_2204:                             ;   in Loop: Header=BB4_2140 Depth=3
	s_or_b32 exec_lo, exec_lo, s19
	s_and_saveexec_b32 s19, s16
	s_cbranch_execz .LBB4_2206
.LBB4_2205:                             ;   in Loop: Header=BB4_2140 Depth=3
	v_bfe_u32 v93, v20, 24, 2
	v_bfe_u32 v104, v20, 26, 5
	v_ffbh_u32_e32 v94, v93
	v_cmp_eq_u32_e32 vcc_lo, 0, v104
	v_min_u32_e32 v94, 32, v94
	v_subrev_nc_u32_e32 v95, 29, v94
	v_sub_nc_u32_e32 v94, 30, v94
	v_lshlrev_b32_sdwa v95, v95, v20 dst_sel:DWORD dst_unused:UNUSED_PAD src0_sel:DWORD src1_sel:BYTE_3
	v_cndmask_b32_e32 v94, v104, v94, vcc_lo
	v_and_b32_e32 v20, 0x80000000, v20
	v_and_b32_e32 v95, 3, v95
	v_lshl_add_u32 v94, v94, 23, 0x37800000
	v_cndmask_b32_e32 v93, v93, v95, vcc_lo
	v_lshlrev_b32_e32 v93, 21, v93
	v_or3_b32 v93, v20, v94, v93
.LBB4_2206:                             ;   in Loop: Header=BB4_2140 Depth=3
	s_or_b32 exec_lo, exec_lo, s19
	v_cmp_gt_i16_sdwa s19, v16, v115 src0_sel:BYTE_3 src1_sel:DWORD
	s_mov_b32 s16, 0
	s_and_saveexec_b32 s22, s19
	s_xor_b32 s19, exec_lo, s22
	s_cbranch_execz .LBB4_2792
; %bb.2207:                             ;   in Loop: Header=BB4_2140 Depth=3
	v_cmp_eq_u16_sdwa s23, v16, v116 src0_sel:BYTE_3 src1_sel:DWORD
	s_mov_b32 s16, -1
	s_and_saveexec_b32 s22, s23
; %bb.2208:                             ;   in Loop: Header=BB4_2140 Depth=3
	s_xor_b32 s16, exec_lo, -1
; %bb.2209:                             ;   in Loop: Header=BB4_2140 Depth=3
	s_or_b32 exec_lo, exec_lo, s22
	s_and_b32 s16, s16, exec_lo
	s_or_saveexec_b32 s19, s19
	v_mov_b32_e32 v20, 0x7f800001
	s_xor_b32 exec_lo, exec_lo, s19
	s_cbranch_execnz .LBB4_2793
.LBB4_2210:                             ;   in Loop: Header=BB4_2140 Depth=3
	s_or_b32 exec_lo, exec_lo, s19
	s_and_saveexec_b32 s19, s16
	s_cbranch_execz .LBB4_2212
.LBB4_2211:                             ;   in Loop: Header=BB4_2140 Depth=3
	v_bfe_u32 v20, v16, 24, 2
	v_bfe_u32 v104, v16, 26, 5
	v_ffbh_u32_e32 v94, v20
	v_cmp_eq_u32_e32 vcc_lo, 0, v104
	v_min_u32_e32 v94, 32, v94
	v_subrev_nc_u32_e32 v95, 29, v94
	v_sub_nc_u32_e32 v94, 30, v94
	v_lshlrev_b32_sdwa v95, v95, v16 dst_sel:DWORD dst_unused:UNUSED_PAD src0_sel:DWORD src1_sel:BYTE_3
	v_cndmask_b32_e32 v94, v104, v94, vcc_lo
	v_and_b32_e32 v16, 0x80000000, v16
	v_and_b32_e32 v95, 3, v95
	v_lshl_add_u32 v94, v94, 23, 0x37800000
	v_cndmask_b32_e32 v20, v20, v95, vcc_lo
	v_lshlrev_b32_e32 v20, 21, v20
	v_or3_b32 v20, v16, v94, v20
.LBB4_2212:                             ;   in Loop: Header=BB4_2140 Depth=3
	s_or_b32 exec_lo, exec_lo, s19
	v_mul_f32_e32 v20, v93, v20
	v_and_b32_e32 v16, 0x7f800000, v20
	v_cmp_ne_u32_e32 vcc_lo, 0x7f800000, v16
	v_mov_b32_e32 v16, 0x8000
	s_and_saveexec_b32 s19, vcc_lo
	s_cbranch_execz .LBB4_2220
; %bb.2213:                             ;   in Loop: Header=BB4_2140 Depth=3
	v_mov_b32_e32 v16, 0
	s_mov_b32 s22, exec_lo
	v_cmpx_ne_u32_e32 0, v20
	s_cbranch_execz .LBB4_2219
; %bb.2214:                             ;   in Loop: Header=BB4_2140 Depth=3
	v_bfe_u32 v16, v20, 23, 8
	v_and_b32_e32 v93, 0x7fffff, v20
	v_sub_nc_u32_e32 v94, 0x70, v16
	v_cmp_gt_u32_e32 vcc_lo, 0x71, v16
	v_or_b32_e32 v95, 0x800000, v93
	v_cndmask_b32_e32 v94, 0, v94, vcc_lo
	v_cmp_eq_u32_e32 vcc_lo, 0, v16
	v_add_nc_u32_e32 v16, 0xffffff91, v16
	v_cndmask_b32_e64 v94, v94, 0x6f, vcc_lo
	v_cndmask_b32_e32 v93, v95, v93, vcc_lo
	v_cndmask_b32_e64 v16, v16, 0xffffff92, vcc_lo
	v_lshl_add_u32 v95, 0x200000, v94, -1
	v_lshrrev_b32_e32 v104, v94, v93
	v_lshlrev_b32_e64 v106, v94, 0x100000
	v_add_nc_u32_e32 v94, v94, v16
	v_and_b32_e32 v93, v95, v93
	v_bfe_u32 v105, v104, 21, 1
	v_cmp_eq_u32_e64 s16, v93, v106
	v_add_nc_u32_e32 v95, -1, v105
	v_cndmask_b32_e64 v93, 0, v95, s16
	v_lshrrev_b32_e32 v95, 23, v104
	s_mov_b32 s16, exec_lo
	v_add_nc_u32_e32 v93, v93, v104
	v_xor_b32_e32 v95, 1, v95
	v_and_b32_e32 v16, 0x1fffff, v93
	v_add_nc_u32_e32 v93, v16, v104
                                        ; implicit-def: $vgpr16
	v_cmpx_ne_u32_e64 v94, v95
	s_xor_b32 s16, exec_lo, s16
; %bb.2215:                             ;   in Loop: Header=BB4_2140 Depth=3
	v_cmp_lt_u32_e32 vcc_lo, 0xffffff, v93
	v_sub_nc_u32_e32 v16, v94, v95
	v_cndmask_b32_e64 v94, 0, 1, vcc_lo
	v_add_co_ci_u32_e64 v16, null, 0, v16, vcc_lo
	v_lshrrev_b32_e32 v93, v94, v93
; %bb.2216:                             ;   in Loop: Header=BB4_2140 Depth=3
	s_andn2_saveexec_b32 s16, s16
; %bb.2217:                             ;   in Loop: Header=BB4_2140 Depth=3
	v_bfe_u32 v16, v93, 23, 1
; %bb.2218:                             ;   in Loop: Header=BB4_2140 Depth=3
	s_or_b32 exec_lo, exec_lo, s16
	v_lshrrev_b32_e32 v93, 21, v93
	v_min_i32_e32 v94, 31, v16
	v_cmp_gt_i32_e32 vcc_lo, 32, v16
	v_and_b32_sdwa v20, v20, v116 dst_sel:DWORD dst_unused:UNUSED_PAD src0_sel:BYTE_3 src1_sel:DWORD
	v_lshlrev_b32_e32 v94, 2, v94
	v_cndmask_b32_e32 v93, 3, v93, vcc_lo
	v_and_b32_e32 v94, 0xfc, v94
	v_and_b32_e32 v95, 3, v93
	v_or_b32_e32 v16, v16, v93
	v_or3_b32 v20, v20, v94, v95
	v_cmp_ne_u32_e32 vcc_lo, 0, v16
	v_lshlrev_b32_e32 v20, 8, v20
	v_cndmask_b32_e32 v16, 0, v20, vcc_lo
.LBB4_2219:                             ;   in Loop: Header=BB4_2140 Depth=3
	s_or_b32 exec_lo, exec_lo, s22
.LBB4_2220:                             ;   in Loop: Header=BB4_2140 Depth=3
	s_or_b32 exec_lo, exec_lo, s19
	v_cmp_gt_i16_sdwa s19, v21, v115 src0_sel:BYTE_0 src1_sel:DWORD
	s_mov_b32 s16, 0
	s_and_saveexec_b32 s22, s19
	s_xor_b32 s19, exec_lo, s22
	s_cbranch_execz .LBB4_2794
; %bb.2221:                             ;   in Loop: Header=BB4_2140 Depth=3
	v_cmp_eq_u16_sdwa s23, v21, v116 src0_sel:BYTE_0 src1_sel:DWORD
	s_mov_b32 s16, -1
	s_and_saveexec_b32 s22, s23
; %bb.2222:                             ;   in Loop: Header=BB4_2140 Depth=3
	s_xor_b32 s16, exec_lo, -1
; %bb.2223:                             ;   in Loop: Header=BB4_2140 Depth=3
	s_or_b32 exec_lo, exec_lo, s22
	s_and_b32 s16, s16, exec_lo
	s_or_saveexec_b32 s19, s19
	v_mov_b32_e32 v20, 0x7f800001
	s_xor_b32 exec_lo, exec_lo, s19
	s_cbranch_execnz .LBB4_2795
.LBB4_2224:                             ;   in Loop: Header=BB4_2140 Depth=3
	s_or_b32 exec_lo, exec_lo, s19
	s_and_saveexec_b32 s19, s16
	s_cbranch_execz .LBB4_2226
.LBB4_2225:                             ;   in Loop: Header=BB4_2140 Depth=3
	v_and_b32_e32 v20, 3, v21
	v_bfe_u32 v95, v21, 2, 5
	v_lshlrev_b32_e32 v104, 24, v21
	v_ffbh_u32_e32 v93, v20
	v_cmp_eq_u32_e32 vcc_lo, 0, v95
	v_min_u32_e32 v93, 32, v93
	v_subrev_nc_u32_e32 v94, 29, v93
	v_sub_nc_u32_e32 v93, 30, v93
	v_lshlrev_b32_e32 v94, v94, v21
	v_cndmask_b32_e32 v93, v95, v93, vcc_lo
	v_and_b32_e32 v94, 3, v94
	v_lshl_add_u32 v93, v93, 23, 0x37800000
	v_cndmask_b32_e32 v20, v20, v94, vcc_lo
	v_and_b32_e32 v94, 0x80000000, v104
	v_lshlrev_b32_e32 v20, 21, v20
	v_or3_b32 v20, v94, v93, v20
.LBB4_2226:                             ;   in Loop: Header=BB4_2140 Depth=3
	s_or_b32 exec_lo, exec_lo, s19
	v_cmp_gt_i16_sdwa s19, v17, v115 src0_sel:BYTE_0 src1_sel:DWORD
	s_mov_b32 s16, 0
	s_and_saveexec_b32 s22, s19
	s_xor_b32 s19, exec_lo, s22
	s_cbranch_execz .LBB4_2796
; %bb.2227:                             ;   in Loop: Header=BB4_2140 Depth=3
	v_cmp_eq_u16_sdwa s23, v17, v116 src0_sel:BYTE_0 src1_sel:DWORD
	s_mov_b32 s16, -1
	s_and_saveexec_b32 s22, s23
; %bb.2228:                             ;   in Loop: Header=BB4_2140 Depth=3
	s_xor_b32 s16, exec_lo, -1
; %bb.2229:                             ;   in Loop: Header=BB4_2140 Depth=3
	s_or_b32 exec_lo, exec_lo, s22
	s_and_b32 s16, s16, exec_lo
	s_or_saveexec_b32 s19, s19
	v_mov_b32_e32 v93, 0x7f800001
	s_xor_b32 exec_lo, exec_lo, s19
	s_cbranch_execnz .LBB4_2797
.LBB4_2230:                             ;   in Loop: Header=BB4_2140 Depth=3
	s_or_b32 exec_lo, exec_lo, s19
	s_and_saveexec_b32 s19, s16
	s_cbranch_execz .LBB4_2232
.LBB4_2231:                             ;   in Loop: Header=BB4_2140 Depth=3
	v_and_b32_e32 v93, 3, v17
	v_bfe_u32 v104, v17, 2, 5
	v_lshlrev_b32_e32 v105, 24, v17
	v_ffbh_u32_e32 v94, v93
	v_cmp_eq_u32_e32 vcc_lo, 0, v104
	v_min_u32_e32 v94, 32, v94
	v_subrev_nc_u32_e32 v95, 29, v94
	v_sub_nc_u32_e32 v94, 30, v94
	v_lshlrev_b32_e32 v95, v95, v17
	v_cndmask_b32_e32 v94, v104, v94, vcc_lo
	v_and_b32_e32 v95, 3, v95
	v_lshl_add_u32 v94, v94, 23, 0x37800000
	v_cndmask_b32_e32 v93, v93, v95, vcc_lo
	v_and_b32_e32 v95, 0x80000000, v105
	v_lshlrev_b32_e32 v93, 21, v93
	v_or3_b32 v93, v95, v94, v93
.LBB4_2232:                             ;   in Loop: Header=BB4_2140 Depth=3
	s_or_b32 exec_lo, exec_lo, s19
	v_mul_f32_e32 v93, v20, v93
	v_and_b32_e32 v20, 0x7f800000, v93
	v_cmp_ne_u32_e32 vcc_lo, 0x7f800000, v20
	v_mov_b32_e32 v20, 0x80
	s_and_saveexec_b32 s19, vcc_lo
	s_cbranch_execz .LBB4_2240
; %bb.2233:                             ;   in Loop: Header=BB4_2140 Depth=3
	v_mov_b32_e32 v20, 0
	s_mov_b32 s22, exec_lo
	v_cmpx_ne_u32_e32 0, v93
	s_cbranch_execz .LBB4_2239
; %bb.2234:                             ;   in Loop: Header=BB4_2140 Depth=3
	v_bfe_u32 v20, v93, 23, 8
	v_and_b32_e32 v94, 0x7fffff, v93
	v_sub_nc_u32_e32 v95, 0x70, v20
	v_cmp_gt_u32_e32 vcc_lo, 0x71, v20
	v_or_b32_e32 v104, 0x800000, v94
	v_cndmask_b32_e32 v95, 0, v95, vcc_lo
	v_cmp_eq_u32_e32 vcc_lo, 0, v20
	v_add_nc_u32_e32 v20, 0xffffff91, v20
	v_cndmask_b32_e64 v95, v95, 0x6f, vcc_lo
	v_cndmask_b32_e32 v94, v104, v94, vcc_lo
	v_cndmask_b32_e64 v20, v20, 0xffffff92, vcc_lo
	v_lshl_add_u32 v104, 0x200000, v95, -1
	v_lshrrev_b32_e32 v105, v95, v94
	v_lshlrev_b32_e64 v107, v95, 0x100000
	v_add_nc_u32_e32 v95, v95, v20
	v_and_b32_e32 v94, v104, v94
	v_bfe_u32 v106, v105, 21, 1
	v_cmp_eq_u32_e64 s16, v94, v107
	v_add_nc_u32_e32 v104, -1, v106
	v_cndmask_b32_e64 v94, 0, v104, s16
	v_lshrrev_b32_e32 v104, 23, v105
	s_mov_b32 s16, exec_lo
	v_add_nc_u32_e32 v94, v94, v105
	v_xor_b32_e32 v104, 1, v104
	v_and_b32_e32 v20, 0x1fffff, v94
	v_add_nc_u32_e32 v94, v20, v105
                                        ; implicit-def: $vgpr20
	v_cmpx_ne_u32_e64 v95, v104
	s_xor_b32 s16, exec_lo, s16
; %bb.2235:                             ;   in Loop: Header=BB4_2140 Depth=3
	v_cmp_lt_u32_e32 vcc_lo, 0xffffff, v94
	v_sub_nc_u32_e32 v20, v95, v104
	v_cndmask_b32_e64 v95, 0, 1, vcc_lo
	v_add_co_ci_u32_e64 v20, null, 0, v20, vcc_lo
	v_lshrrev_b32_e32 v94, v95, v94
; %bb.2236:                             ;   in Loop: Header=BB4_2140 Depth=3
	s_andn2_saveexec_b32 s16, s16
; %bb.2237:                             ;   in Loop: Header=BB4_2140 Depth=3
	v_bfe_u32 v20, v94, 23, 1
; %bb.2238:                             ;   in Loop: Header=BB4_2140 Depth=3
	s_or_b32 exec_lo, exec_lo, s16
	v_lshrrev_b32_e32 v94, 21, v94
	v_min_i32_e32 v95, 31, v20
	v_cmp_gt_i32_e32 vcc_lo, 32, v20
	v_and_b32_sdwa v93, v93, v116 dst_sel:DWORD dst_unused:UNUSED_PAD src0_sel:BYTE_3 src1_sel:DWORD
	v_lshlrev_b32_e32 v95, 2, v95
	v_cndmask_b32_e32 v94, 3, v94, vcc_lo
	v_and_b32_e32 v95, 0xfc, v95
	v_and_b32_e32 v104, 3, v94
	v_or_b32_e32 v20, v20, v94
	v_or3_b32 v93, v95, v93, v104
	v_cmp_ne_u32_e32 vcc_lo, 0, v20
	v_cndmask_b32_e32 v20, 0, v93, vcc_lo
.LBB4_2239:                             ;   in Loop: Header=BB4_2140 Depth=3
	s_or_b32 exec_lo, exec_lo, s22
.LBB4_2240:                             ;   in Loop: Header=BB4_2140 Depth=3
	s_or_b32 exec_lo, exec_lo, s19
	v_cmp_gt_i16_sdwa s19, v21, v115 src0_sel:BYTE_1 src1_sel:DWORD
	s_mov_b32 s16, 0
	s_and_saveexec_b32 s22, s19
	s_xor_b32 s19, exec_lo, s22
	s_cbranch_execz .LBB4_2798
; %bb.2241:                             ;   in Loop: Header=BB4_2140 Depth=3
	v_cmp_eq_u16_sdwa s23, v21, v116 src0_sel:BYTE_1 src1_sel:DWORD
	s_mov_b32 s16, -1
	s_and_saveexec_b32 s22, s23
; %bb.2242:                             ;   in Loop: Header=BB4_2140 Depth=3
	s_xor_b32 s16, exec_lo, -1
; %bb.2243:                             ;   in Loop: Header=BB4_2140 Depth=3
	s_or_b32 exec_lo, exec_lo, s22
	s_and_b32 s16, s16, exec_lo
	s_or_saveexec_b32 s19, s19
	v_mov_b32_e32 v93, 0x7f800001
	s_xor_b32 exec_lo, exec_lo, s19
	s_cbranch_execnz .LBB4_2799
.LBB4_2244:                             ;   in Loop: Header=BB4_2140 Depth=3
	s_or_b32 exec_lo, exec_lo, s19
	s_and_saveexec_b32 s19, s16
	s_cbranch_execz .LBB4_2246
.LBB4_2245:                             ;   in Loop: Header=BB4_2140 Depth=3
	v_and_b32_sdwa v93, v117, v21 dst_sel:DWORD dst_unused:UNUSED_PAD src0_sel:DWORD src1_sel:BYTE_1
	v_and_b32_e32 v94, 3, v93
	v_bfe_u32 v105, v93, 2, 5
	v_ffbh_u32_e32 v95, v94
	v_cmp_eq_u32_e32 vcc_lo, 0, v105
	v_min_u32_e32 v95, 32, v95
	v_subrev_nc_u32_e32 v104, 29, v95
	v_sub_nc_u32_e32 v95, 30, v95
	v_lshlrev_b32_e32 v93, v104, v93
	v_lshlrev_b32_sdwa v104, v118, v21 dst_sel:DWORD dst_unused:UNUSED_PAD src0_sel:DWORD src1_sel:BYTE_1
	v_cndmask_b32_e32 v95, v105, v95, vcc_lo
	v_and_b32_e32 v93, 3, v93
	v_lshl_add_u32 v95, v95, 23, 0x37800000
	v_cndmask_b32_e32 v93, v94, v93, vcc_lo
	v_and_b32_e32 v94, 0x80000000, v104
	v_lshlrev_b32_e32 v93, 21, v93
	v_or3_b32 v93, v94, v95, v93
.LBB4_2246:                             ;   in Loop: Header=BB4_2140 Depth=3
	s_or_b32 exec_lo, exec_lo, s19
	v_cmp_gt_i16_sdwa s19, v17, v115 src0_sel:BYTE_1 src1_sel:DWORD
	s_mov_b32 s16, 0
	s_and_saveexec_b32 s22, s19
	s_xor_b32 s19, exec_lo, s22
	s_cbranch_execz .LBB4_2800
; %bb.2247:                             ;   in Loop: Header=BB4_2140 Depth=3
	v_cmp_eq_u16_sdwa s23, v17, v116 src0_sel:BYTE_1 src1_sel:DWORD
	s_mov_b32 s16, -1
	s_and_saveexec_b32 s22, s23
; %bb.2248:                             ;   in Loop: Header=BB4_2140 Depth=3
	s_xor_b32 s16, exec_lo, -1
; %bb.2249:                             ;   in Loop: Header=BB4_2140 Depth=3
	s_or_b32 exec_lo, exec_lo, s22
	s_and_b32 s16, s16, exec_lo
	s_or_saveexec_b32 s19, s19
	v_mov_b32_e32 v94, 0x7f800001
	s_xor_b32 exec_lo, exec_lo, s19
	s_cbranch_execnz .LBB4_2801
.LBB4_2250:                             ;   in Loop: Header=BB4_2140 Depth=3
	s_or_b32 exec_lo, exec_lo, s19
	s_and_saveexec_b32 s19, s16
	s_cbranch_execz .LBB4_2252
.LBB4_2251:                             ;   in Loop: Header=BB4_2140 Depth=3
	v_and_b32_sdwa v94, v117, v17 dst_sel:DWORD dst_unused:UNUSED_PAD src0_sel:DWORD src1_sel:BYTE_1
	v_and_b32_e32 v95, 3, v94
	v_bfe_u32 v106, v94, 2, 5
	v_ffbh_u32_e32 v104, v95
	v_cmp_eq_u32_e32 vcc_lo, 0, v106
	v_min_u32_e32 v104, 32, v104
	v_subrev_nc_u32_e32 v105, 29, v104
	v_sub_nc_u32_e32 v104, 30, v104
	v_lshlrev_b32_e32 v94, v105, v94
	v_lshlrev_b32_sdwa v105, v118, v17 dst_sel:DWORD dst_unused:UNUSED_PAD src0_sel:DWORD src1_sel:BYTE_1
	v_cndmask_b32_e32 v104, v106, v104, vcc_lo
	v_and_b32_e32 v94, 3, v94
	v_lshl_add_u32 v104, v104, 23, 0x37800000
	v_cndmask_b32_e32 v94, v95, v94, vcc_lo
	v_and_b32_e32 v95, 0x80000000, v105
	v_lshlrev_b32_e32 v94, 21, v94
	v_or3_b32 v94, v95, v104, v94
.LBB4_2252:                             ;   in Loop: Header=BB4_2140 Depth=3
	s_or_b32 exec_lo, exec_lo, s19
	v_mul_f32_e32 v94, v93, v94
	v_and_b32_e32 v93, 0x7f800000, v94
	v_cmp_ne_u32_e32 vcc_lo, 0x7f800000, v93
	v_mov_b32_e32 v93, 0x8000
	s_and_saveexec_b32 s19, vcc_lo
	s_cbranch_execz .LBB4_2260
; %bb.2253:                             ;   in Loop: Header=BB4_2140 Depth=3
	v_mov_b32_e32 v93, 0
	s_mov_b32 s22, exec_lo
	v_cmpx_ne_u32_e32 0, v94
	s_cbranch_execz .LBB4_2259
; %bb.2254:                             ;   in Loop: Header=BB4_2140 Depth=3
	v_bfe_u32 v93, v94, 23, 8
	v_and_b32_e32 v95, 0x7fffff, v94
	v_sub_nc_u32_e32 v104, 0x70, v93
	v_cmp_gt_u32_e32 vcc_lo, 0x71, v93
	v_or_b32_e32 v105, 0x800000, v95
	v_cndmask_b32_e32 v104, 0, v104, vcc_lo
	v_cmp_eq_u32_e32 vcc_lo, 0, v93
	v_add_nc_u32_e32 v93, 0xffffff91, v93
	v_cndmask_b32_e64 v104, v104, 0x6f, vcc_lo
	v_cndmask_b32_e32 v95, v105, v95, vcc_lo
	v_cndmask_b32_e64 v93, v93, 0xffffff92, vcc_lo
	v_lshl_add_u32 v105, 0x200000, v104, -1
	v_lshrrev_b32_e32 v106, v104, v95
	v_lshlrev_b32_e64 v108, v104, 0x100000
	v_add_nc_u32_e32 v104, v104, v93
	v_and_b32_e32 v95, v105, v95
	v_bfe_u32 v107, v106, 21, 1
	v_cmp_eq_u32_e64 s16, v95, v108
	v_add_nc_u32_e32 v105, -1, v107
	v_cndmask_b32_e64 v95, 0, v105, s16
	v_lshrrev_b32_e32 v105, 23, v106
	s_mov_b32 s16, exec_lo
	v_add_nc_u32_e32 v95, v95, v106
	v_xor_b32_e32 v105, 1, v105
	v_and_b32_e32 v93, 0x1fffff, v95
	v_add_nc_u32_e32 v95, v93, v106
                                        ; implicit-def: $vgpr93
	v_cmpx_ne_u32_e64 v104, v105
	s_xor_b32 s16, exec_lo, s16
; %bb.2255:                             ;   in Loop: Header=BB4_2140 Depth=3
	v_cmp_lt_u32_e32 vcc_lo, 0xffffff, v95
	v_sub_nc_u32_e32 v93, v104, v105
	v_cndmask_b32_e64 v104, 0, 1, vcc_lo
	v_add_co_ci_u32_e64 v93, null, 0, v93, vcc_lo
	v_lshrrev_b32_e32 v95, v104, v95
; %bb.2256:                             ;   in Loop: Header=BB4_2140 Depth=3
	s_andn2_saveexec_b32 s16, s16
; %bb.2257:                             ;   in Loop: Header=BB4_2140 Depth=3
	v_bfe_u32 v93, v95, 23, 1
; %bb.2258:                             ;   in Loop: Header=BB4_2140 Depth=3
	s_or_b32 exec_lo, exec_lo, s16
	v_lshrrev_b32_e32 v95, 21, v95
	v_min_i32_e32 v104, 31, v93
	v_cmp_gt_i32_e32 vcc_lo, 32, v93
	v_and_b32_sdwa v94, v94, v116 dst_sel:DWORD dst_unused:UNUSED_PAD src0_sel:BYTE_3 src1_sel:DWORD
	v_lshlrev_b32_e32 v104, 2, v104
	v_cndmask_b32_e32 v95, 3, v95, vcc_lo
	v_and_b32_e32 v104, 0xfc, v104
	v_and_b32_e32 v105, 3, v95
	v_or_b32_e32 v93, v93, v95
	v_or3_b32 v94, v94, v104, v105
	v_cmp_ne_u32_e32 vcc_lo, 0, v93
	v_lshlrev_b32_e32 v94, 8, v94
	v_cndmask_b32_e32 v93, 0, v94, vcc_lo
.LBB4_2259:                             ;   in Loop: Header=BB4_2140 Depth=3
	s_or_b32 exec_lo, exec_lo, s22
.LBB4_2260:                             ;   in Loop: Header=BB4_2140 Depth=3
	s_or_b32 exec_lo, exec_lo, s19
	v_and_b32_sdwa v95, v21, v119 dst_sel:DWORD dst_unused:UNUSED_PAD src0_sel:WORD_1 src1_sel:DWORD
	s_mov_b32 s16, 0
	s_mov_b32 s19, exec_lo
	v_cmpx_lt_i16_e32 0x7f, v95
	s_xor_b32 s19, exec_lo, s19
	s_cbranch_execz .LBB4_2802
; %bb.2261:                             ;   in Loop: Header=BB4_2140 Depth=3
	s_mov_b32 s16, -1
	s_mov_b32 s22, exec_lo
	v_cmpx_eq_u16_e32 0x80, v95
; %bb.2262:                             ;   in Loop: Header=BB4_2140 Depth=3
	s_xor_b32 s16, exec_lo, -1
; %bb.2263:                             ;   in Loop: Header=BB4_2140 Depth=3
	s_or_b32 exec_lo, exec_lo, s22
	s_and_b32 s16, s16, exec_lo
                                        ; implicit-def: $vgpr95
	s_or_saveexec_b32 s19, s19
	v_mov_b32_e32 v94, 0x7f800001
	s_xor_b32 exec_lo, exec_lo, s19
	s_cbranch_execnz .LBB4_2803
.LBB4_2264:                             ;   in Loop: Header=BB4_2140 Depth=3
	s_or_b32 exec_lo, exec_lo, s19
	s_and_saveexec_b32 s19, s16
	s_cbranch_execz .LBB4_2266
.LBB4_2265:                             ;   in Loop: Header=BB4_2140 Depth=3
	v_bfe_u32 v94, v21, 16, 2
	v_bfe_u32 v105, v21, 18, 5
	v_lshlrev_b32_e32 v106, 8, v21
	v_ffbh_u32_e32 v95, v94
	v_cmp_eq_u32_e32 vcc_lo, 0, v105
	v_min_u32_e32 v95, 32, v95
	v_subrev_nc_u32_e32 v104, 29, v95
	v_sub_nc_u32_e32 v95, 30, v95
	v_lshlrev_b32_sdwa v104, v104, v21 dst_sel:DWORD dst_unused:UNUSED_PAD src0_sel:DWORD src1_sel:WORD_1
	v_cndmask_b32_e32 v95, v105, v95, vcc_lo
	v_and_b32_e32 v104, 3, v104
	v_lshl_add_u32 v95, v95, 23, 0x37800000
	v_cndmask_b32_e32 v94, v94, v104, vcc_lo
	v_and_b32_e32 v104, 0x80000000, v106
	v_lshlrev_b32_e32 v94, 21, v94
	v_or3_b32 v94, v104, v95, v94
.LBB4_2266:                             ;   in Loop: Header=BB4_2140 Depth=3
	s_or_b32 exec_lo, exec_lo, s19
	v_and_b32_sdwa v104, v17, v119 dst_sel:DWORD dst_unused:UNUSED_PAD src0_sel:WORD_1 src1_sel:DWORD
	s_mov_b32 s16, 0
	s_mov_b32 s19, exec_lo
	v_cmpx_lt_i16_e32 0x7f, v104
	s_xor_b32 s19, exec_lo, s19
	s_cbranch_execz .LBB4_2804
; %bb.2267:                             ;   in Loop: Header=BB4_2140 Depth=3
	s_mov_b32 s16, -1
	s_mov_b32 s22, exec_lo
	v_cmpx_eq_u16_e32 0x80, v104
; %bb.2268:                             ;   in Loop: Header=BB4_2140 Depth=3
	s_xor_b32 s16, exec_lo, -1
; %bb.2269:                             ;   in Loop: Header=BB4_2140 Depth=3
	s_or_b32 exec_lo, exec_lo, s22
	s_and_b32 s16, s16, exec_lo
                                        ; implicit-def: $vgpr104
	s_or_saveexec_b32 s19, s19
	v_mov_b32_e32 v95, 0x7f800001
	s_xor_b32 exec_lo, exec_lo, s19
	s_cbranch_execnz .LBB4_2805
.LBB4_2270:                             ;   in Loop: Header=BB4_2140 Depth=3
	s_or_b32 exec_lo, exec_lo, s19
	s_and_saveexec_b32 s19, s16
	s_cbranch_execz .LBB4_2272
.LBB4_2271:                             ;   in Loop: Header=BB4_2140 Depth=3
	v_bfe_u32 v95, v17, 16, 2
	v_bfe_u32 v106, v17, 18, 5
	v_lshlrev_b32_e32 v107, 8, v17
	v_ffbh_u32_e32 v104, v95
	v_cmp_eq_u32_e32 vcc_lo, 0, v106
	v_min_u32_e32 v104, 32, v104
	v_subrev_nc_u32_e32 v105, 29, v104
	v_sub_nc_u32_e32 v104, 30, v104
	v_lshlrev_b32_sdwa v105, v105, v17 dst_sel:DWORD dst_unused:UNUSED_PAD src0_sel:DWORD src1_sel:WORD_1
	v_cndmask_b32_e32 v104, v106, v104, vcc_lo
	v_and_b32_e32 v105, 3, v105
	v_lshl_add_u32 v104, v104, 23, 0x37800000
	v_cndmask_b32_e32 v95, v95, v105, vcc_lo
	v_and_b32_e32 v105, 0x80000000, v107
	v_lshlrev_b32_e32 v95, 21, v95
	v_or3_b32 v95, v105, v104, v95
.LBB4_2272:                             ;   in Loop: Header=BB4_2140 Depth=3
	s_or_b32 exec_lo, exec_lo, s19
	v_mul_f32_e32 v95, v94, v95
	v_and_b32_e32 v94, 0x7f800000, v95
	v_cmp_ne_u32_e32 vcc_lo, 0x7f800000, v94
	v_mov_b32_e32 v94, 0x80
	s_and_saveexec_b32 s19, vcc_lo
	s_cbranch_execz .LBB4_2280
; %bb.2273:                             ;   in Loop: Header=BB4_2140 Depth=3
	v_mov_b32_e32 v94, 0
	s_mov_b32 s22, exec_lo
	v_cmpx_ne_u32_e32 0, v95
	s_cbranch_execz .LBB4_2279
; %bb.2274:                             ;   in Loop: Header=BB4_2140 Depth=3
	v_bfe_u32 v94, v95, 23, 8
	v_and_b32_e32 v104, 0x7fffff, v95
	v_sub_nc_u32_e32 v105, 0x70, v94
	v_cmp_gt_u32_e32 vcc_lo, 0x71, v94
	v_or_b32_e32 v106, 0x800000, v104
	v_cndmask_b32_e32 v105, 0, v105, vcc_lo
	v_cmp_eq_u32_e32 vcc_lo, 0, v94
	v_add_nc_u32_e32 v94, 0xffffff91, v94
	v_cndmask_b32_e64 v105, v105, 0x6f, vcc_lo
	v_cndmask_b32_e32 v104, v106, v104, vcc_lo
	v_cndmask_b32_e64 v94, v94, 0xffffff92, vcc_lo
	v_lshl_add_u32 v106, 0x200000, v105, -1
	v_lshrrev_b32_e32 v107, v105, v104
	v_lshlrev_b32_e64 v109, v105, 0x100000
	v_add_nc_u32_e32 v105, v105, v94
	v_and_b32_e32 v104, v106, v104
	v_bfe_u32 v108, v107, 21, 1
	v_cmp_eq_u32_e64 s16, v104, v109
	v_add_nc_u32_e32 v106, -1, v108
	v_cndmask_b32_e64 v104, 0, v106, s16
	v_lshrrev_b32_e32 v106, 23, v107
	s_mov_b32 s16, exec_lo
	v_add_nc_u32_e32 v104, v104, v107
	v_xor_b32_e32 v106, 1, v106
	v_and_b32_e32 v94, 0x1fffff, v104
	v_add_nc_u32_e32 v104, v94, v107
                                        ; implicit-def: $vgpr94
	v_cmpx_ne_u32_e64 v105, v106
	s_xor_b32 s16, exec_lo, s16
; %bb.2275:                             ;   in Loop: Header=BB4_2140 Depth=3
	v_cmp_lt_u32_e32 vcc_lo, 0xffffff, v104
	v_sub_nc_u32_e32 v94, v105, v106
	v_cndmask_b32_e64 v105, 0, 1, vcc_lo
	v_add_co_ci_u32_e64 v94, null, 0, v94, vcc_lo
	v_lshrrev_b32_e32 v104, v105, v104
; %bb.2276:                             ;   in Loop: Header=BB4_2140 Depth=3
	s_andn2_saveexec_b32 s16, s16
; %bb.2277:                             ;   in Loop: Header=BB4_2140 Depth=3
	v_bfe_u32 v94, v104, 23, 1
; %bb.2278:                             ;   in Loop: Header=BB4_2140 Depth=3
	s_or_b32 exec_lo, exec_lo, s16
	v_lshrrev_b32_e32 v104, 21, v104
	v_min_i32_e32 v105, 31, v94
	v_cmp_gt_i32_e32 vcc_lo, 32, v94
	v_and_b32_sdwa v95, v95, v116 dst_sel:DWORD dst_unused:UNUSED_PAD src0_sel:BYTE_3 src1_sel:DWORD
	v_lshlrev_b32_e32 v105, 2, v105
	v_cndmask_b32_e32 v104, 3, v104, vcc_lo
	v_and_b32_e32 v105, 0xfc, v105
	v_and_b32_e32 v106, 3, v104
	v_or_b32_e32 v94, v94, v104
	v_or3_b32 v95, v105, v95, v106
	v_cmp_ne_u32_e32 vcc_lo, 0, v94
	v_cndmask_b32_e32 v94, 0, v95, vcc_lo
.LBB4_2279:                             ;   in Loop: Header=BB4_2140 Depth=3
	s_or_b32 exec_lo, exec_lo, s22
.LBB4_2280:                             ;   in Loop: Header=BB4_2140 Depth=3
	s_or_b32 exec_lo, exec_lo, s19
	v_cmp_gt_i16_sdwa s19, v21, v115 src0_sel:BYTE_3 src1_sel:DWORD
	s_mov_b32 s16, 0
	s_and_saveexec_b32 s22, s19
	s_xor_b32 s19, exec_lo, s22
	s_cbranch_execz .LBB4_2806
; %bb.2281:                             ;   in Loop: Header=BB4_2140 Depth=3
	v_cmp_eq_u16_sdwa s23, v21, v116 src0_sel:BYTE_3 src1_sel:DWORD
	s_mov_b32 s16, -1
	s_and_saveexec_b32 s22, s23
; %bb.2282:                             ;   in Loop: Header=BB4_2140 Depth=3
	s_xor_b32 s16, exec_lo, -1
; %bb.2283:                             ;   in Loop: Header=BB4_2140 Depth=3
	s_or_b32 exec_lo, exec_lo, s22
	s_and_b32 s16, s16, exec_lo
	s_or_saveexec_b32 s19, s19
	v_mov_b32_e32 v95, 0x7f800001
	s_xor_b32 exec_lo, exec_lo, s19
	s_cbranch_execnz .LBB4_2807
.LBB4_2284:                             ;   in Loop: Header=BB4_2140 Depth=3
	s_or_b32 exec_lo, exec_lo, s19
	s_and_saveexec_b32 s19, s16
	s_cbranch_execz .LBB4_2286
.LBB4_2285:                             ;   in Loop: Header=BB4_2140 Depth=3
	v_bfe_u32 v95, v21, 24, 2
	v_bfe_u32 v106, v21, 26, 5
	v_ffbh_u32_e32 v104, v95
	v_cmp_eq_u32_e32 vcc_lo, 0, v106
	v_min_u32_e32 v104, 32, v104
	v_subrev_nc_u32_e32 v105, 29, v104
	v_sub_nc_u32_e32 v104, 30, v104
	v_lshlrev_b32_sdwa v105, v105, v21 dst_sel:DWORD dst_unused:UNUSED_PAD src0_sel:DWORD src1_sel:BYTE_3
	v_cndmask_b32_e32 v104, v106, v104, vcc_lo
	v_and_b32_e32 v21, 0x80000000, v21
	v_and_b32_e32 v105, 3, v105
	v_lshl_add_u32 v104, v104, 23, 0x37800000
	v_cndmask_b32_e32 v95, v95, v105, vcc_lo
	v_lshlrev_b32_e32 v95, 21, v95
	v_or3_b32 v95, v21, v104, v95
.LBB4_2286:                             ;   in Loop: Header=BB4_2140 Depth=3
	s_or_b32 exec_lo, exec_lo, s19
	v_cmp_gt_i16_sdwa s19, v17, v115 src0_sel:BYTE_3 src1_sel:DWORD
	s_mov_b32 s16, 0
	s_and_saveexec_b32 s22, s19
	s_xor_b32 s19, exec_lo, s22
	s_cbranch_execz .LBB4_2808
; %bb.2287:                             ;   in Loop: Header=BB4_2140 Depth=3
	v_cmp_eq_u16_sdwa s23, v17, v116 src0_sel:BYTE_3 src1_sel:DWORD
	s_mov_b32 s16, -1
	s_and_saveexec_b32 s22, s23
; %bb.2288:                             ;   in Loop: Header=BB4_2140 Depth=3
	s_xor_b32 s16, exec_lo, -1
; %bb.2289:                             ;   in Loop: Header=BB4_2140 Depth=3
	s_or_b32 exec_lo, exec_lo, s22
	s_and_b32 s16, s16, exec_lo
	s_or_saveexec_b32 s19, s19
	v_mov_b32_e32 v21, 0x7f800001
	s_xor_b32 exec_lo, exec_lo, s19
	s_cbranch_execnz .LBB4_2809
.LBB4_2290:                             ;   in Loop: Header=BB4_2140 Depth=3
	s_or_b32 exec_lo, exec_lo, s19
	s_and_saveexec_b32 s19, s16
	s_cbranch_execz .LBB4_2292
.LBB4_2291:                             ;   in Loop: Header=BB4_2140 Depth=3
	v_bfe_u32 v21, v17, 24, 2
	v_bfe_u32 v106, v17, 26, 5
	v_ffbh_u32_e32 v104, v21
	v_cmp_eq_u32_e32 vcc_lo, 0, v106
	v_min_u32_e32 v104, 32, v104
	v_subrev_nc_u32_e32 v105, 29, v104
	v_sub_nc_u32_e32 v104, 30, v104
	v_lshlrev_b32_sdwa v105, v105, v17 dst_sel:DWORD dst_unused:UNUSED_PAD src0_sel:DWORD src1_sel:BYTE_3
	v_cndmask_b32_e32 v104, v106, v104, vcc_lo
	v_and_b32_e32 v17, 0x80000000, v17
	v_and_b32_e32 v105, 3, v105
	v_lshl_add_u32 v104, v104, 23, 0x37800000
	v_cndmask_b32_e32 v21, v21, v105, vcc_lo
	v_lshlrev_b32_e32 v21, 21, v21
	v_or3_b32 v21, v17, v104, v21
.LBB4_2292:                             ;   in Loop: Header=BB4_2140 Depth=3
	s_or_b32 exec_lo, exec_lo, s19
	v_mul_f32_e32 v21, v95, v21
	v_and_b32_e32 v17, 0x7f800000, v21
	v_cmp_ne_u32_e32 vcc_lo, 0x7f800000, v17
	v_mov_b32_e32 v17, 0x8000
	s_and_saveexec_b32 s19, vcc_lo
	s_cbranch_execz .LBB4_2300
; %bb.2293:                             ;   in Loop: Header=BB4_2140 Depth=3
	v_mov_b32_e32 v17, 0
	s_mov_b32 s22, exec_lo
	v_cmpx_ne_u32_e32 0, v21
	s_cbranch_execz .LBB4_2299
; %bb.2294:                             ;   in Loop: Header=BB4_2140 Depth=3
	v_bfe_u32 v17, v21, 23, 8
	v_and_b32_e32 v95, 0x7fffff, v21
	v_sub_nc_u32_e32 v104, 0x70, v17
	v_cmp_gt_u32_e32 vcc_lo, 0x71, v17
	v_or_b32_e32 v105, 0x800000, v95
	v_cndmask_b32_e32 v104, 0, v104, vcc_lo
	v_cmp_eq_u32_e32 vcc_lo, 0, v17
	v_add_nc_u32_e32 v17, 0xffffff91, v17
	v_cndmask_b32_e64 v104, v104, 0x6f, vcc_lo
	v_cndmask_b32_e32 v95, v105, v95, vcc_lo
	v_cndmask_b32_e64 v17, v17, 0xffffff92, vcc_lo
	v_lshl_add_u32 v105, 0x200000, v104, -1
	v_lshrrev_b32_e32 v106, v104, v95
	v_lshlrev_b32_e64 v108, v104, 0x100000
	v_add_nc_u32_e32 v104, v104, v17
	v_and_b32_e32 v95, v105, v95
	v_bfe_u32 v107, v106, 21, 1
	v_cmp_eq_u32_e64 s16, v95, v108
	v_add_nc_u32_e32 v105, -1, v107
	v_cndmask_b32_e64 v95, 0, v105, s16
	v_lshrrev_b32_e32 v105, 23, v106
	s_mov_b32 s16, exec_lo
	v_add_nc_u32_e32 v95, v95, v106
	v_xor_b32_e32 v105, 1, v105
	v_and_b32_e32 v17, 0x1fffff, v95
	v_add_nc_u32_e32 v95, v17, v106
                                        ; implicit-def: $vgpr17
	v_cmpx_ne_u32_e64 v104, v105
	s_xor_b32 s16, exec_lo, s16
; %bb.2295:                             ;   in Loop: Header=BB4_2140 Depth=3
	v_cmp_lt_u32_e32 vcc_lo, 0xffffff, v95
	v_sub_nc_u32_e32 v17, v104, v105
	v_cndmask_b32_e64 v104, 0, 1, vcc_lo
	v_add_co_ci_u32_e64 v17, null, 0, v17, vcc_lo
	v_lshrrev_b32_e32 v95, v104, v95
; %bb.2296:                             ;   in Loop: Header=BB4_2140 Depth=3
	s_andn2_saveexec_b32 s16, s16
; %bb.2297:                             ;   in Loop: Header=BB4_2140 Depth=3
	v_bfe_u32 v17, v95, 23, 1
; %bb.2298:                             ;   in Loop: Header=BB4_2140 Depth=3
	s_or_b32 exec_lo, exec_lo, s16
	v_lshrrev_b32_e32 v95, 21, v95
	v_min_i32_e32 v104, 31, v17
	v_cmp_gt_i32_e32 vcc_lo, 32, v17
	v_and_b32_sdwa v21, v21, v116 dst_sel:DWORD dst_unused:UNUSED_PAD src0_sel:BYTE_3 src1_sel:DWORD
	v_lshlrev_b32_e32 v104, 2, v104
	v_cndmask_b32_e32 v95, 3, v95, vcc_lo
	v_and_b32_e32 v104, 0xfc, v104
	v_and_b32_e32 v105, 3, v95
	v_or_b32_e32 v17, v17, v95
	v_or3_b32 v21, v21, v104, v105
	v_cmp_ne_u32_e32 vcc_lo, 0, v17
	v_lshlrev_b32_e32 v21, 8, v21
	v_cndmask_b32_e32 v17, 0, v21, vcc_lo
.LBB4_2299:                             ;   in Loop: Header=BB4_2140 Depth=3
	s_or_b32 exec_lo, exec_lo, s22
.LBB4_2300:                             ;   in Loop: Header=BB4_2140 Depth=3
	s_or_b32 exec_lo, exec_lo, s19
	v_cmp_gt_i16_sdwa s19, v22, v115 src0_sel:BYTE_0 src1_sel:DWORD
	s_mov_b32 s16, 0
	s_and_saveexec_b32 s22, s19
	s_xor_b32 s19, exec_lo, s22
	s_cbranch_execz .LBB4_2810
; %bb.2301:                             ;   in Loop: Header=BB4_2140 Depth=3
	v_cmp_eq_u16_sdwa s23, v22, v116 src0_sel:BYTE_0 src1_sel:DWORD
	s_mov_b32 s16, -1
	s_and_saveexec_b32 s22, s23
; %bb.2302:                             ;   in Loop: Header=BB4_2140 Depth=3
	s_xor_b32 s16, exec_lo, -1
; %bb.2303:                             ;   in Loop: Header=BB4_2140 Depth=3
	s_or_b32 exec_lo, exec_lo, s22
	s_and_b32 s16, s16, exec_lo
	s_or_saveexec_b32 s19, s19
	v_mov_b32_e32 v21, 0x7f800001
	s_xor_b32 exec_lo, exec_lo, s19
	s_cbranch_execnz .LBB4_2811
.LBB4_2304:                             ;   in Loop: Header=BB4_2140 Depth=3
	s_or_b32 exec_lo, exec_lo, s19
	s_and_saveexec_b32 s19, s16
	s_cbranch_execz .LBB4_2306
.LBB4_2305:                             ;   in Loop: Header=BB4_2140 Depth=3
	v_and_b32_e32 v21, 3, v22
	v_bfe_u32 v105, v22, 2, 5
	v_lshlrev_b32_e32 v106, 24, v22
	v_ffbh_u32_e32 v95, v21
	v_cmp_eq_u32_e32 vcc_lo, 0, v105
	v_min_u32_e32 v95, 32, v95
	v_subrev_nc_u32_e32 v104, 29, v95
	v_sub_nc_u32_e32 v95, 30, v95
	v_lshlrev_b32_e32 v104, v104, v22
	v_cndmask_b32_e32 v95, v105, v95, vcc_lo
	v_and_b32_e32 v104, 3, v104
	v_lshl_add_u32 v95, v95, 23, 0x37800000
	v_cndmask_b32_e32 v21, v21, v104, vcc_lo
	v_and_b32_e32 v104, 0x80000000, v106
	v_lshlrev_b32_e32 v21, 21, v21
	v_or3_b32 v21, v104, v95, v21
.LBB4_2306:                             ;   in Loop: Header=BB4_2140 Depth=3
	s_or_b32 exec_lo, exec_lo, s19
	v_cmp_gt_i16_sdwa s19, v18, v115 src0_sel:BYTE_0 src1_sel:DWORD
	s_mov_b32 s16, 0
	s_and_saveexec_b32 s22, s19
	s_xor_b32 s19, exec_lo, s22
	s_cbranch_execz .LBB4_2812
; %bb.2307:                             ;   in Loop: Header=BB4_2140 Depth=3
	v_cmp_eq_u16_sdwa s23, v18, v116 src0_sel:BYTE_0 src1_sel:DWORD
	s_mov_b32 s16, -1
	s_and_saveexec_b32 s22, s23
; %bb.2308:                             ;   in Loop: Header=BB4_2140 Depth=3
	s_xor_b32 s16, exec_lo, -1
; %bb.2309:                             ;   in Loop: Header=BB4_2140 Depth=3
	s_or_b32 exec_lo, exec_lo, s22
	s_and_b32 s16, s16, exec_lo
	s_or_saveexec_b32 s19, s19
	v_mov_b32_e32 v95, 0x7f800001
	s_xor_b32 exec_lo, exec_lo, s19
	s_cbranch_execnz .LBB4_2813
.LBB4_2310:                             ;   in Loop: Header=BB4_2140 Depth=3
	s_or_b32 exec_lo, exec_lo, s19
	s_and_saveexec_b32 s19, s16
	s_cbranch_execz .LBB4_2312
.LBB4_2311:                             ;   in Loop: Header=BB4_2140 Depth=3
	v_and_b32_e32 v95, 3, v18
	v_bfe_u32 v106, v18, 2, 5
	v_lshlrev_b32_e32 v107, 24, v18
	v_ffbh_u32_e32 v104, v95
	v_cmp_eq_u32_e32 vcc_lo, 0, v106
	v_min_u32_e32 v104, 32, v104
	v_subrev_nc_u32_e32 v105, 29, v104
	v_sub_nc_u32_e32 v104, 30, v104
	v_lshlrev_b32_e32 v105, v105, v18
	v_cndmask_b32_e32 v104, v106, v104, vcc_lo
	v_and_b32_e32 v105, 3, v105
	v_lshl_add_u32 v104, v104, 23, 0x37800000
	v_cndmask_b32_e32 v95, v95, v105, vcc_lo
	v_and_b32_e32 v105, 0x80000000, v107
	v_lshlrev_b32_e32 v95, 21, v95
	v_or3_b32 v95, v105, v104, v95
.LBB4_2312:                             ;   in Loop: Header=BB4_2140 Depth=3
	s_or_b32 exec_lo, exec_lo, s19
	v_mul_f32_e32 v95, v21, v95
	v_and_b32_e32 v21, 0x7f800000, v95
	v_cmp_ne_u32_e32 vcc_lo, 0x7f800000, v21
	v_mov_b32_e32 v21, 0x80
	s_and_saveexec_b32 s19, vcc_lo
	s_cbranch_execz .LBB4_2320
; %bb.2313:                             ;   in Loop: Header=BB4_2140 Depth=3
	v_mov_b32_e32 v21, 0
	s_mov_b32 s22, exec_lo
	v_cmpx_ne_u32_e32 0, v95
	s_cbranch_execz .LBB4_2319
; %bb.2314:                             ;   in Loop: Header=BB4_2140 Depth=3
	v_bfe_u32 v21, v95, 23, 8
	v_and_b32_e32 v104, 0x7fffff, v95
	v_sub_nc_u32_e32 v105, 0x70, v21
	v_cmp_gt_u32_e32 vcc_lo, 0x71, v21
	v_or_b32_e32 v106, 0x800000, v104
	v_cndmask_b32_e32 v105, 0, v105, vcc_lo
	v_cmp_eq_u32_e32 vcc_lo, 0, v21
	v_add_nc_u32_e32 v21, 0xffffff91, v21
	v_cndmask_b32_e64 v105, v105, 0x6f, vcc_lo
	v_cndmask_b32_e32 v104, v106, v104, vcc_lo
	v_cndmask_b32_e64 v21, v21, 0xffffff92, vcc_lo
	v_lshl_add_u32 v106, 0x200000, v105, -1
	v_lshrrev_b32_e32 v107, v105, v104
	v_lshlrev_b32_e64 v109, v105, 0x100000
	v_add_nc_u32_e32 v105, v105, v21
	v_and_b32_e32 v104, v106, v104
	v_bfe_u32 v108, v107, 21, 1
	v_cmp_eq_u32_e64 s16, v104, v109
	v_add_nc_u32_e32 v106, -1, v108
	v_cndmask_b32_e64 v104, 0, v106, s16
	v_lshrrev_b32_e32 v106, 23, v107
	s_mov_b32 s16, exec_lo
	v_add_nc_u32_e32 v104, v104, v107
	v_xor_b32_e32 v106, 1, v106
	v_and_b32_e32 v21, 0x1fffff, v104
	v_add_nc_u32_e32 v104, v21, v107
                                        ; implicit-def: $vgpr21
	v_cmpx_ne_u32_e64 v105, v106
	s_xor_b32 s16, exec_lo, s16
; %bb.2315:                             ;   in Loop: Header=BB4_2140 Depth=3
	v_cmp_lt_u32_e32 vcc_lo, 0xffffff, v104
	v_sub_nc_u32_e32 v21, v105, v106
	v_cndmask_b32_e64 v105, 0, 1, vcc_lo
	v_add_co_ci_u32_e64 v21, null, 0, v21, vcc_lo
	v_lshrrev_b32_e32 v104, v105, v104
; %bb.2316:                             ;   in Loop: Header=BB4_2140 Depth=3
	s_andn2_saveexec_b32 s16, s16
; %bb.2317:                             ;   in Loop: Header=BB4_2140 Depth=3
	v_bfe_u32 v21, v104, 23, 1
; %bb.2318:                             ;   in Loop: Header=BB4_2140 Depth=3
	s_or_b32 exec_lo, exec_lo, s16
	v_lshrrev_b32_e32 v104, 21, v104
	v_min_i32_e32 v105, 31, v21
	v_cmp_gt_i32_e32 vcc_lo, 32, v21
	v_and_b32_sdwa v95, v95, v116 dst_sel:DWORD dst_unused:UNUSED_PAD src0_sel:BYTE_3 src1_sel:DWORD
	v_lshlrev_b32_e32 v105, 2, v105
	v_cndmask_b32_e32 v104, 3, v104, vcc_lo
	v_and_b32_e32 v105, 0xfc, v105
	v_and_b32_e32 v106, 3, v104
	v_or_b32_e32 v21, v21, v104
	v_or3_b32 v95, v105, v95, v106
	v_cmp_ne_u32_e32 vcc_lo, 0, v21
	v_cndmask_b32_e32 v21, 0, v95, vcc_lo
.LBB4_2319:                             ;   in Loop: Header=BB4_2140 Depth=3
	s_or_b32 exec_lo, exec_lo, s22
.LBB4_2320:                             ;   in Loop: Header=BB4_2140 Depth=3
	s_or_b32 exec_lo, exec_lo, s19
	v_cmp_gt_i16_sdwa s19, v22, v115 src0_sel:BYTE_1 src1_sel:DWORD
	s_mov_b32 s16, 0
	s_and_saveexec_b32 s22, s19
	s_xor_b32 s19, exec_lo, s22
	s_cbranch_execz .LBB4_2814
; %bb.2321:                             ;   in Loop: Header=BB4_2140 Depth=3
	v_cmp_eq_u16_sdwa s23, v22, v116 src0_sel:BYTE_1 src1_sel:DWORD
	s_mov_b32 s16, -1
	s_and_saveexec_b32 s22, s23
; %bb.2322:                             ;   in Loop: Header=BB4_2140 Depth=3
	s_xor_b32 s16, exec_lo, -1
; %bb.2323:                             ;   in Loop: Header=BB4_2140 Depth=3
	s_or_b32 exec_lo, exec_lo, s22
	s_and_b32 s16, s16, exec_lo
	s_or_saveexec_b32 s19, s19
	v_mov_b32_e32 v95, 0x7f800001
	s_xor_b32 exec_lo, exec_lo, s19
	s_cbranch_execnz .LBB4_2815
.LBB4_2324:                             ;   in Loop: Header=BB4_2140 Depth=3
	s_or_b32 exec_lo, exec_lo, s19
	s_and_saveexec_b32 s19, s16
	s_cbranch_execz .LBB4_2326
.LBB4_2325:                             ;   in Loop: Header=BB4_2140 Depth=3
	v_and_b32_sdwa v95, v117, v22 dst_sel:DWORD dst_unused:UNUSED_PAD src0_sel:DWORD src1_sel:BYTE_1
	v_and_b32_e32 v104, 3, v95
	v_bfe_u32 v107, v95, 2, 5
	v_ffbh_u32_e32 v105, v104
	v_cmp_eq_u32_e32 vcc_lo, 0, v107
	v_min_u32_e32 v105, 32, v105
	v_subrev_nc_u32_e32 v106, 29, v105
	v_sub_nc_u32_e32 v105, 30, v105
	v_lshlrev_b32_e32 v95, v106, v95
	v_lshlrev_b32_sdwa v106, v118, v22 dst_sel:DWORD dst_unused:UNUSED_PAD src0_sel:DWORD src1_sel:BYTE_1
	v_cndmask_b32_e32 v105, v107, v105, vcc_lo
	v_and_b32_e32 v95, 3, v95
	v_lshl_add_u32 v105, v105, 23, 0x37800000
	v_cndmask_b32_e32 v95, v104, v95, vcc_lo
	v_and_b32_e32 v104, 0x80000000, v106
	v_lshlrev_b32_e32 v95, 21, v95
	v_or3_b32 v95, v104, v105, v95
.LBB4_2326:                             ;   in Loop: Header=BB4_2140 Depth=3
	s_or_b32 exec_lo, exec_lo, s19
	v_cmp_gt_i16_sdwa s19, v18, v115 src0_sel:BYTE_1 src1_sel:DWORD
	s_mov_b32 s16, 0
	s_and_saveexec_b32 s22, s19
	s_xor_b32 s19, exec_lo, s22
	s_cbranch_execz .LBB4_2816
; %bb.2327:                             ;   in Loop: Header=BB4_2140 Depth=3
	v_cmp_eq_u16_sdwa s23, v18, v116 src0_sel:BYTE_1 src1_sel:DWORD
	s_mov_b32 s16, -1
	s_and_saveexec_b32 s22, s23
; %bb.2328:                             ;   in Loop: Header=BB4_2140 Depth=3
	s_xor_b32 s16, exec_lo, -1
; %bb.2329:                             ;   in Loop: Header=BB4_2140 Depth=3
	s_or_b32 exec_lo, exec_lo, s22
	s_and_b32 s16, s16, exec_lo
	s_or_saveexec_b32 s19, s19
	v_mov_b32_e32 v104, 0x7f800001
	s_xor_b32 exec_lo, exec_lo, s19
	s_cbranch_execnz .LBB4_2817
.LBB4_2330:                             ;   in Loop: Header=BB4_2140 Depth=3
	s_or_b32 exec_lo, exec_lo, s19
	s_and_saveexec_b32 s19, s16
	s_cbranch_execz .LBB4_2332
.LBB4_2331:                             ;   in Loop: Header=BB4_2140 Depth=3
	v_and_b32_sdwa v104, v117, v18 dst_sel:DWORD dst_unused:UNUSED_PAD src0_sel:DWORD src1_sel:BYTE_1
	v_and_b32_e32 v105, 3, v104
	v_bfe_u32 v108, v104, 2, 5
	v_ffbh_u32_e32 v106, v105
	v_cmp_eq_u32_e32 vcc_lo, 0, v108
	v_min_u32_e32 v106, 32, v106
	v_subrev_nc_u32_e32 v107, 29, v106
	v_sub_nc_u32_e32 v106, 30, v106
	v_lshlrev_b32_e32 v104, v107, v104
	v_lshlrev_b32_sdwa v107, v118, v18 dst_sel:DWORD dst_unused:UNUSED_PAD src0_sel:DWORD src1_sel:BYTE_1
	v_cndmask_b32_e32 v106, v108, v106, vcc_lo
	v_and_b32_e32 v104, 3, v104
	v_lshl_add_u32 v106, v106, 23, 0x37800000
	v_cndmask_b32_e32 v104, v105, v104, vcc_lo
	v_and_b32_e32 v105, 0x80000000, v107
	v_lshlrev_b32_e32 v104, 21, v104
	v_or3_b32 v104, v105, v106, v104
.LBB4_2332:                             ;   in Loop: Header=BB4_2140 Depth=3
	s_or_b32 exec_lo, exec_lo, s19
	v_mul_f32_e32 v104, v95, v104
	v_and_b32_e32 v95, 0x7f800000, v104
	v_cmp_ne_u32_e32 vcc_lo, 0x7f800000, v95
	v_mov_b32_e32 v95, 0x8000
	s_and_saveexec_b32 s19, vcc_lo
	s_cbranch_execz .LBB4_2340
; %bb.2333:                             ;   in Loop: Header=BB4_2140 Depth=3
	v_mov_b32_e32 v95, 0
	s_mov_b32 s22, exec_lo
	v_cmpx_ne_u32_e32 0, v104
	s_cbranch_execz .LBB4_2339
; %bb.2334:                             ;   in Loop: Header=BB4_2140 Depth=3
	v_bfe_u32 v95, v104, 23, 8
	v_and_b32_e32 v105, 0x7fffff, v104
	v_sub_nc_u32_e32 v106, 0x70, v95
	v_cmp_gt_u32_e32 vcc_lo, 0x71, v95
	v_or_b32_e32 v107, 0x800000, v105
	v_cndmask_b32_e32 v106, 0, v106, vcc_lo
	v_cmp_eq_u32_e32 vcc_lo, 0, v95
	v_add_nc_u32_e32 v95, 0xffffff91, v95
	v_cndmask_b32_e64 v106, v106, 0x6f, vcc_lo
	v_cndmask_b32_e32 v105, v107, v105, vcc_lo
	v_cndmask_b32_e64 v95, v95, 0xffffff92, vcc_lo
	v_lshl_add_u32 v107, 0x200000, v106, -1
	v_lshrrev_b32_e32 v108, v106, v105
	v_lshlrev_b32_e64 v110, v106, 0x100000
	v_add_nc_u32_e32 v106, v106, v95
	v_and_b32_e32 v105, v107, v105
	v_bfe_u32 v109, v108, 21, 1
	v_cmp_eq_u32_e64 s16, v105, v110
	v_add_nc_u32_e32 v107, -1, v109
	v_cndmask_b32_e64 v105, 0, v107, s16
	v_lshrrev_b32_e32 v107, 23, v108
	s_mov_b32 s16, exec_lo
	v_add_nc_u32_e32 v105, v105, v108
	v_xor_b32_e32 v107, 1, v107
	v_and_b32_e32 v95, 0x1fffff, v105
	v_add_nc_u32_e32 v105, v95, v108
                                        ; implicit-def: $vgpr95
	v_cmpx_ne_u32_e64 v106, v107
	s_xor_b32 s16, exec_lo, s16
; %bb.2335:                             ;   in Loop: Header=BB4_2140 Depth=3
	v_cmp_lt_u32_e32 vcc_lo, 0xffffff, v105
	v_sub_nc_u32_e32 v95, v106, v107
	v_cndmask_b32_e64 v106, 0, 1, vcc_lo
	v_add_co_ci_u32_e64 v95, null, 0, v95, vcc_lo
	v_lshrrev_b32_e32 v105, v106, v105
; %bb.2336:                             ;   in Loop: Header=BB4_2140 Depth=3
	s_andn2_saveexec_b32 s16, s16
; %bb.2337:                             ;   in Loop: Header=BB4_2140 Depth=3
	v_bfe_u32 v95, v105, 23, 1
; %bb.2338:                             ;   in Loop: Header=BB4_2140 Depth=3
	s_or_b32 exec_lo, exec_lo, s16
	v_lshrrev_b32_e32 v105, 21, v105
	v_min_i32_e32 v106, 31, v95
	v_cmp_gt_i32_e32 vcc_lo, 32, v95
	v_and_b32_sdwa v104, v104, v116 dst_sel:DWORD dst_unused:UNUSED_PAD src0_sel:BYTE_3 src1_sel:DWORD
	v_lshlrev_b32_e32 v106, 2, v106
	v_cndmask_b32_e32 v105, 3, v105, vcc_lo
	v_and_b32_e32 v106, 0xfc, v106
	v_and_b32_e32 v107, 3, v105
	v_or_b32_e32 v95, v95, v105
	v_or3_b32 v104, v104, v106, v107
	v_cmp_ne_u32_e32 vcc_lo, 0, v95
	v_lshlrev_b32_e32 v104, 8, v104
	v_cndmask_b32_e32 v95, 0, v104, vcc_lo
.LBB4_2339:                             ;   in Loop: Header=BB4_2140 Depth=3
	s_or_b32 exec_lo, exec_lo, s22
.LBB4_2340:                             ;   in Loop: Header=BB4_2140 Depth=3
	s_or_b32 exec_lo, exec_lo, s19
	v_and_b32_sdwa v105, v22, v119 dst_sel:DWORD dst_unused:UNUSED_PAD src0_sel:WORD_1 src1_sel:DWORD
	s_mov_b32 s16, 0
	s_mov_b32 s19, exec_lo
	v_cmpx_lt_i16_e32 0x7f, v105
	s_xor_b32 s19, exec_lo, s19
	s_cbranch_execz .LBB4_2818
; %bb.2341:                             ;   in Loop: Header=BB4_2140 Depth=3
	s_mov_b32 s16, -1
	s_mov_b32 s22, exec_lo
	v_cmpx_eq_u16_e32 0x80, v105
; %bb.2342:                             ;   in Loop: Header=BB4_2140 Depth=3
	s_xor_b32 s16, exec_lo, -1
; %bb.2343:                             ;   in Loop: Header=BB4_2140 Depth=3
	s_or_b32 exec_lo, exec_lo, s22
	s_and_b32 s16, s16, exec_lo
                                        ; implicit-def: $vgpr105
	s_or_saveexec_b32 s19, s19
	v_mov_b32_e32 v104, 0x7f800001
	s_xor_b32 exec_lo, exec_lo, s19
	s_cbranch_execnz .LBB4_2819
.LBB4_2344:                             ;   in Loop: Header=BB4_2140 Depth=3
	s_or_b32 exec_lo, exec_lo, s19
	s_and_saveexec_b32 s19, s16
	s_cbranch_execz .LBB4_2346
.LBB4_2345:                             ;   in Loop: Header=BB4_2140 Depth=3
	v_bfe_u32 v104, v22, 16, 2
	v_bfe_u32 v107, v22, 18, 5
	v_lshlrev_b32_e32 v108, 8, v22
	v_ffbh_u32_e32 v105, v104
	v_cmp_eq_u32_e32 vcc_lo, 0, v107
	v_min_u32_e32 v105, 32, v105
	v_subrev_nc_u32_e32 v106, 29, v105
	v_sub_nc_u32_e32 v105, 30, v105
	v_lshlrev_b32_sdwa v106, v106, v22 dst_sel:DWORD dst_unused:UNUSED_PAD src0_sel:DWORD src1_sel:WORD_1
	v_cndmask_b32_e32 v105, v107, v105, vcc_lo
	v_and_b32_e32 v106, 3, v106
	v_lshl_add_u32 v105, v105, 23, 0x37800000
	v_cndmask_b32_e32 v104, v104, v106, vcc_lo
	v_and_b32_e32 v106, 0x80000000, v108
	v_lshlrev_b32_e32 v104, 21, v104
	v_or3_b32 v104, v106, v105, v104
.LBB4_2346:                             ;   in Loop: Header=BB4_2140 Depth=3
	s_or_b32 exec_lo, exec_lo, s19
	v_and_b32_sdwa v106, v18, v119 dst_sel:DWORD dst_unused:UNUSED_PAD src0_sel:WORD_1 src1_sel:DWORD
	s_mov_b32 s16, 0
	s_mov_b32 s19, exec_lo
	v_cmpx_lt_i16_e32 0x7f, v106
	s_xor_b32 s19, exec_lo, s19
	s_cbranch_execz .LBB4_2820
; %bb.2347:                             ;   in Loop: Header=BB4_2140 Depth=3
	s_mov_b32 s16, -1
	s_mov_b32 s22, exec_lo
	v_cmpx_eq_u16_e32 0x80, v106
; %bb.2348:                             ;   in Loop: Header=BB4_2140 Depth=3
	s_xor_b32 s16, exec_lo, -1
; %bb.2349:                             ;   in Loop: Header=BB4_2140 Depth=3
	s_or_b32 exec_lo, exec_lo, s22
	s_and_b32 s16, s16, exec_lo
                                        ; implicit-def: $vgpr106
	s_or_saveexec_b32 s19, s19
	v_mov_b32_e32 v105, 0x7f800001
	s_xor_b32 exec_lo, exec_lo, s19
	s_cbranch_execnz .LBB4_2821
.LBB4_2350:                             ;   in Loop: Header=BB4_2140 Depth=3
	s_or_b32 exec_lo, exec_lo, s19
	s_and_saveexec_b32 s19, s16
	s_cbranch_execz .LBB4_2352
.LBB4_2351:                             ;   in Loop: Header=BB4_2140 Depth=3
	v_bfe_u32 v105, v18, 16, 2
	v_bfe_u32 v108, v18, 18, 5
	v_lshlrev_b32_e32 v109, 8, v18
	v_ffbh_u32_e32 v106, v105
	v_cmp_eq_u32_e32 vcc_lo, 0, v108
	v_min_u32_e32 v106, 32, v106
	v_subrev_nc_u32_e32 v107, 29, v106
	v_sub_nc_u32_e32 v106, 30, v106
	v_lshlrev_b32_sdwa v107, v107, v18 dst_sel:DWORD dst_unused:UNUSED_PAD src0_sel:DWORD src1_sel:WORD_1
	v_cndmask_b32_e32 v106, v108, v106, vcc_lo
	v_and_b32_e32 v107, 3, v107
	v_lshl_add_u32 v106, v106, 23, 0x37800000
	v_cndmask_b32_e32 v105, v105, v107, vcc_lo
	v_and_b32_e32 v107, 0x80000000, v109
	v_lshlrev_b32_e32 v105, 21, v105
	v_or3_b32 v105, v107, v106, v105
.LBB4_2352:                             ;   in Loop: Header=BB4_2140 Depth=3
	s_or_b32 exec_lo, exec_lo, s19
	v_mul_f32_e32 v105, v104, v105
	v_and_b32_e32 v104, 0x7f800000, v105
	v_cmp_ne_u32_e32 vcc_lo, 0x7f800000, v104
	v_mov_b32_e32 v104, 0x80
	s_and_saveexec_b32 s19, vcc_lo
	s_cbranch_execz .LBB4_2360
; %bb.2353:                             ;   in Loop: Header=BB4_2140 Depth=3
	v_mov_b32_e32 v104, 0
	s_mov_b32 s22, exec_lo
	v_cmpx_ne_u32_e32 0, v105
	s_cbranch_execz .LBB4_2359
; %bb.2354:                             ;   in Loop: Header=BB4_2140 Depth=3
	v_bfe_u32 v104, v105, 23, 8
	v_and_b32_e32 v106, 0x7fffff, v105
	v_sub_nc_u32_e32 v107, 0x70, v104
	v_cmp_gt_u32_e32 vcc_lo, 0x71, v104
	v_or_b32_e32 v108, 0x800000, v106
	v_cndmask_b32_e32 v107, 0, v107, vcc_lo
	v_cmp_eq_u32_e32 vcc_lo, 0, v104
	v_add_nc_u32_e32 v104, 0xffffff91, v104
	v_cndmask_b32_e64 v107, v107, 0x6f, vcc_lo
	v_cndmask_b32_e32 v106, v108, v106, vcc_lo
	v_cndmask_b32_e64 v104, v104, 0xffffff92, vcc_lo
	v_lshl_add_u32 v108, 0x200000, v107, -1
	v_lshrrev_b32_e32 v109, v107, v106
	v_lshlrev_b32_e64 v111, v107, 0x100000
	v_add_nc_u32_e32 v107, v107, v104
	v_and_b32_e32 v106, v108, v106
	v_bfe_u32 v110, v109, 21, 1
	v_cmp_eq_u32_e64 s16, v106, v111
	v_add_nc_u32_e32 v108, -1, v110
	v_cndmask_b32_e64 v106, 0, v108, s16
	v_lshrrev_b32_e32 v108, 23, v109
	s_mov_b32 s16, exec_lo
	v_add_nc_u32_e32 v106, v106, v109
	v_xor_b32_e32 v108, 1, v108
	v_and_b32_e32 v104, 0x1fffff, v106
	v_add_nc_u32_e32 v106, v104, v109
                                        ; implicit-def: $vgpr104
	v_cmpx_ne_u32_e64 v107, v108
	s_xor_b32 s16, exec_lo, s16
; %bb.2355:                             ;   in Loop: Header=BB4_2140 Depth=3
	v_cmp_lt_u32_e32 vcc_lo, 0xffffff, v106
	v_sub_nc_u32_e32 v104, v107, v108
	v_cndmask_b32_e64 v107, 0, 1, vcc_lo
	v_add_co_ci_u32_e64 v104, null, 0, v104, vcc_lo
	v_lshrrev_b32_e32 v106, v107, v106
; %bb.2356:                             ;   in Loop: Header=BB4_2140 Depth=3
	s_andn2_saveexec_b32 s16, s16
; %bb.2357:                             ;   in Loop: Header=BB4_2140 Depth=3
	v_bfe_u32 v104, v106, 23, 1
; %bb.2358:                             ;   in Loop: Header=BB4_2140 Depth=3
	s_or_b32 exec_lo, exec_lo, s16
	v_lshrrev_b32_e32 v106, 21, v106
	v_min_i32_e32 v107, 31, v104
	v_cmp_gt_i32_e32 vcc_lo, 32, v104
	v_and_b32_sdwa v105, v105, v116 dst_sel:DWORD dst_unused:UNUSED_PAD src0_sel:BYTE_3 src1_sel:DWORD
	v_lshlrev_b32_e32 v107, 2, v107
	v_cndmask_b32_e32 v106, 3, v106, vcc_lo
	v_and_b32_e32 v107, 0xfc, v107
	v_and_b32_e32 v108, 3, v106
	v_or_b32_e32 v104, v104, v106
	v_or3_b32 v105, v107, v105, v108
	v_cmp_ne_u32_e32 vcc_lo, 0, v104
	v_cndmask_b32_e32 v104, 0, v105, vcc_lo
.LBB4_2359:                             ;   in Loop: Header=BB4_2140 Depth=3
	s_or_b32 exec_lo, exec_lo, s22
.LBB4_2360:                             ;   in Loop: Header=BB4_2140 Depth=3
	s_or_b32 exec_lo, exec_lo, s19
	v_cmp_gt_i16_sdwa s19, v22, v115 src0_sel:BYTE_3 src1_sel:DWORD
	s_mov_b32 s16, 0
	s_and_saveexec_b32 s22, s19
	s_xor_b32 s19, exec_lo, s22
	s_cbranch_execz .LBB4_2822
; %bb.2361:                             ;   in Loop: Header=BB4_2140 Depth=3
	v_cmp_eq_u16_sdwa s23, v22, v116 src0_sel:BYTE_3 src1_sel:DWORD
	s_mov_b32 s16, -1
	s_and_saveexec_b32 s22, s23
; %bb.2362:                             ;   in Loop: Header=BB4_2140 Depth=3
	s_xor_b32 s16, exec_lo, -1
; %bb.2363:                             ;   in Loop: Header=BB4_2140 Depth=3
	s_or_b32 exec_lo, exec_lo, s22
	s_and_b32 s16, s16, exec_lo
	s_or_saveexec_b32 s19, s19
	v_mov_b32_e32 v105, 0x7f800001
	s_xor_b32 exec_lo, exec_lo, s19
	s_cbranch_execnz .LBB4_2823
.LBB4_2364:                             ;   in Loop: Header=BB4_2140 Depth=3
	s_or_b32 exec_lo, exec_lo, s19
	s_and_saveexec_b32 s19, s16
	s_cbranch_execz .LBB4_2366
.LBB4_2365:                             ;   in Loop: Header=BB4_2140 Depth=3
	v_bfe_u32 v105, v22, 24, 2
	v_bfe_u32 v108, v22, 26, 5
	v_ffbh_u32_e32 v106, v105
	v_cmp_eq_u32_e32 vcc_lo, 0, v108
	v_min_u32_e32 v106, 32, v106
	v_subrev_nc_u32_e32 v107, 29, v106
	v_sub_nc_u32_e32 v106, 30, v106
	v_lshlrev_b32_sdwa v107, v107, v22 dst_sel:DWORD dst_unused:UNUSED_PAD src0_sel:DWORD src1_sel:BYTE_3
	v_cndmask_b32_e32 v106, v108, v106, vcc_lo
	v_and_b32_e32 v22, 0x80000000, v22
	v_and_b32_e32 v107, 3, v107
	v_lshl_add_u32 v106, v106, 23, 0x37800000
	v_cndmask_b32_e32 v105, v105, v107, vcc_lo
	v_lshlrev_b32_e32 v105, 21, v105
	v_or3_b32 v105, v22, v106, v105
.LBB4_2366:                             ;   in Loop: Header=BB4_2140 Depth=3
	s_or_b32 exec_lo, exec_lo, s19
	v_cmp_gt_i16_sdwa s19, v18, v115 src0_sel:BYTE_3 src1_sel:DWORD
	s_mov_b32 s16, 0
	s_and_saveexec_b32 s22, s19
	s_xor_b32 s19, exec_lo, s22
	s_cbranch_execz .LBB4_2824
; %bb.2367:                             ;   in Loop: Header=BB4_2140 Depth=3
	v_cmp_eq_u16_sdwa s23, v18, v116 src0_sel:BYTE_3 src1_sel:DWORD
	s_mov_b32 s16, -1
	s_and_saveexec_b32 s22, s23
; %bb.2368:                             ;   in Loop: Header=BB4_2140 Depth=3
	s_xor_b32 s16, exec_lo, -1
; %bb.2369:                             ;   in Loop: Header=BB4_2140 Depth=3
	s_or_b32 exec_lo, exec_lo, s22
	s_and_b32 s16, s16, exec_lo
	s_or_saveexec_b32 s19, s19
	v_mov_b32_e32 v22, 0x7f800001
	s_xor_b32 exec_lo, exec_lo, s19
	s_cbranch_execnz .LBB4_2825
.LBB4_2370:                             ;   in Loop: Header=BB4_2140 Depth=3
	s_or_b32 exec_lo, exec_lo, s19
	s_and_saveexec_b32 s19, s16
	s_cbranch_execz .LBB4_2372
.LBB4_2371:                             ;   in Loop: Header=BB4_2140 Depth=3
	v_bfe_u32 v22, v18, 24, 2
	v_bfe_u32 v108, v18, 26, 5
	v_ffbh_u32_e32 v106, v22
	v_cmp_eq_u32_e32 vcc_lo, 0, v108
	v_min_u32_e32 v106, 32, v106
	v_subrev_nc_u32_e32 v107, 29, v106
	v_sub_nc_u32_e32 v106, 30, v106
	v_lshlrev_b32_sdwa v107, v107, v18 dst_sel:DWORD dst_unused:UNUSED_PAD src0_sel:DWORD src1_sel:BYTE_3
	v_cndmask_b32_e32 v106, v108, v106, vcc_lo
	v_and_b32_e32 v18, 0x80000000, v18
	v_and_b32_e32 v107, 3, v107
	v_lshl_add_u32 v106, v106, 23, 0x37800000
	v_cndmask_b32_e32 v22, v22, v107, vcc_lo
	v_lshlrev_b32_e32 v22, 21, v22
	v_or3_b32 v22, v18, v106, v22
.LBB4_2372:                             ;   in Loop: Header=BB4_2140 Depth=3
	s_or_b32 exec_lo, exec_lo, s19
	v_mul_f32_e32 v22, v105, v22
	v_and_b32_e32 v18, 0x7f800000, v22
	v_cmp_ne_u32_e32 vcc_lo, 0x7f800000, v18
	v_mov_b32_e32 v18, 0x8000
	s_and_saveexec_b32 s19, vcc_lo
	s_cbranch_execz .LBB4_2380
; %bb.2373:                             ;   in Loop: Header=BB4_2140 Depth=3
	v_mov_b32_e32 v18, 0
	s_mov_b32 s22, exec_lo
	v_cmpx_ne_u32_e32 0, v22
	s_cbranch_execz .LBB4_2379
; %bb.2374:                             ;   in Loop: Header=BB4_2140 Depth=3
	v_bfe_u32 v18, v22, 23, 8
	v_and_b32_e32 v105, 0x7fffff, v22
	v_sub_nc_u32_e32 v106, 0x70, v18
	v_cmp_gt_u32_e32 vcc_lo, 0x71, v18
	v_or_b32_e32 v107, 0x800000, v105
	v_cndmask_b32_e32 v106, 0, v106, vcc_lo
	v_cmp_eq_u32_e32 vcc_lo, 0, v18
	v_add_nc_u32_e32 v18, 0xffffff91, v18
	v_cndmask_b32_e64 v106, v106, 0x6f, vcc_lo
	v_cndmask_b32_e32 v105, v107, v105, vcc_lo
	v_cndmask_b32_e64 v18, v18, 0xffffff92, vcc_lo
	v_lshl_add_u32 v107, 0x200000, v106, -1
	v_lshrrev_b32_e32 v108, v106, v105
	v_lshlrev_b32_e64 v110, v106, 0x100000
	v_add_nc_u32_e32 v106, v106, v18
	v_and_b32_e32 v105, v107, v105
	v_bfe_u32 v109, v108, 21, 1
	v_cmp_eq_u32_e64 s16, v105, v110
	v_add_nc_u32_e32 v107, -1, v109
	v_cndmask_b32_e64 v105, 0, v107, s16
	v_lshrrev_b32_e32 v107, 23, v108
	s_mov_b32 s16, exec_lo
	v_add_nc_u32_e32 v105, v105, v108
	v_xor_b32_e32 v107, 1, v107
	v_and_b32_e32 v18, 0x1fffff, v105
	v_add_nc_u32_e32 v105, v18, v108
                                        ; implicit-def: $vgpr18
	v_cmpx_ne_u32_e64 v106, v107
	s_xor_b32 s16, exec_lo, s16
; %bb.2375:                             ;   in Loop: Header=BB4_2140 Depth=3
	v_cmp_lt_u32_e32 vcc_lo, 0xffffff, v105
	v_sub_nc_u32_e32 v18, v106, v107
	v_cndmask_b32_e64 v106, 0, 1, vcc_lo
	v_add_co_ci_u32_e64 v18, null, 0, v18, vcc_lo
	v_lshrrev_b32_e32 v105, v106, v105
; %bb.2376:                             ;   in Loop: Header=BB4_2140 Depth=3
	s_andn2_saveexec_b32 s16, s16
; %bb.2377:                             ;   in Loop: Header=BB4_2140 Depth=3
	v_bfe_u32 v18, v105, 23, 1
; %bb.2378:                             ;   in Loop: Header=BB4_2140 Depth=3
	s_or_b32 exec_lo, exec_lo, s16
	v_lshrrev_b32_e32 v105, 21, v105
	v_min_i32_e32 v106, 31, v18
	v_cmp_gt_i32_e32 vcc_lo, 32, v18
	v_and_b32_sdwa v22, v22, v116 dst_sel:DWORD dst_unused:UNUSED_PAD src0_sel:BYTE_3 src1_sel:DWORD
	v_lshlrev_b32_e32 v106, 2, v106
	v_cndmask_b32_e32 v105, 3, v105, vcc_lo
	v_and_b32_e32 v106, 0xfc, v106
	v_and_b32_e32 v107, 3, v105
	v_or_b32_e32 v18, v18, v105
	v_or3_b32 v22, v22, v106, v107
	v_cmp_ne_u32_e32 vcc_lo, 0, v18
	v_lshlrev_b32_e32 v22, 8, v22
	v_cndmask_b32_e32 v18, 0, v22, vcc_lo
.LBB4_2379:                             ;   in Loop: Header=BB4_2140 Depth=3
	s_or_b32 exec_lo, exec_lo, s22
.LBB4_2380:                             ;   in Loop: Header=BB4_2140 Depth=3
	s_or_b32 exec_lo, exec_lo, s19
	v_cmp_gt_i16_sdwa s19, v23, v115 src0_sel:BYTE_0 src1_sel:DWORD
	s_mov_b32 s16, 0
	s_and_saveexec_b32 s22, s19
	s_xor_b32 s19, exec_lo, s22
	s_cbranch_execz .LBB4_2826
; %bb.2381:                             ;   in Loop: Header=BB4_2140 Depth=3
	v_cmp_eq_u16_sdwa s23, v23, v116 src0_sel:BYTE_0 src1_sel:DWORD
	s_mov_b32 s16, -1
	s_and_saveexec_b32 s22, s23
; %bb.2382:                             ;   in Loop: Header=BB4_2140 Depth=3
	s_xor_b32 s16, exec_lo, -1
; %bb.2383:                             ;   in Loop: Header=BB4_2140 Depth=3
	s_or_b32 exec_lo, exec_lo, s22
	s_and_b32 s16, s16, exec_lo
	s_or_saveexec_b32 s19, s19
	v_mov_b32_e32 v22, 0x7f800001
	s_xor_b32 exec_lo, exec_lo, s19
	s_cbranch_execnz .LBB4_2827
.LBB4_2384:                             ;   in Loop: Header=BB4_2140 Depth=3
	s_or_b32 exec_lo, exec_lo, s19
	s_and_saveexec_b32 s19, s16
	s_cbranch_execz .LBB4_2386
.LBB4_2385:                             ;   in Loop: Header=BB4_2140 Depth=3
	v_and_b32_e32 v22, 3, v23
	v_bfe_u32 v107, v23, 2, 5
	v_lshlrev_b32_e32 v108, 24, v23
	v_ffbh_u32_e32 v105, v22
	v_cmp_eq_u32_e32 vcc_lo, 0, v107
	v_min_u32_e32 v105, 32, v105
	v_subrev_nc_u32_e32 v106, 29, v105
	v_sub_nc_u32_e32 v105, 30, v105
	v_lshlrev_b32_e32 v106, v106, v23
	v_cndmask_b32_e32 v105, v107, v105, vcc_lo
	v_and_b32_e32 v106, 3, v106
	v_lshl_add_u32 v105, v105, 23, 0x37800000
	v_cndmask_b32_e32 v22, v22, v106, vcc_lo
	v_and_b32_e32 v106, 0x80000000, v108
	v_lshlrev_b32_e32 v22, 21, v22
	v_or3_b32 v22, v106, v105, v22
.LBB4_2386:                             ;   in Loop: Header=BB4_2140 Depth=3
	s_or_b32 exec_lo, exec_lo, s19
	v_cmp_gt_i16_sdwa s19, v19, v115 src0_sel:BYTE_0 src1_sel:DWORD
	s_mov_b32 s16, 0
	s_and_saveexec_b32 s22, s19
	s_xor_b32 s19, exec_lo, s22
	s_cbranch_execz .LBB4_2828
; %bb.2387:                             ;   in Loop: Header=BB4_2140 Depth=3
	v_cmp_eq_u16_sdwa s23, v19, v116 src0_sel:BYTE_0 src1_sel:DWORD
	s_mov_b32 s16, -1
	s_and_saveexec_b32 s22, s23
; %bb.2388:                             ;   in Loop: Header=BB4_2140 Depth=3
	s_xor_b32 s16, exec_lo, -1
; %bb.2389:                             ;   in Loop: Header=BB4_2140 Depth=3
	s_or_b32 exec_lo, exec_lo, s22
	s_and_b32 s16, s16, exec_lo
	s_or_saveexec_b32 s19, s19
	v_mov_b32_e32 v105, 0x7f800001
	s_xor_b32 exec_lo, exec_lo, s19
	s_cbranch_execnz .LBB4_2829
.LBB4_2390:                             ;   in Loop: Header=BB4_2140 Depth=3
	s_or_b32 exec_lo, exec_lo, s19
	s_and_saveexec_b32 s19, s16
	s_cbranch_execz .LBB4_2392
.LBB4_2391:                             ;   in Loop: Header=BB4_2140 Depth=3
	v_and_b32_e32 v105, 3, v19
	v_bfe_u32 v108, v19, 2, 5
	v_lshlrev_b32_e32 v109, 24, v19
	v_ffbh_u32_e32 v106, v105
	v_cmp_eq_u32_e32 vcc_lo, 0, v108
	v_min_u32_e32 v106, 32, v106
	v_subrev_nc_u32_e32 v107, 29, v106
	v_sub_nc_u32_e32 v106, 30, v106
	v_lshlrev_b32_e32 v107, v107, v19
	v_cndmask_b32_e32 v106, v108, v106, vcc_lo
	v_and_b32_e32 v107, 3, v107
	v_lshl_add_u32 v106, v106, 23, 0x37800000
	v_cndmask_b32_e32 v105, v105, v107, vcc_lo
	v_and_b32_e32 v107, 0x80000000, v109
	v_lshlrev_b32_e32 v105, 21, v105
	v_or3_b32 v105, v107, v106, v105
.LBB4_2392:                             ;   in Loop: Header=BB4_2140 Depth=3
	s_or_b32 exec_lo, exec_lo, s19
	v_mul_f32_e32 v105, v22, v105
	v_and_b32_e32 v22, 0x7f800000, v105
	v_cmp_ne_u32_e32 vcc_lo, 0x7f800000, v22
	v_mov_b32_e32 v22, 0x80
	s_and_saveexec_b32 s19, vcc_lo
	s_cbranch_execz .LBB4_2400
; %bb.2393:                             ;   in Loop: Header=BB4_2140 Depth=3
	v_mov_b32_e32 v22, 0
	s_mov_b32 s22, exec_lo
	v_cmpx_ne_u32_e32 0, v105
	s_cbranch_execz .LBB4_2399
; %bb.2394:                             ;   in Loop: Header=BB4_2140 Depth=3
	v_bfe_u32 v22, v105, 23, 8
	v_and_b32_e32 v106, 0x7fffff, v105
	v_sub_nc_u32_e32 v107, 0x70, v22
	v_cmp_gt_u32_e32 vcc_lo, 0x71, v22
	v_or_b32_e32 v108, 0x800000, v106
	v_cndmask_b32_e32 v107, 0, v107, vcc_lo
	v_cmp_eq_u32_e32 vcc_lo, 0, v22
	v_add_nc_u32_e32 v22, 0xffffff91, v22
	v_cndmask_b32_e64 v107, v107, 0x6f, vcc_lo
	v_cndmask_b32_e32 v106, v108, v106, vcc_lo
	v_cndmask_b32_e64 v22, v22, 0xffffff92, vcc_lo
	v_lshl_add_u32 v108, 0x200000, v107, -1
	v_lshrrev_b32_e32 v109, v107, v106
	v_lshlrev_b32_e64 v111, v107, 0x100000
	v_add_nc_u32_e32 v107, v107, v22
	v_and_b32_e32 v106, v108, v106
	v_bfe_u32 v110, v109, 21, 1
	v_cmp_eq_u32_e64 s16, v106, v111
	v_add_nc_u32_e32 v108, -1, v110
	v_cndmask_b32_e64 v106, 0, v108, s16
	v_lshrrev_b32_e32 v108, 23, v109
	s_mov_b32 s16, exec_lo
	v_add_nc_u32_e32 v106, v106, v109
	v_xor_b32_e32 v108, 1, v108
	v_and_b32_e32 v22, 0x1fffff, v106
	v_add_nc_u32_e32 v106, v22, v109
                                        ; implicit-def: $vgpr22
	v_cmpx_ne_u32_e64 v107, v108
	s_xor_b32 s16, exec_lo, s16
; %bb.2395:                             ;   in Loop: Header=BB4_2140 Depth=3
	v_cmp_lt_u32_e32 vcc_lo, 0xffffff, v106
	v_sub_nc_u32_e32 v22, v107, v108
	v_cndmask_b32_e64 v107, 0, 1, vcc_lo
	v_add_co_ci_u32_e64 v22, null, 0, v22, vcc_lo
	v_lshrrev_b32_e32 v106, v107, v106
; %bb.2396:                             ;   in Loop: Header=BB4_2140 Depth=3
	s_andn2_saveexec_b32 s16, s16
; %bb.2397:                             ;   in Loop: Header=BB4_2140 Depth=3
	v_bfe_u32 v22, v106, 23, 1
; %bb.2398:                             ;   in Loop: Header=BB4_2140 Depth=3
	s_or_b32 exec_lo, exec_lo, s16
	v_lshrrev_b32_e32 v106, 21, v106
	v_min_i32_e32 v107, 31, v22
	v_cmp_gt_i32_e32 vcc_lo, 32, v22
	v_and_b32_sdwa v105, v105, v116 dst_sel:DWORD dst_unused:UNUSED_PAD src0_sel:BYTE_3 src1_sel:DWORD
	v_lshlrev_b32_e32 v107, 2, v107
	v_cndmask_b32_e32 v106, 3, v106, vcc_lo
	v_and_b32_e32 v107, 0xfc, v107
	v_and_b32_e32 v108, 3, v106
	v_or_b32_e32 v22, v22, v106
	v_or3_b32 v105, v107, v105, v108
	v_cmp_ne_u32_e32 vcc_lo, 0, v22
	v_cndmask_b32_e32 v22, 0, v105, vcc_lo
.LBB4_2399:                             ;   in Loop: Header=BB4_2140 Depth=3
	s_or_b32 exec_lo, exec_lo, s22
.LBB4_2400:                             ;   in Loop: Header=BB4_2140 Depth=3
	s_or_b32 exec_lo, exec_lo, s19
	v_cmp_gt_i16_sdwa s19, v23, v115 src0_sel:BYTE_1 src1_sel:DWORD
	s_mov_b32 s16, 0
	s_and_saveexec_b32 s22, s19
	s_xor_b32 s19, exec_lo, s22
	s_cbranch_execz .LBB4_2830
; %bb.2401:                             ;   in Loop: Header=BB4_2140 Depth=3
	v_cmp_eq_u16_sdwa s23, v23, v116 src0_sel:BYTE_1 src1_sel:DWORD
	s_mov_b32 s16, -1
	s_and_saveexec_b32 s22, s23
; %bb.2402:                             ;   in Loop: Header=BB4_2140 Depth=3
	s_xor_b32 s16, exec_lo, -1
; %bb.2403:                             ;   in Loop: Header=BB4_2140 Depth=3
	s_or_b32 exec_lo, exec_lo, s22
	s_and_b32 s16, s16, exec_lo
	s_or_saveexec_b32 s19, s19
	v_mov_b32_e32 v105, 0x7f800001
	s_xor_b32 exec_lo, exec_lo, s19
	s_cbranch_execnz .LBB4_2831
.LBB4_2404:                             ;   in Loop: Header=BB4_2140 Depth=3
	s_or_b32 exec_lo, exec_lo, s19
	s_and_saveexec_b32 s19, s16
	s_cbranch_execz .LBB4_2406
.LBB4_2405:                             ;   in Loop: Header=BB4_2140 Depth=3
	v_and_b32_sdwa v105, v117, v23 dst_sel:DWORD dst_unused:UNUSED_PAD src0_sel:DWORD src1_sel:BYTE_1
	v_and_b32_e32 v106, 3, v105
	v_bfe_u32 v109, v105, 2, 5
	v_ffbh_u32_e32 v107, v106
	v_cmp_eq_u32_e32 vcc_lo, 0, v109
	v_min_u32_e32 v107, 32, v107
	v_subrev_nc_u32_e32 v108, 29, v107
	v_sub_nc_u32_e32 v107, 30, v107
	v_lshlrev_b32_e32 v105, v108, v105
	v_lshlrev_b32_sdwa v108, v118, v23 dst_sel:DWORD dst_unused:UNUSED_PAD src0_sel:DWORD src1_sel:BYTE_1
	v_cndmask_b32_e32 v107, v109, v107, vcc_lo
	v_and_b32_e32 v105, 3, v105
	v_lshl_add_u32 v107, v107, 23, 0x37800000
	v_cndmask_b32_e32 v105, v106, v105, vcc_lo
	v_and_b32_e32 v106, 0x80000000, v108
	v_lshlrev_b32_e32 v105, 21, v105
	v_or3_b32 v105, v106, v107, v105
.LBB4_2406:                             ;   in Loop: Header=BB4_2140 Depth=3
	s_or_b32 exec_lo, exec_lo, s19
	v_cmp_gt_i16_sdwa s19, v19, v115 src0_sel:BYTE_1 src1_sel:DWORD
	s_mov_b32 s16, 0
	s_and_saveexec_b32 s22, s19
	s_xor_b32 s19, exec_lo, s22
	s_cbranch_execz .LBB4_2832
; %bb.2407:                             ;   in Loop: Header=BB4_2140 Depth=3
	v_cmp_eq_u16_sdwa s23, v19, v116 src0_sel:BYTE_1 src1_sel:DWORD
	s_mov_b32 s16, -1
	s_and_saveexec_b32 s22, s23
; %bb.2408:                             ;   in Loop: Header=BB4_2140 Depth=3
	s_xor_b32 s16, exec_lo, -1
; %bb.2409:                             ;   in Loop: Header=BB4_2140 Depth=3
	s_or_b32 exec_lo, exec_lo, s22
	s_and_b32 s16, s16, exec_lo
	s_or_saveexec_b32 s19, s19
	v_mov_b32_e32 v106, 0x7f800001
	s_xor_b32 exec_lo, exec_lo, s19
	s_cbranch_execnz .LBB4_2833
.LBB4_2410:                             ;   in Loop: Header=BB4_2140 Depth=3
	s_or_b32 exec_lo, exec_lo, s19
	s_and_saveexec_b32 s19, s16
	s_cbranch_execz .LBB4_2412
.LBB4_2411:                             ;   in Loop: Header=BB4_2140 Depth=3
	v_and_b32_sdwa v106, v117, v19 dst_sel:DWORD dst_unused:UNUSED_PAD src0_sel:DWORD src1_sel:BYTE_1
	v_and_b32_e32 v107, 3, v106
	v_bfe_u32 v110, v106, 2, 5
	v_ffbh_u32_e32 v108, v107
	v_cmp_eq_u32_e32 vcc_lo, 0, v110
	v_min_u32_e32 v108, 32, v108
	v_subrev_nc_u32_e32 v109, 29, v108
	v_sub_nc_u32_e32 v108, 30, v108
	v_lshlrev_b32_e32 v106, v109, v106
	v_lshlrev_b32_sdwa v109, v118, v19 dst_sel:DWORD dst_unused:UNUSED_PAD src0_sel:DWORD src1_sel:BYTE_1
	v_cndmask_b32_e32 v108, v110, v108, vcc_lo
	v_and_b32_e32 v106, 3, v106
	v_lshl_add_u32 v108, v108, 23, 0x37800000
	v_cndmask_b32_e32 v106, v107, v106, vcc_lo
	v_and_b32_e32 v107, 0x80000000, v109
	v_lshlrev_b32_e32 v106, 21, v106
	v_or3_b32 v106, v107, v108, v106
.LBB4_2412:                             ;   in Loop: Header=BB4_2140 Depth=3
	s_or_b32 exec_lo, exec_lo, s19
	v_mul_f32_e32 v106, v105, v106
	v_and_b32_e32 v105, 0x7f800000, v106
	v_cmp_ne_u32_e32 vcc_lo, 0x7f800000, v105
	v_mov_b32_e32 v105, 0x8000
	s_and_saveexec_b32 s19, vcc_lo
	s_cbranch_execz .LBB4_2420
; %bb.2413:                             ;   in Loop: Header=BB4_2140 Depth=3
	v_mov_b32_e32 v105, 0
	s_mov_b32 s22, exec_lo
	v_cmpx_ne_u32_e32 0, v106
	s_cbranch_execz .LBB4_2419
; %bb.2414:                             ;   in Loop: Header=BB4_2140 Depth=3
	v_bfe_u32 v105, v106, 23, 8
	v_and_b32_e32 v107, 0x7fffff, v106
	v_sub_nc_u32_e32 v108, 0x70, v105
	v_cmp_gt_u32_e32 vcc_lo, 0x71, v105
	v_or_b32_e32 v109, 0x800000, v107
	v_cndmask_b32_e32 v108, 0, v108, vcc_lo
	v_cmp_eq_u32_e32 vcc_lo, 0, v105
	v_add_nc_u32_e32 v105, 0xffffff91, v105
	v_cndmask_b32_e64 v108, v108, 0x6f, vcc_lo
	v_cndmask_b32_e32 v107, v109, v107, vcc_lo
	v_cndmask_b32_e64 v105, v105, 0xffffff92, vcc_lo
	v_lshl_add_u32 v109, 0x200000, v108, -1
	v_lshrrev_b32_e32 v110, v108, v107
	v_lshlrev_b32_e64 v120, v108, 0x100000
	v_add_nc_u32_e32 v108, v108, v105
	v_and_b32_e32 v107, v109, v107
	v_bfe_u32 v111, v110, 21, 1
	v_cmp_eq_u32_e64 s16, v107, v120
	v_add_nc_u32_e32 v109, -1, v111
	v_cndmask_b32_e64 v107, 0, v109, s16
	v_lshrrev_b32_e32 v109, 23, v110
	s_mov_b32 s16, exec_lo
	v_add_nc_u32_e32 v107, v107, v110
	v_xor_b32_e32 v109, 1, v109
	v_and_b32_e32 v105, 0x1fffff, v107
	v_add_nc_u32_e32 v107, v105, v110
                                        ; implicit-def: $vgpr105
	v_cmpx_ne_u32_e64 v108, v109
	s_xor_b32 s16, exec_lo, s16
; %bb.2415:                             ;   in Loop: Header=BB4_2140 Depth=3
	v_cmp_lt_u32_e32 vcc_lo, 0xffffff, v107
	v_sub_nc_u32_e32 v105, v108, v109
	v_cndmask_b32_e64 v108, 0, 1, vcc_lo
	v_add_co_ci_u32_e64 v105, null, 0, v105, vcc_lo
	v_lshrrev_b32_e32 v107, v108, v107
; %bb.2416:                             ;   in Loop: Header=BB4_2140 Depth=3
	s_andn2_saveexec_b32 s16, s16
; %bb.2417:                             ;   in Loop: Header=BB4_2140 Depth=3
	v_bfe_u32 v105, v107, 23, 1
; %bb.2418:                             ;   in Loop: Header=BB4_2140 Depth=3
	s_or_b32 exec_lo, exec_lo, s16
	v_lshrrev_b32_e32 v107, 21, v107
	v_min_i32_e32 v108, 31, v105
	v_cmp_gt_i32_e32 vcc_lo, 32, v105
	v_and_b32_sdwa v106, v106, v116 dst_sel:DWORD dst_unused:UNUSED_PAD src0_sel:BYTE_3 src1_sel:DWORD
	v_lshlrev_b32_e32 v108, 2, v108
	v_cndmask_b32_e32 v107, 3, v107, vcc_lo
	v_and_b32_e32 v108, 0xfc, v108
	v_and_b32_e32 v109, 3, v107
	v_or_b32_e32 v105, v105, v107
	v_or3_b32 v106, v106, v108, v109
	v_cmp_ne_u32_e32 vcc_lo, 0, v105
	v_lshlrev_b32_e32 v106, 8, v106
	v_cndmask_b32_e32 v105, 0, v106, vcc_lo
.LBB4_2419:                             ;   in Loop: Header=BB4_2140 Depth=3
	s_or_b32 exec_lo, exec_lo, s22
.LBB4_2420:                             ;   in Loop: Header=BB4_2140 Depth=3
	s_or_b32 exec_lo, exec_lo, s19
	v_and_b32_sdwa v107, v23, v119 dst_sel:DWORD dst_unused:UNUSED_PAD src0_sel:WORD_1 src1_sel:DWORD
	s_mov_b32 s16, 0
	s_mov_b32 s19, exec_lo
	v_cmpx_lt_i16_e32 0x7f, v107
	s_xor_b32 s19, exec_lo, s19
	s_cbranch_execz .LBB4_2834
; %bb.2421:                             ;   in Loop: Header=BB4_2140 Depth=3
	s_mov_b32 s16, -1
	s_mov_b32 s22, exec_lo
	v_cmpx_eq_u16_e32 0x80, v107
; %bb.2422:                             ;   in Loop: Header=BB4_2140 Depth=3
	s_xor_b32 s16, exec_lo, -1
; %bb.2423:                             ;   in Loop: Header=BB4_2140 Depth=3
	s_or_b32 exec_lo, exec_lo, s22
	s_and_b32 s16, s16, exec_lo
                                        ; implicit-def: $vgpr107
	s_or_saveexec_b32 s19, s19
	v_mov_b32_e32 v106, 0x7f800001
	s_xor_b32 exec_lo, exec_lo, s19
	s_cbranch_execnz .LBB4_2835
.LBB4_2424:                             ;   in Loop: Header=BB4_2140 Depth=3
	s_or_b32 exec_lo, exec_lo, s19
	s_and_saveexec_b32 s19, s16
	s_cbranch_execz .LBB4_2426
.LBB4_2425:                             ;   in Loop: Header=BB4_2140 Depth=3
	v_bfe_u32 v106, v23, 16, 2
	v_bfe_u32 v109, v23, 18, 5
	v_lshlrev_b32_e32 v110, 8, v23
	v_ffbh_u32_e32 v107, v106
	v_cmp_eq_u32_e32 vcc_lo, 0, v109
	v_min_u32_e32 v107, 32, v107
	v_subrev_nc_u32_e32 v108, 29, v107
	v_sub_nc_u32_e32 v107, 30, v107
	v_lshlrev_b32_sdwa v108, v108, v23 dst_sel:DWORD dst_unused:UNUSED_PAD src0_sel:DWORD src1_sel:WORD_1
	v_cndmask_b32_e32 v107, v109, v107, vcc_lo
	v_and_b32_e32 v108, 3, v108
	v_lshl_add_u32 v107, v107, 23, 0x37800000
	v_cndmask_b32_e32 v106, v106, v108, vcc_lo
	v_and_b32_e32 v108, 0x80000000, v110
	v_lshlrev_b32_e32 v106, 21, v106
	v_or3_b32 v106, v108, v107, v106
.LBB4_2426:                             ;   in Loop: Header=BB4_2140 Depth=3
	s_or_b32 exec_lo, exec_lo, s19
	v_and_b32_sdwa v108, v19, v119 dst_sel:DWORD dst_unused:UNUSED_PAD src0_sel:WORD_1 src1_sel:DWORD
	s_mov_b32 s16, 0
	s_mov_b32 s19, exec_lo
	v_cmpx_lt_i16_e32 0x7f, v108
	s_xor_b32 s19, exec_lo, s19
	s_cbranch_execz .LBB4_2836
; %bb.2427:                             ;   in Loop: Header=BB4_2140 Depth=3
	s_mov_b32 s16, -1
	s_mov_b32 s22, exec_lo
	v_cmpx_eq_u16_e32 0x80, v108
; %bb.2428:                             ;   in Loop: Header=BB4_2140 Depth=3
	s_xor_b32 s16, exec_lo, -1
; %bb.2429:                             ;   in Loop: Header=BB4_2140 Depth=3
	s_or_b32 exec_lo, exec_lo, s22
	s_and_b32 s16, s16, exec_lo
                                        ; implicit-def: $vgpr108
	s_or_saveexec_b32 s19, s19
	v_mov_b32_e32 v107, 0x7f800001
	s_xor_b32 exec_lo, exec_lo, s19
	s_cbranch_execnz .LBB4_2837
.LBB4_2430:                             ;   in Loop: Header=BB4_2140 Depth=3
	s_or_b32 exec_lo, exec_lo, s19
	s_and_saveexec_b32 s19, s16
	s_cbranch_execz .LBB4_2432
.LBB4_2431:                             ;   in Loop: Header=BB4_2140 Depth=3
	v_bfe_u32 v107, v19, 16, 2
	v_bfe_u32 v110, v19, 18, 5
	v_lshlrev_b32_e32 v111, 8, v19
	v_ffbh_u32_e32 v108, v107
	v_cmp_eq_u32_e32 vcc_lo, 0, v110
	v_min_u32_e32 v108, 32, v108
	v_subrev_nc_u32_e32 v109, 29, v108
	v_sub_nc_u32_e32 v108, 30, v108
	v_lshlrev_b32_sdwa v109, v109, v19 dst_sel:DWORD dst_unused:UNUSED_PAD src0_sel:DWORD src1_sel:WORD_1
	v_cndmask_b32_e32 v108, v110, v108, vcc_lo
	v_and_b32_e32 v109, 3, v109
	v_lshl_add_u32 v108, v108, 23, 0x37800000
	v_cndmask_b32_e32 v107, v107, v109, vcc_lo
	v_and_b32_e32 v109, 0x80000000, v111
	v_lshlrev_b32_e32 v107, 21, v107
	v_or3_b32 v107, v109, v108, v107
.LBB4_2432:                             ;   in Loop: Header=BB4_2140 Depth=3
	s_or_b32 exec_lo, exec_lo, s19
	v_mul_f32_e32 v107, v106, v107
	v_and_b32_e32 v106, 0x7f800000, v107
	v_cmp_ne_u32_e32 vcc_lo, 0x7f800000, v106
	v_mov_b32_e32 v106, 0x80
	s_and_saveexec_b32 s19, vcc_lo
	s_cbranch_execz .LBB4_2440
; %bb.2433:                             ;   in Loop: Header=BB4_2140 Depth=3
	v_mov_b32_e32 v106, 0
	s_mov_b32 s22, exec_lo
	v_cmpx_ne_u32_e32 0, v107
	s_cbranch_execz .LBB4_2439
; %bb.2434:                             ;   in Loop: Header=BB4_2140 Depth=3
	v_bfe_u32 v106, v107, 23, 8
	v_and_b32_e32 v108, 0x7fffff, v107
	v_sub_nc_u32_e32 v109, 0x70, v106
	v_cmp_gt_u32_e32 vcc_lo, 0x71, v106
	v_or_b32_e32 v110, 0x800000, v108
	v_cndmask_b32_e32 v109, 0, v109, vcc_lo
	v_cmp_eq_u32_e32 vcc_lo, 0, v106
	v_add_nc_u32_e32 v106, 0xffffff91, v106
	v_cndmask_b32_e64 v109, v109, 0x6f, vcc_lo
	v_cndmask_b32_e32 v108, v110, v108, vcc_lo
	v_cndmask_b32_e64 v106, v106, 0xffffff92, vcc_lo
	v_lshl_add_u32 v110, 0x200000, v109, -1
	v_lshrrev_b32_e32 v111, v109, v108
	v_lshlrev_b32_e64 v121, v109, 0x100000
	v_add_nc_u32_e32 v109, v109, v106
	v_and_b32_e32 v108, v110, v108
	v_bfe_u32 v120, v111, 21, 1
	v_cmp_eq_u32_e64 s16, v108, v121
	v_add_nc_u32_e32 v110, -1, v120
	v_cndmask_b32_e64 v108, 0, v110, s16
	v_lshrrev_b32_e32 v110, 23, v111
	s_mov_b32 s16, exec_lo
	v_add_nc_u32_e32 v108, v108, v111
	v_xor_b32_e32 v110, 1, v110
	v_and_b32_e32 v106, 0x1fffff, v108
	v_add_nc_u32_e32 v108, v106, v111
                                        ; implicit-def: $vgpr106
	v_cmpx_ne_u32_e64 v109, v110
	s_xor_b32 s16, exec_lo, s16
; %bb.2435:                             ;   in Loop: Header=BB4_2140 Depth=3
	v_cmp_lt_u32_e32 vcc_lo, 0xffffff, v108
	v_sub_nc_u32_e32 v106, v109, v110
	v_cndmask_b32_e64 v109, 0, 1, vcc_lo
	v_add_co_ci_u32_e64 v106, null, 0, v106, vcc_lo
	v_lshrrev_b32_e32 v108, v109, v108
; %bb.2436:                             ;   in Loop: Header=BB4_2140 Depth=3
	s_andn2_saveexec_b32 s16, s16
; %bb.2437:                             ;   in Loop: Header=BB4_2140 Depth=3
	v_bfe_u32 v106, v108, 23, 1
; %bb.2438:                             ;   in Loop: Header=BB4_2140 Depth=3
	s_or_b32 exec_lo, exec_lo, s16
	v_lshrrev_b32_e32 v108, 21, v108
	v_min_i32_e32 v109, 31, v106
	v_cmp_gt_i32_e32 vcc_lo, 32, v106
	v_and_b32_sdwa v107, v107, v116 dst_sel:DWORD dst_unused:UNUSED_PAD src0_sel:BYTE_3 src1_sel:DWORD
	v_lshlrev_b32_e32 v109, 2, v109
	v_cndmask_b32_e32 v108, 3, v108, vcc_lo
	v_and_b32_e32 v109, 0xfc, v109
	v_and_b32_e32 v110, 3, v108
	v_or_b32_e32 v106, v106, v108
	v_or3_b32 v107, v109, v107, v110
	v_cmp_ne_u32_e32 vcc_lo, 0, v106
	v_cndmask_b32_e32 v106, 0, v107, vcc_lo
.LBB4_2439:                             ;   in Loop: Header=BB4_2140 Depth=3
	s_or_b32 exec_lo, exec_lo, s22
.LBB4_2440:                             ;   in Loop: Header=BB4_2140 Depth=3
	s_or_b32 exec_lo, exec_lo, s19
	v_cmp_gt_i16_sdwa s19, v23, v115 src0_sel:BYTE_3 src1_sel:DWORD
	s_mov_b32 s16, 0
	s_and_saveexec_b32 s22, s19
	s_xor_b32 s19, exec_lo, s22
	s_cbranch_execz .LBB4_2838
; %bb.2441:                             ;   in Loop: Header=BB4_2140 Depth=3
	v_cmp_eq_u16_sdwa s23, v23, v116 src0_sel:BYTE_3 src1_sel:DWORD
	s_mov_b32 s16, -1
	s_and_saveexec_b32 s22, s23
; %bb.2442:                             ;   in Loop: Header=BB4_2140 Depth=3
	s_xor_b32 s16, exec_lo, -1
; %bb.2443:                             ;   in Loop: Header=BB4_2140 Depth=3
	s_or_b32 exec_lo, exec_lo, s22
	s_and_b32 s16, s16, exec_lo
	s_or_saveexec_b32 s19, s19
	v_mov_b32_e32 v107, 0x7f800001
	s_xor_b32 exec_lo, exec_lo, s19
	s_cbranch_execnz .LBB4_2839
.LBB4_2444:                             ;   in Loop: Header=BB4_2140 Depth=3
	s_or_b32 exec_lo, exec_lo, s19
	s_and_saveexec_b32 s19, s16
	s_cbranch_execz .LBB4_2446
.LBB4_2445:                             ;   in Loop: Header=BB4_2140 Depth=3
	v_bfe_u32 v107, v23, 24, 2
	v_bfe_u32 v110, v23, 26, 5
	v_ffbh_u32_e32 v108, v107
	v_cmp_eq_u32_e32 vcc_lo, 0, v110
	v_min_u32_e32 v108, 32, v108
	v_subrev_nc_u32_e32 v109, 29, v108
	v_sub_nc_u32_e32 v108, 30, v108
	v_lshlrev_b32_sdwa v109, v109, v23 dst_sel:DWORD dst_unused:UNUSED_PAD src0_sel:DWORD src1_sel:BYTE_3
	v_cndmask_b32_e32 v108, v110, v108, vcc_lo
	v_and_b32_e32 v23, 0x80000000, v23
	v_and_b32_e32 v109, 3, v109
	v_lshl_add_u32 v108, v108, 23, 0x37800000
	v_cndmask_b32_e32 v107, v107, v109, vcc_lo
	v_lshlrev_b32_e32 v107, 21, v107
	v_or3_b32 v107, v23, v108, v107
.LBB4_2446:                             ;   in Loop: Header=BB4_2140 Depth=3
	s_or_b32 exec_lo, exec_lo, s19
	v_cmp_gt_i16_sdwa s19, v19, v115 src0_sel:BYTE_3 src1_sel:DWORD
	s_mov_b32 s16, 0
	s_and_saveexec_b32 s22, s19
	s_xor_b32 s19, exec_lo, s22
	s_cbranch_execz .LBB4_2840
; %bb.2447:                             ;   in Loop: Header=BB4_2140 Depth=3
	v_cmp_eq_u16_sdwa s23, v19, v116 src0_sel:BYTE_3 src1_sel:DWORD
	s_mov_b32 s16, -1
	s_and_saveexec_b32 s22, s23
; %bb.2448:                             ;   in Loop: Header=BB4_2140 Depth=3
	s_xor_b32 s16, exec_lo, -1
; %bb.2449:                             ;   in Loop: Header=BB4_2140 Depth=3
	s_or_b32 exec_lo, exec_lo, s22
	s_and_b32 s16, s16, exec_lo
	s_or_saveexec_b32 s19, s19
	v_mov_b32_e32 v23, 0x7f800001
	s_xor_b32 exec_lo, exec_lo, s19
	s_cbranch_execnz .LBB4_2841
.LBB4_2450:                             ;   in Loop: Header=BB4_2140 Depth=3
	s_or_b32 exec_lo, exec_lo, s19
	s_and_saveexec_b32 s19, s16
	s_cbranch_execz .LBB4_2452
.LBB4_2451:                             ;   in Loop: Header=BB4_2140 Depth=3
	v_bfe_u32 v23, v19, 24, 2
	v_bfe_u32 v110, v19, 26, 5
	v_ffbh_u32_e32 v108, v23
	v_cmp_eq_u32_e32 vcc_lo, 0, v110
	v_min_u32_e32 v108, 32, v108
	v_subrev_nc_u32_e32 v109, 29, v108
	v_sub_nc_u32_e32 v108, 30, v108
	v_lshlrev_b32_sdwa v109, v109, v19 dst_sel:DWORD dst_unused:UNUSED_PAD src0_sel:DWORD src1_sel:BYTE_3
	v_cndmask_b32_e32 v108, v110, v108, vcc_lo
	v_and_b32_e32 v19, 0x80000000, v19
	v_and_b32_e32 v109, 3, v109
	v_lshl_add_u32 v108, v108, 23, 0x37800000
	v_cndmask_b32_e32 v23, v23, v109, vcc_lo
	v_lshlrev_b32_e32 v23, 21, v23
	v_or3_b32 v23, v19, v108, v23
.LBB4_2452:                             ;   in Loop: Header=BB4_2140 Depth=3
	s_or_b32 exec_lo, exec_lo, s19
	v_mul_f32_e32 v23, v107, v23
	v_and_b32_e32 v19, 0x7f800000, v23
	v_cmp_ne_u32_e32 vcc_lo, 0x7f800000, v19
	v_mov_b32_e32 v19, 0x8000
	s_and_saveexec_b32 s19, vcc_lo
	s_cbranch_execz .LBB4_2460
; %bb.2453:                             ;   in Loop: Header=BB4_2140 Depth=3
	v_mov_b32_e32 v19, 0
	s_mov_b32 s22, exec_lo
	v_cmpx_ne_u32_e32 0, v23
	s_cbranch_execz .LBB4_2459
; %bb.2454:                             ;   in Loop: Header=BB4_2140 Depth=3
	v_bfe_u32 v19, v23, 23, 8
	v_and_b32_e32 v107, 0x7fffff, v23
	v_sub_nc_u32_e32 v108, 0x70, v19
	v_cmp_gt_u32_e32 vcc_lo, 0x71, v19
	v_or_b32_e32 v109, 0x800000, v107
	v_cndmask_b32_e32 v108, 0, v108, vcc_lo
	v_cmp_eq_u32_e32 vcc_lo, 0, v19
	v_add_nc_u32_e32 v19, 0xffffff91, v19
	v_cndmask_b32_e64 v108, v108, 0x6f, vcc_lo
	v_cndmask_b32_e32 v107, v109, v107, vcc_lo
	v_cndmask_b32_e64 v19, v19, 0xffffff92, vcc_lo
	v_lshl_add_u32 v109, 0x200000, v108, -1
	v_lshrrev_b32_e32 v110, v108, v107
	v_lshlrev_b32_e64 v120, v108, 0x100000
	v_add_nc_u32_e32 v108, v108, v19
	v_and_b32_e32 v107, v109, v107
	v_bfe_u32 v111, v110, 21, 1
	v_cmp_eq_u32_e64 s16, v107, v120
	v_add_nc_u32_e32 v109, -1, v111
	v_cndmask_b32_e64 v107, 0, v109, s16
	v_lshrrev_b32_e32 v109, 23, v110
	s_mov_b32 s16, exec_lo
	v_add_nc_u32_e32 v107, v107, v110
	v_xor_b32_e32 v109, 1, v109
	v_and_b32_e32 v19, 0x1fffff, v107
	v_add_nc_u32_e32 v107, v19, v110
                                        ; implicit-def: $vgpr19
	v_cmpx_ne_u32_e64 v108, v109
	s_xor_b32 s16, exec_lo, s16
; %bb.2455:                             ;   in Loop: Header=BB4_2140 Depth=3
	v_cmp_lt_u32_e32 vcc_lo, 0xffffff, v107
	v_sub_nc_u32_e32 v19, v108, v109
	v_cndmask_b32_e64 v108, 0, 1, vcc_lo
	v_add_co_ci_u32_e64 v19, null, 0, v19, vcc_lo
	v_lshrrev_b32_e32 v107, v108, v107
; %bb.2456:                             ;   in Loop: Header=BB4_2140 Depth=3
	s_andn2_saveexec_b32 s16, s16
; %bb.2457:                             ;   in Loop: Header=BB4_2140 Depth=3
	v_bfe_u32 v19, v107, 23, 1
; %bb.2458:                             ;   in Loop: Header=BB4_2140 Depth=3
	s_or_b32 exec_lo, exec_lo, s16
	v_lshrrev_b32_e32 v107, 21, v107
	v_min_i32_e32 v108, 31, v19
	v_cmp_gt_i32_e32 vcc_lo, 32, v19
	v_and_b32_sdwa v23, v23, v116 dst_sel:DWORD dst_unused:UNUSED_PAD src0_sel:BYTE_3 src1_sel:DWORD
	v_lshlrev_b32_e32 v108, 2, v108
	v_cndmask_b32_e32 v107, 3, v107, vcc_lo
	v_and_b32_e32 v108, 0xfc, v108
	v_and_b32_e32 v109, 3, v107
	v_or_b32_e32 v19, v19, v107
	v_or3_b32 v23, v23, v108, v109
	v_cmp_ne_u32_e32 vcc_lo, 0, v19
	v_lshlrev_b32_e32 v23, 8, v23
	v_cndmask_b32_e32 v19, 0, v23, vcc_lo
.LBB4_2459:                             ;   in Loop: Header=BB4_2140 Depth=3
	s_or_b32 exec_lo, exec_lo, s22
.LBB4_2460:                             ;   in Loop: Header=BB4_2140 Depth=3
	s_or_b32 exec_lo, exec_lo, s19
	v_cmp_gt_i16_sdwa s19, v12, v115 src0_sel:BYTE_0 src1_sel:DWORD
	s_mov_b32 s16, 0
	s_and_saveexec_b32 s22, s19
	s_xor_b32 s19, exec_lo, s22
	s_cbranch_execz .LBB4_2842
; %bb.2461:                             ;   in Loop: Header=BB4_2140 Depth=3
	v_cmp_eq_u16_sdwa s23, v12, v116 src0_sel:BYTE_0 src1_sel:DWORD
	s_mov_b32 s16, -1
	s_and_saveexec_b32 s22, s23
; %bb.2462:                             ;   in Loop: Header=BB4_2140 Depth=3
	s_xor_b32 s16, exec_lo, -1
; %bb.2463:                             ;   in Loop: Header=BB4_2140 Depth=3
	s_or_b32 exec_lo, exec_lo, s22
	s_and_b32 s16, s16, exec_lo
	s_or_saveexec_b32 s19, s19
	v_mov_b32_e32 v23, 0x7f800001
	s_xor_b32 exec_lo, exec_lo, s19
	s_cbranch_execnz .LBB4_2843
.LBB4_2464:                             ;   in Loop: Header=BB4_2140 Depth=3
	s_or_b32 exec_lo, exec_lo, s19
	s_and_saveexec_b32 s19, s16
	s_cbranch_execz .LBB4_2466
.LBB4_2465:                             ;   in Loop: Header=BB4_2140 Depth=3
	v_and_b32_e32 v23, 3, v12
	v_bfe_u32 v109, v12, 2, 5
	v_lshlrev_b32_e32 v110, 24, v12
	v_ffbh_u32_e32 v107, v23
	v_cmp_eq_u32_e32 vcc_lo, 0, v109
	v_min_u32_e32 v107, 32, v107
	v_subrev_nc_u32_e32 v108, 29, v107
	v_sub_nc_u32_e32 v107, 30, v107
	v_lshlrev_b32_e32 v108, v108, v12
	v_cndmask_b32_e32 v107, v109, v107, vcc_lo
	v_and_b32_e32 v108, 3, v108
	v_lshl_add_u32 v107, v107, 23, 0x37800000
	v_cndmask_b32_e32 v23, v23, v108, vcc_lo
	v_and_b32_e32 v108, 0x80000000, v110
	v_lshlrev_b32_e32 v23, 21, v23
	v_or3_b32 v23, v108, v107, v23
.LBB4_2466:                             ;   in Loop: Header=BB4_2140 Depth=3
	s_or_b32 exec_lo, exec_lo, s19
	s_waitcnt vmcnt(0)
	v_cmp_gt_i16_sdwa s19, v8, v115 src0_sel:BYTE_0 src1_sel:DWORD
	s_mov_b32 s16, 0
	s_and_saveexec_b32 s22, s19
	s_xor_b32 s19, exec_lo, s22
	s_cbranch_execz .LBB4_2844
; %bb.2467:                             ;   in Loop: Header=BB4_2140 Depth=3
	v_cmp_eq_u16_sdwa s23, v8, v116 src0_sel:BYTE_0 src1_sel:DWORD
	s_mov_b32 s16, -1
	s_and_saveexec_b32 s22, s23
; %bb.2468:                             ;   in Loop: Header=BB4_2140 Depth=3
	s_xor_b32 s16, exec_lo, -1
; %bb.2469:                             ;   in Loop: Header=BB4_2140 Depth=3
	s_or_b32 exec_lo, exec_lo, s22
	s_and_b32 s16, s16, exec_lo
	s_or_saveexec_b32 s19, s19
	v_mov_b32_e32 v107, 0x7f800001
	s_xor_b32 exec_lo, exec_lo, s19
	s_cbranch_execnz .LBB4_2845
.LBB4_2470:                             ;   in Loop: Header=BB4_2140 Depth=3
	s_or_b32 exec_lo, exec_lo, s19
	s_and_saveexec_b32 s19, s16
	s_cbranch_execz .LBB4_2472
.LBB4_2471:                             ;   in Loop: Header=BB4_2140 Depth=3
	v_and_b32_e32 v107, 3, v8
	v_bfe_u32 v110, v8, 2, 5
	v_lshlrev_b32_e32 v111, 24, v8
	v_ffbh_u32_e32 v108, v107
	v_cmp_eq_u32_e32 vcc_lo, 0, v110
	v_min_u32_e32 v108, 32, v108
	v_subrev_nc_u32_e32 v109, 29, v108
	v_sub_nc_u32_e32 v108, 30, v108
	v_lshlrev_b32_e32 v109, v109, v8
	v_cndmask_b32_e32 v108, v110, v108, vcc_lo
	v_and_b32_e32 v109, 3, v109
	v_lshl_add_u32 v108, v108, 23, 0x37800000
	v_cndmask_b32_e32 v107, v107, v109, vcc_lo
	v_and_b32_e32 v109, 0x80000000, v111
	v_lshlrev_b32_e32 v107, 21, v107
	v_or3_b32 v107, v109, v108, v107
.LBB4_2472:                             ;   in Loop: Header=BB4_2140 Depth=3
	s_or_b32 exec_lo, exec_lo, s19
	v_mul_f32_e32 v107, v23, v107
	v_and_b32_e32 v23, 0x7f800000, v107
	v_cmp_ne_u32_e32 vcc_lo, 0x7f800000, v23
	v_mov_b32_e32 v23, 0x80
	s_and_saveexec_b32 s19, vcc_lo
	s_cbranch_execz .LBB4_2480
; %bb.2473:                             ;   in Loop: Header=BB4_2140 Depth=3
	v_mov_b32_e32 v23, 0
	s_mov_b32 s22, exec_lo
	v_cmpx_ne_u32_e32 0, v107
	s_cbranch_execz .LBB4_2479
; %bb.2474:                             ;   in Loop: Header=BB4_2140 Depth=3
	v_bfe_u32 v23, v107, 23, 8
	v_and_b32_e32 v108, 0x7fffff, v107
	v_sub_nc_u32_e32 v109, 0x70, v23
	v_cmp_gt_u32_e32 vcc_lo, 0x71, v23
	v_or_b32_e32 v110, 0x800000, v108
	v_cndmask_b32_e32 v109, 0, v109, vcc_lo
	v_cmp_eq_u32_e32 vcc_lo, 0, v23
	v_add_nc_u32_e32 v23, 0xffffff91, v23
	v_cndmask_b32_e64 v109, v109, 0x6f, vcc_lo
	v_cndmask_b32_e32 v108, v110, v108, vcc_lo
	v_cndmask_b32_e64 v23, v23, 0xffffff92, vcc_lo
	v_lshl_add_u32 v110, 0x200000, v109, -1
	v_lshrrev_b32_e32 v111, v109, v108
	v_lshlrev_b32_e64 v121, v109, 0x100000
	v_add_nc_u32_e32 v109, v109, v23
	v_and_b32_e32 v108, v110, v108
	v_bfe_u32 v120, v111, 21, 1
	v_cmp_eq_u32_e64 s16, v108, v121
	v_add_nc_u32_e32 v110, -1, v120
	v_cndmask_b32_e64 v108, 0, v110, s16
	v_lshrrev_b32_e32 v110, 23, v111
	s_mov_b32 s16, exec_lo
	v_add_nc_u32_e32 v108, v108, v111
	v_xor_b32_e32 v110, 1, v110
	v_and_b32_e32 v23, 0x1fffff, v108
	v_add_nc_u32_e32 v108, v23, v111
                                        ; implicit-def: $vgpr23
	v_cmpx_ne_u32_e64 v109, v110
	s_xor_b32 s16, exec_lo, s16
; %bb.2475:                             ;   in Loop: Header=BB4_2140 Depth=3
	v_cmp_lt_u32_e32 vcc_lo, 0xffffff, v108
	v_sub_nc_u32_e32 v23, v109, v110
	v_cndmask_b32_e64 v109, 0, 1, vcc_lo
	v_add_co_ci_u32_e64 v23, null, 0, v23, vcc_lo
	v_lshrrev_b32_e32 v108, v109, v108
; %bb.2476:                             ;   in Loop: Header=BB4_2140 Depth=3
	s_andn2_saveexec_b32 s16, s16
; %bb.2477:                             ;   in Loop: Header=BB4_2140 Depth=3
	v_bfe_u32 v23, v108, 23, 1
; %bb.2478:                             ;   in Loop: Header=BB4_2140 Depth=3
	s_or_b32 exec_lo, exec_lo, s16
	v_lshrrev_b32_e32 v108, 21, v108
	v_min_i32_e32 v109, 31, v23
	v_cmp_gt_i32_e32 vcc_lo, 32, v23
	v_and_b32_sdwa v107, v107, v116 dst_sel:DWORD dst_unused:UNUSED_PAD src0_sel:BYTE_3 src1_sel:DWORD
	v_lshlrev_b32_e32 v109, 2, v109
	v_cndmask_b32_e32 v108, 3, v108, vcc_lo
	v_and_b32_e32 v109, 0xfc, v109
	v_and_b32_e32 v110, 3, v108
	v_or_b32_e32 v23, v23, v108
	v_or3_b32 v107, v109, v107, v110
	v_cmp_ne_u32_e32 vcc_lo, 0, v23
	v_cndmask_b32_e32 v23, 0, v107, vcc_lo
.LBB4_2479:                             ;   in Loop: Header=BB4_2140 Depth=3
	s_or_b32 exec_lo, exec_lo, s22
.LBB4_2480:                             ;   in Loop: Header=BB4_2140 Depth=3
	s_or_b32 exec_lo, exec_lo, s19
	v_cmp_gt_i16_sdwa s19, v12, v115 src0_sel:BYTE_1 src1_sel:DWORD
	s_mov_b32 s16, 0
	s_and_saveexec_b32 s22, s19
	s_xor_b32 s19, exec_lo, s22
	s_cbranch_execz .LBB4_2846
; %bb.2481:                             ;   in Loop: Header=BB4_2140 Depth=3
	v_cmp_eq_u16_sdwa s23, v12, v116 src0_sel:BYTE_1 src1_sel:DWORD
	s_mov_b32 s16, -1
	s_and_saveexec_b32 s22, s23
; %bb.2482:                             ;   in Loop: Header=BB4_2140 Depth=3
	s_xor_b32 s16, exec_lo, -1
; %bb.2483:                             ;   in Loop: Header=BB4_2140 Depth=3
	s_or_b32 exec_lo, exec_lo, s22
	s_and_b32 s16, s16, exec_lo
	s_or_saveexec_b32 s19, s19
	v_mov_b32_e32 v107, 0x7f800001
	s_xor_b32 exec_lo, exec_lo, s19
	s_cbranch_execnz .LBB4_2847
.LBB4_2484:                             ;   in Loop: Header=BB4_2140 Depth=3
	s_or_b32 exec_lo, exec_lo, s19
	s_and_saveexec_b32 s19, s16
	s_cbranch_execz .LBB4_2486
.LBB4_2485:                             ;   in Loop: Header=BB4_2140 Depth=3
	v_and_b32_sdwa v107, v117, v12 dst_sel:DWORD dst_unused:UNUSED_PAD src0_sel:DWORD src1_sel:BYTE_1
	v_and_b32_e32 v108, 3, v107
	v_bfe_u32 v111, v107, 2, 5
	v_ffbh_u32_e32 v109, v108
	v_cmp_eq_u32_e32 vcc_lo, 0, v111
	v_min_u32_e32 v109, 32, v109
	v_subrev_nc_u32_e32 v110, 29, v109
	v_sub_nc_u32_e32 v109, 30, v109
	v_lshlrev_b32_e32 v107, v110, v107
	v_lshlrev_b32_sdwa v110, v118, v12 dst_sel:DWORD dst_unused:UNUSED_PAD src0_sel:DWORD src1_sel:BYTE_1
	v_cndmask_b32_e32 v109, v111, v109, vcc_lo
	v_and_b32_e32 v107, 3, v107
	v_lshl_add_u32 v109, v109, 23, 0x37800000
	v_cndmask_b32_e32 v107, v108, v107, vcc_lo
	v_and_b32_e32 v108, 0x80000000, v110
	v_lshlrev_b32_e32 v107, 21, v107
	v_or3_b32 v107, v108, v109, v107
.LBB4_2486:                             ;   in Loop: Header=BB4_2140 Depth=3
	s_or_b32 exec_lo, exec_lo, s19
	v_cmp_gt_i16_sdwa s19, v8, v115 src0_sel:BYTE_1 src1_sel:DWORD
	s_mov_b32 s16, 0
	s_and_saveexec_b32 s22, s19
	s_xor_b32 s19, exec_lo, s22
	s_cbranch_execz .LBB4_2848
; %bb.2487:                             ;   in Loop: Header=BB4_2140 Depth=3
	v_cmp_eq_u16_sdwa s23, v8, v116 src0_sel:BYTE_1 src1_sel:DWORD
	s_mov_b32 s16, -1
	s_and_saveexec_b32 s22, s23
; %bb.2488:                             ;   in Loop: Header=BB4_2140 Depth=3
	s_xor_b32 s16, exec_lo, -1
; %bb.2489:                             ;   in Loop: Header=BB4_2140 Depth=3
	s_or_b32 exec_lo, exec_lo, s22
	s_and_b32 s16, s16, exec_lo
	s_or_saveexec_b32 s19, s19
	v_mov_b32_e32 v108, 0x7f800001
	s_xor_b32 exec_lo, exec_lo, s19
	s_cbranch_execnz .LBB4_2849
.LBB4_2490:                             ;   in Loop: Header=BB4_2140 Depth=3
	s_or_b32 exec_lo, exec_lo, s19
	s_and_saveexec_b32 s19, s16
	s_cbranch_execz .LBB4_2492
.LBB4_2491:                             ;   in Loop: Header=BB4_2140 Depth=3
	v_and_b32_sdwa v108, v117, v8 dst_sel:DWORD dst_unused:UNUSED_PAD src0_sel:DWORD src1_sel:BYTE_1
	v_and_b32_e32 v109, 3, v108
	v_bfe_u32 v120, v108, 2, 5
	v_ffbh_u32_e32 v110, v109
	v_cmp_eq_u32_e32 vcc_lo, 0, v120
	v_min_u32_e32 v110, 32, v110
	v_subrev_nc_u32_e32 v111, 29, v110
	v_sub_nc_u32_e32 v110, 30, v110
	v_lshlrev_b32_e32 v108, v111, v108
	v_lshlrev_b32_sdwa v111, v118, v8 dst_sel:DWORD dst_unused:UNUSED_PAD src0_sel:DWORD src1_sel:BYTE_1
	v_cndmask_b32_e32 v110, v120, v110, vcc_lo
	v_and_b32_e32 v108, 3, v108
	v_lshl_add_u32 v110, v110, 23, 0x37800000
	v_cndmask_b32_e32 v108, v109, v108, vcc_lo
	v_and_b32_e32 v109, 0x80000000, v111
	v_lshlrev_b32_e32 v108, 21, v108
	v_or3_b32 v108, v109, v110, v108
.LBB4_2492:                             ;   in Loop: Header=BB4_2140 Depth=3
	s_or_b32 exec_lo, exec_lo, s19
	v_mul_f32_e32 v108, v107, v108
	v_and_b32_e32 v107, 0x7f800000, v108
	v_cmp_ne_u32_e32 vcc_lo, 0x7f800000, v107
	v_mov_b32_e32 v107, 0x8000
	s_and_saveexec_b32 s19, vcc_lo
	s_cbranch_execz .LBB4_2500
; %bb.2493:                             ;   in Loop: Header=BB4_2140 Depth=3
	v_mov_b32_e32 v107, 0
	s_mov_b32 s22, exec_lo
	v_cmpx_ne_u32_e32 0, v108
	s_cbranch_execz .LBB4_2499
; %bb.2494:                             ;   in Loop: Header=BB4_2140 Depth=3
	v_bfe_u32 v107, v108, 23, 8
	v_and_b32_e32 v109, 0x7fffff, v108
	v_sub_nc_u32_e32 v110, 0x70, v107
	v_cmp_gt_u32_e32 vcc_lo, 0x71, v107
	v_or_b32_e32 v111, 0x800000, v109
	v_cndmask_b32_e32 v110, 0, v110, vcc_lo
	v_cmp_eq_u32_e32 vcc_lo, 0, v107
	v_add_nc_u32_e32 v107, 0xffffff91, v107
	v_cndmask_b32_e64 v110, v110, 0x6f, vcc_lo
	v_cndmask_b32_e32 v109, v111, v109, vcc_lo
	v_cndmask_b32_e64 v107, v107, 0xffffff92, vcc_lo
	v_lshl_add_u32 v111, 0x200000, v110, -1
	v_lshrrev_b32_e32 v120, v110, v109
	v_lshlrev_b32_e64 v122, v110, 0x100000
	v_add_nc_u32_e32 v110, v110, v107
	v_and_b32_e32 v109, v111, v109
	v_bfe_u32 v121, v120, 21, 1
	v_cmp_eq_u32_e64 s16, v109, v122
	v_add_nc_u32_e32 v111, -1, v121
	v_cndmask_b32_e64 v109, 0, v111, s16
	v_lshrrev_b32_e32 v111, 23, v120
	s_mov_b32 s16, exec_lo
	v_add_nc_u32_e32 v109, v109, v120
	v_xor_b32_e32 v111, 1, v111
	v_and_b32_e32 v107, 0x1fffff, v109
	v_add_nc_u32_e32 v109, v107, v120
                                        ; implicit-def: $vgpr107
	v_cmpx_ne_u32_e64 v110, v111
	s_xor_b32 s16, exec_lo, s16
; %bb.2495:                             ;   in Loop: Header=BB4_2140 Depth=3
	v_cmp_lt_u32_e32 vcc_lo, 0xffffff, v109
	v_sub_nc_u32_e32 v107, v110, v111
	v_cndmask_b32_e64 v110, 0, 1, vcc_lo
	v_add_co_ci_u32_e64 v107, null, 0, v107, vcc_lo
	v_lshrrev_b32_e32 v109, v110, v109
; %bb.2496:                             ;   in Loop: Header=BB4_2140 Depth=3
	s_andn2_saveexec_b32 s16, s16
; %bb.2497:                             ;   in Loop: Header=BB4_2140 Depth=3
	v_bfe_u32 v107, v109, 23, 1
; %bb.2498:                             ;   in Loop: Header=BB4_2140 Depth=3
	s_or_b32 exec_lo, exec_lo, s16
	v_lshrrev_b32_e32 v109, 21, v109
	v_min_i32_e32 v110, 31, v107
	v_cmp_gt_i32_e32 vcc_lo, 32, v107
	v_and_b32_sdwa v108, v108, v116 dst_sel:DWORD dst_unused:UNUSED_PAD src0_sel:BYTE_3 src1_sel:DWORD
	v_lshlrev_b32_e32 v110, 2, v110
	v_cndmask_b32_e32 v109, 3, v109, vcc_lo
	v_and_b32_e32 v110, 0xfc, v110
	v_and_b32_e32 v111, 3, v109
	v_or_b32_e32 v107, v107, v109
	v_or3_b32 v108, v108, v110, v111
	v_cmp_ne_u32_e32 vcc_lo, 0, v107
	v_lshlrev_b32_e32 v108, 8, v108
	v_cndmask_b32_e32 v107, 0, v108, vcc_lo
.LBB4_2499:                             ;   in Loop: Header=BB4_2140 Depth=3
	s_or_b32 exec_lo, exec_lo, s22
.LBB4_2500:                             ;   in Loop: Header=BB4_2140 Depth=3
	s_or_b32 exec_lo, exec_lo, s19
	v_and_b32_sdwa v109, v12, v119 dst_sel:DWORD dst_unused:UNUSED_PAD src0_sel:WORD_1 src1_sel:DWORD
	s_mov_b32 s16, 0
	s_mov_b32 s19, exec_lo
	v_cmpx_lt_i16_e32 0x7f, v109
	s_xor_b32 s19, exec_lo, s19
	s_cbranch_execz .LBB4_2850
; %bb.2501:                             ;   in Loop: Header=BB4_2140 Depth=3
	s_mov_b32 s16, -1
	s_mov_b32 s22, exec_lo
	v_cmpx_eq_u16_e32 0x80, v109
; %bb.2502:                             ;   in Loop: Header=BB4_2140 Depth=3
	s_xor_b32 s16, exec_lo, -1
; %bb.2503:                             ;   in Loop: Header=BB4_2140 Depth=3
	s_or_b32 exec_lo, exec_lo, s22
	s_and_b32 s16, s16, exec_lo
                                        ; implicit-def: $vgpr109
	s_or_saveexec_b32 s19, s19
	v_mov_b32_e32 v108, 0x7f800001
	s_xor_b32 exec_lo, exec_lo, s19
	s_cbranch_execnz .LBB4_2851
.LBB4_2504:                             ;   in Loop: Header=BB4_2140 Depth=3
	s_or_b32 exec_lo, exec_lo, s19
	s_and_saveexec_b32 s19, s16
	s_cbranch_execz .LBB4_2506
.LBB4_2505:                             ;   in Loop: Header=BB4_2140 Depth=3
	v_bfe_u32 v108, v12, 16, 2
	v_bfe_u32 v111, v12, 18, 5
	v_lshlrev_b32_e32 v120, 8, v12
	v_ffbh_u32_e32 v109, v108
	v_cmp_eq_u32_e32 vcc_lo, 0, v111
	v_min_u32_e32 v109, 32, v109
	v_subrev_nc_u32_e32 v110, 29, v109
	v_sub_nc_u32_e32 v109, 30, v109
	v_lshlrev_b32_sdwa v110, v110, v12 dst_sel:DWORD dst_unused:UNUSED_PAD src0_sel:DWORD src1_sel:WORD_1
	v_cndmask_b32_e32 v109, v111, v109, vcc_lo
	v_and_b32_e32 v110, 3, v110
	v_lshl_add_u32 v109, v109, 23, 0x37800000
	v_cndmask_b32_e32 v108, v108, v110, vcc_lo
	v_and_b32_e32 v110, 0x80000000, v120
	v_lshlrev_b32_e32 v108, 21, v108
	v_or3_b32 v108, v110, v109, v108
.LBB4_2506:                             ;   in Loop: Header=BB4_2140 Depth=3
	s_or_b32 exec_lo, exec_lo, s19
	v_and_b32_sdwa v110, v8, v119 dst_sel:DWORD dst_unused:UNUSED_PAD src0_sel:WORD_1 src1_sel:DWORD
	s_mov_b32 s16, 0
	s_mov_b32 s19, exec_lo
	v_cmpx_lt_i16_e32 0x7f, v110
	s_xor_b32 s19, exec_lo, s19
	s_cbranch_execz .LBB4_2852
; %bb.2507:                             ;   in Loop: Header=BB4_2140 Depth=3
	s_mov_b32 s16, -1
	s_mov_b32 s22, exec_lo
	v_cmpx_eq_u16_e32 0x80, v110
; %bb.2508:                             ;   in Loop: Header=BB4_2140 Depth=3
	s_xor_b32 s16, exec_lo, -1
; %bb.2509:                             ;   in Loop: Header=BB4_2140 Depth=3
	s_or_b32 exec_lo, exec_lo, s22
	s_and_b32 s16, s16, exec_lo
                                        ; implicit-def: $vgpr110
	s_or_saveexec_b32 s19, s19
	v_mov_b32_e32 v109, 0x7f800001
	s_xor_b32 exec_lo, exec_lo, s19
	s_cbranch_execnz .LBB4_2853
.LBB4_2510:                             ;   in Loop: Header=BB4_2140 Depth=3
	s_or_b32 exec_lo, exec_lo, s19
	s_and_saveexec_b32 s19, s16
	s_cbranch_execz .LBB4_2512
.LBB4_2511:                             ;   in Loop: Header=BB4_2140 Depth=3
	v_bfe_u32 v109, v8, 16, 2
	v_bfe_u32 v120, v8, 18, 5
	v_lshlrev_b32_e32 v121, 8, v8
	v_ffbh_u32_e32 v110, v109
	v_cmp_eq_u32_e32 vcc_lo, 0, v120
	v_min_u32_e32 v110, 32, v110
	v_subrev_nc_u32_e32 v111, 29, v110
	v_sub_nc_u32_e32 v110, 30, v110
	v_lshlrev_b32_sdwa v111, v111, v8 dst_sel:DWORD dst_unused:UNUSED_PAD src0_sel:DWORD src1_sel:WORD_1
	v_cndmask_b32_e32 v110, v120, v110, vcc_lo
	v_and_b32_e32 v111, 3, v111
	v_lshl_add_u32 v110, v110, 23, 0x37800000
	v_cndmask_b32_e32 v109, v109, v111, vcc_lo
	v_and_b32_e32 v111, 0x80000000, v121
	v_lshlrev_b32_e32 v109, 21, v109
	v_or3_b32 v109, v111, v110, v109
.LBB4_2512:                             ;   in Loop: Header=BB4_2140 Depth=3
	s_or_b32 exec_lo, exec_lo, s19
	v_mul_f32_e32 v109, v108, v109
	v_and_b32_e32 v108, 0x7f800000, v109
	v_cmp_ne_u32_e32 vcc_lo, 0x7f800000, v108
	v_mov_b32_e32 v108, 0x80
	s_and_saveexec_b32 s19, vcc_lo
	s_cbranch_execz .LBB4_2520
; %bb.2513:                             ;   in Loop: Header=BB4_2140 Depth=3
	v_mov_b32_e32 v108, 0
	s_mov_b32 s22, exec_lo
	v_cmpx_ne_u32_e32 0, v109
	s_cbranch_execz .LBB4_2519
; %bb.2514:                             ;   in Loop: Header=BB4_2140 Depth=3
	v_bfe_u32 v108, v109, 23, 8
	v_and_b32_e32 v110, 0x7fffff, v109
	v_sub_nc_u32_e32 v111, 0x70, v108
	v_cmp_gt_u32_e32 vcc_lo, 0x71, v108
	v_or_b32_e32 v120, 0x800000, v110
	v_cndmask_b32_e32 v111, 0, v111, vcc_lo
	v_cmp_eq_u32_e32 vcc_lo, 0, v108
	v_add_nc_u32_e32 v108, 0xffffff91, v108
	v_cndmask_b32_e64 v111, v111, 0x6f, vcc_lo
	v_cndmask_b32_e32 v110, v120, v110, vcc_lo
	v_cndmask_b32_e64 v108, v108, 0xffffff92, vcc_lo
	v_lshl_add_u32 v120, 0x200000, v111, -1
	v_lshrrev_b32_e32 v121, v111, v110
	v_lshlrev_b32_e64 v123, v111, 0x100000
	v_add_nc_u32_e32 v111, v111, v108
	v_and_b32_e32 v110, v120, v110
	v_bfe_u32 v122, v121, 21, 1
	v_cmp_eq_u32_e64 s16, v110, v123
	v_add_nc_u32_e32 v120, -1, v122
	v_cndmask_b32_e64 v110, 0, v120, s16
	v_lshrrev_b32_e32 v120, 23, v121
	s_mov_b32 s16, exec_lo
	v_add_nc_u32_e32 v110, v110, v121
	v_xor_b32_e32 v120, 1, v120
	v_and_b32_e32 v108, 0x1fffff, v110
	v_add_nc_u32_e32 v110, v108, v121
                                        ; implicit-def: $vgpr108
	v_cmpx_ne_u32_e64 v111, v120
	s_xor_b32 s16, exec_lo, s16
; %bb.2515:                             ;   in Loop: Header=BB4_2140 Depth=3
	v_cmp_lt_u32_e32 vcc_lo, 0xffffff, v110
	v_sub_nc_u32_e32 v108, v111, v120
	v_cndmask_b32_e64 v111, 0, 1, vcc_lo
	v_add_co_ci_u32_e64 v108, null, 0, v108, vcc_lo
	v_lshrrev_b32_e32 v110, v111, v110
; %bb.2516:                             ;   in Loop: Header=BB4_2140 Depth=3
	s_andn2_saveexec_b32 s16, s16
; %bb.2517:                             ;   in Loop: Header=BB4_2140 Depth=3
	v_bfe_u32 v108, v110, 23, 1
; %bb.2518:                             ;   in Loop: Header=BB4_2140 Depth=3
	s_or_b32 exec_lo, exec_lo, s16
	v_lshrrev_b32_e32 v110, 21, v110
	v_min_i32_e32 v111, 31, v108
	v_cmp_gt_i32_e32 vcc_lo, 32, v108
	v_and_b32_sdwa v109, v109, v116 dst_sel:DWORD dst_unused:UNUSED_PAD src0_sel:BYTE_3 src1_sel:DWORD
	v_lshlrev_b32_e32 v111, 2, v111
	v_cndmask_b32_e32 v110, 3, v110, vcc_lo
	v_and_b32_e32 v111, 0xfc, v111
	v_and_b32_e32 v120, 3, v110
	v_or_b32_e32 v108, v108, v110
	v_or3_b32 v109, v111, v109, v120
	v_cmp_ne_u32_e32 vcc_lo, 0, v108
	v_cndmask_b32_e32 v108, 0, v109, vcc_lo
.LBB4_2519:                             ;   in Loop: Header=BB4_2140 Depth=3
	s_or_b32 exec_lo, exec_lo, s22
.LBB4_2520:                             ;   in Loop: Header=BB4_2140 Depth=3
	s_or_b32 exec_lo, exec_lo, s19
	v_cmp_gt_i16_sdwa s19, v12, v115 src0_sel:BYTE_3 src1_sel:DWORD
	s_mov_b32 s16, 0
	s_and_saveexec_b32 s22, s19
	s_xor_b32 s19, exec_lo, s22
	s_cbranch_execz .LBB4_2854
; %bb.2521:                             ;   in Loop: Header=BB4_2140 Depth=3
	v_cmp_eq_u16_sdwa s23, v12, v116 src0_sel:BYTE_3 src1_sel:DWORD
	s_mov_b32 s16, -1
	s_and_saveexec_b32 s22, s23
; %bb.2522:                             ;   in Loop: Header=BB4_2140 Depth=3
	s_xor_b32 s16, exec_lo, -1
; %bb.2523:                             ;   in Loop: Header=BB4_2140 Depth=3
	s_or_b32 exec_lo, exec_lo, s22
	s_and_b32 s16, s16, exec_lo
	s_or_saveexec_b32 s19, s19
	v_mov_b32_e32 v109, 0x7f800001
	s_xor_b32 exec_lo, exec_lo, s19
	s_cbranch_execnz .LBB4_2855
.LBB4_2524:                             ;   in Loop: Header=BB4_2140 Depth=3
	s_or_b32 exec_lo, exec_lo, s19
	s_and_saveexec_b32 s19, s16
	s_cbranch_execz .LBB4_2526
.LBB4_2525:                             ;   in Loop: Header=BB4_2140 Depth=3
	v_bfe_u32 v109, v12, 24, 2
	v_bfe_u32 v120, v12, 26, 5
	v_ffbh_u32_e32 v110, v109
	v_cmp_eq_u32_e32 vcc_lo, 0, v120
	v_min_u32_e32 v110, 32, v110
	v_subrev_nc_u32_e32 v111, 29, v110
	v_sub_nc_u32_e32 v110, 30, v110
	v_lshlrev_b32_sdwa v111, v111, v12 dst_sel:DWORD dst_unused:UNUSED_PAD src0_sel:DWORD src1_sel:BYTE_3
	v_cndmask_b32_e32 v110, v120, v110, vcc_lo
	v_and_b32_e32 v12, 0x80000000, v12
	v_and_b32_e32 v111, 3, v111
	v_lshl_add_u32 v110, v110, 23, 0x37800000
	v_cndmask_b32_e32 v109, v109, v111, vcc_lo
	v_lshlrev_b32_e32 v109, 21, v109
	v_or3_b32 v109, v12, v110, v109
.LBB4_2526:                             ;   in Loop: Header=BB4_2140 Depth=3
	s_or_b32 exec_lo, exec_lo, s19
	v_cmp_gt_i16_sdwa s19, v8, v115 src0_sel:BYTE_3 src1_sel:DWORD
	s_mov_b32 s16, 0
	s_and_saveexec_b32 s22, s19
	s_xor_b32 s19, exec_lo, s22
	s_cbranch_execz .LBB4_2856
; %bb.2527:                             ;   in Loop: Header=BB4_2140 Depth=3
	v_cmp_eq_u16_sdwa s23, v8, v116 src0_sel:BYTE_3 src1_sel:DWORD
	s_mov_b32 s16, -1
	s_and_saveexec_b32 s22, s23
; %bb.2528:                             ;   in Loop: Header=BB4_2140 Depth=3
	s_xor_b32 s16, exec_lo, -1
; %bb.2529:                             ;   in Loop: Header=BB4_2140 Depth=3
	s_or_b32 exec_lo, exec_lo, s22
	s_and_b32 s16, s16, exec_lo
	s_or_saveexec_b32 s19, s19
	v_mov_b32_e32 v12, 0x7f800001
	s_xor_b32 exec_lo, exec_lo, s19
	s_cbranch_execnz .LBB4_2857
.LBB4_2530:                             ;   in Loop: Header=BB4_2140 Depth=3
	s_or_b32 exec_lo, exec_lo, s19
	s_and_saveexec_b32 s19, s16
	s_cbranch_execz .LBB4_2532
.LBB4_2531:                             ;   in Loop: Header=BB4_2140 Depth=3
	v_bfe_u32 v12, v8, 24, 2
	v_bfe_u32 v120, v8, 26, 5
	v_ffbh_u32_e32 v110, v12
	v_cmp_eq_u32_e32 vcc_lo, 0, v120
	v_min_u32_e32 v110, 32, v110
	v_subrev_nc_u32_e32 v111, 29, v110
	v_sub_nc_u32_e32 v110, 30, v110
	v_lshlrev_b32_sdwa v111, v111, v8 dst_sel:DWORD dst_unused:UNUSED_PAD src0_sel:DWORD src1_sel:BYTE_3
	v_cndmask_b32_e32 v110, v120, v110, vcc_lo
	v_and_b32_e32 v8, 0x80000000, v8
	v_and_b32_e32 v111, 3, v111
	v_lshl_add_u32 v110, v110, 23, 0x37800000
	v_cndmask_b32_e32 v12, v12, v111, vcc_lo
	v_lshlrev_b32_e32 v12, 21, v12
	v_or3_b32 v12, v8, v110, v12
.LBB4_2532:                             ;   in Loop: Header=BB4_2140 Depth=3
	s_or_b32 exec_lo, exec_lo, s19
	v_mul_f32_e32 v12, v109, v12
	v_and_b32_e32 v8, 0x7f800000, v12
	v_cmp_ne_u32_e32 vcc_lo, 0x7f800000, v8
	v_mov_b32_e32 v8, 0x8000
	s_and_saveexec_b32 s19, vcc_lo
	s_cbranch_execz .LBB4_2540
; %bb.2533:                             ;   in Loop: Header=BB4_2140 Depth=3
	v_mov_b32_e32 v8, 0
	s_mov_b32 s22, exec_lo
	v_cmpx_ne_u32_e32 0, v12
	s_cbranch_execz .LBB4_2539
; %bb.2534:                             ;   in Loop: Header=BB4_2140 Depth=3
	v_bfe_u32 v8, v12, 23, 8
	v_and_b32_e32 v109, 0x7fffff, v12
	v_sub_nc_u32_e32 v110, 0x70, v8
	v_cmp_gt_u32_e32 vcc_lo, 0x71, v8
	v_or_b32_e32 v111, 0x800000, v109
	v_cndmask_b32_e32 v110, 0, v110, vcc_lo
	v_cmp_eq_u32_e32 vcc_lo, 0, v8
	v_add_nc_u32_e32 v8, 0xffffff91, v8
	v_cndmask_b32_e64 v110, v110, 0x6f, vcc_lo
	v_cndmask_b32_e32 v109, v111, v109, vcc_lo
	v_cndmask_b32_e64 v8, v8, 0xffffff92, vcc_lo
	v_lshl_add_u32 v111, 0x200000, v110, -1
	v_lshrrev_b32_e32 v120, v110, v109
	v_lshlrev_b32_e64 v122, v110, 0x100000
	v_add_nc_u32_e32 v110, v110, v8
	v_and_b32_e32 v109, v111, v109
	v_bfe_u32 v121, v120, 21, 1
	v_cmp_eq_u32_e64 s16, v109, v122
	v_add_nc_u32_e32 v111, -1, v121
	v_cndmask_b32_e64 v109, 0, v111, s16
	v_lshrrev_b32_e32 v111, 23, v120
	s_mov_b32 s16, exec_lo
	v_add_nc_u32_e32 v109, v109, v120
	v_xor_b32_e32 v111, 1, v111
	v_and_b32_e32 v8, 0x1fffff, v109
	v_add_nc_u32_e32 v109, v8, v120
                                        ; implicit-def: $vgpr8
	v_cmpx_ne_u32_e64 v110, v111
	s_xor_b32 s16, exec_lo, s16
; %bb.2535:                             ;   in Loop: Header=BB4_2140 Depth=3
	v_cmp_lt_u32_e32 vcc_lo, 0xffffff, v109
	v_sub_nc_u32_e32 v8, v110, v111
	v_cndmask_b32_e64 v110, 0, 1, vcc_lo
	v_add_co_ci_u32_e64 v8, null, 0, v8, vcc_lo
	v_lshrrev_b32_e32 v109, v110, v109
; %bb.2536:                             ;   in Loop: Header=BB4_2140 Depth=3
	s_andn2_saveexec_b32 s16, s16
; %bb.2537:                             ;   in Loop: Header=BB4_2140 Depth=3
	v_bfe_u32 v8, v109, 23, 1
; %bb.2538:                             ;   in Loop: Header=BB4_2140 Depth=3
	s_or_b32 exec_lo, exec_lo, s16
	v_lshrrev_b32_e32 v109, 21, v109
	v_min_i32_e32 v110, 31, v8
	v_cmp_gt_i32_e32 vcc_lo, 32, v8
	v_and_b32_sdwa v12, v12, v116 dst_sel:DWORD dst_unused:UNUSED_PAD src0_sel:BYTE_3 src1_sel:DWORD
	v_lshlrev_b32_e32 v110, 2, v110
	v_cndmask_b32_e32 v109, 3, v109, vcc_lo
	v_and_b32_e32 v110, 0xfc, v110
	v_and_b32_e32 v111, 3, v109
	v_or_b32_e32 v8, v8, v109
	v_or3_b32 v12, v12, v110, v111
	v_cmp_ne_u32_e32 vcc_lo, 0, v8
	v_lshlrev_b32_e32 v12, 8, v12
	v_cndmask_b32_e32 v8, 0, v12, vcc_lo
.LBB4_2539:                             ;   in Loop: Header=BB4_2140 Depth=3
	s_or_b32 exec_lo, exec_lo, s22
.LBB4_2540:                             ;   in Loop: Header=BB4_2140 Depth=3
	s_or_b32 exec_lo, exec_lo, s19
	v_cmp_gt_i16_sdwa s19, v13, v115 src0_sel:BYTE_0 src1_sel:DWORD
	s_mov_b32 s16, 0
	s_and_saveexec_b32 s22, s19
	s_xor_b32 s19, exec_lo, s22
	s_cbranch_execz .LBB4_2858
; %bb.2541:                             ;   in Loop: Header=BB4_2140 Depth=3
	v_cmp_eq_u16_sdwa s23, v13, v116 src0_sel:BYTE_0 src1_sel:DWORD
	s_mov_b32 s16, -1
	s_and_saveexec_b32 s22, s23
; %bb.2542:                             ;   in Loop: Header=BB4_2140 Depth=3
	s_xor_b32 s16, exec_lo, -1
; %bb.2543:                             ;   in Loop: Header=BB4_2140 Depth=3
	s_or_b32 exec_lo, exec_lo, s22
	s_and_b32 s16, s16, exec_lo
	s_or_saveexec_b32 s19, s19
	v_mov_b32_e32 v12, 0x7f800001
	s_xor_b32 exec_lo, exec_lo, s19
	s_cbranch_execnz .LBB4_2859
.LBB4_2544:                             ;   in Loop: Header=BB4_2140 Depth=3
	s_or_b32 exec_lo, exec_lo, s19
	s_and_saveexec_b32 s19, s16
	s_cbranch_execz .LBB4_2546
.LBB4_2545:                             ;   in Loop: Header=BB4_2140 Depth=3
	v_and_b32_e32 v12, 3, v13
	v_bfe_u32 v111, v13, 2, 5
	v_lshlrev_b32_e32 v120, 24, v13
	v_ffbh_u32_e32 v109, v12
	v_cmp_eq_u32_e32 vcc_lo, 0, v111
	v_min_u32_e32 v109, 32, v109
	v_subrev_nc_u32_e32 v110, 29, v109
	v_sub_nc_u32_e32 v109, 30, v109
	v_lshlrev_b32_e32 v110, v110, v13
	v_cndmask_b32_e32 v109, v111, v109, vcc_lo
	v_and_b32_e32 v110, 3, v110
	v_lshl_add_u32 v109, v109, 23, 0x37800000
	v_cndmask_b32_e32 v12, v12, v110, vcc_lo
	v_and_b32_e32 v110, 0x80000000, v120
	v_lshlrev_b32_e32 v12, 21, v12
	v_or3_b32 v12, v110, v109, v12
.LBB4_2546:                             ;   in Loop: Header=BB4_2140 Depth=3
	s_or_b32 exec_lo, exec_lo, s19
	v_cmp_gt_i16_sdwa s19, v9, v115 src0_sel:BYTE_0 src1_sel:DWORD
	s_mov_b32 s16, 0
	s_and_saveexec_b32 s22, s19
	s_xor_b32 s19, exec_lo, s22
	s_cbranch_execz .LBB4_2860
; %bb.2547:                             ;   in Loop: Header=BB4_2140 Depth=3
	v_cmp_eq_u16_sdwa s23, v9, v116 src0_sel:BYTE_0 src1_sel:DWORD
	s_mov_b32 s16, -1
	s_and_saveexec_b32 s22, s23
; %bb.2548:                             ;   in Loop: Header=BB4_2140 Depth=3
	s_xor_b32 s16, exec_lo, -1
; %bb.2549:                             ;   in Loop: Header=BB4_2140 Depth=3
	s_or_b32 exec_lo, exec_lo, s22
	s_and_b32 s16, s16, exec_lo
	s_or_saveexec_b32 s19, s19
	v_mov_b32_e32 v109, 0x7f800001
	s_xor_b32 exec_lo, exec_lo, s19
	s_cbranch_execnz .LBB4_2861
.LBB4_2550:                             ;   in Loop: Header=BB4_2140 Depth=3
	s_or_b32 exec_lo, exec_lo, s19
	s_and_saveexec_b32 s19, s16
	s_cbranch_execz .LBB4_2552
.LBB4_2551:                             ;   in Loop: Header=BB4_2140 Depth=3
	v_and_b32_e32 v109, 3, v9
	v_bfe_u32 v120, v9, 2, 5
	v_lshlrev_b32_e32 v121, 24, v9
	v_ffbh_u32_e32 v110, v109
	v_cmp_eq_u32_e32 vcc_lo, 0, v120
	v_min_u32_e32 v110, 32, v110
	v_subrev_nc_u32_e32 v111, 29, v110
	v_sub_nc_u32_e32 v110, 30, v110
	v_lshlrev_b32_e32 v111, v111, v9
	v_cndmask_b32_e32 v110, v120, v110, vcc_lo
	v_and_b32_e32 v111, 3, v111
	v_lshl_add_u32 v110, v110, 23, 0x37800000
	v_cndmask_b32_e32 v109, v109, v111, vcc_lo
	v_and_b32_e32 v111, 0x80000000, v121
	v_lshlrev_b32_e32 v109, 21, v109
	v_or3_b32 v109, v111, v110, v109
.LBB4_2552:                             ;   in Loop: Header=BB4_2140 Depth=3
	s_or_b32 exec_lo, exec_lo, s19
	v_mul_f32_e32 v109, v12, v109
	v_and_b32_e32 v12, 0x7f800000, v109
	v_cmp_ne_u32_e32 vcc_lo, 0x7f800000, v12
	v_mov_b32_e32 v12, 0x80
	s_and_saveexec_b32 s19, vcc_lo
	s_cbranch_execz .LBB4_2560
; %bb.2553:                             ;   in Loop: Header=BB4_2140 Depth=3
	v_mov_b32_e32 v12, 0
	s_mov_b32 s22, exec_lo
	v_cmpx_ne_u32_e32 0, v109
	s_cbranch_execz .LBB4_2559
; %bb.2554:                             ;   in Loop: Header=BB4_2140 Depth=3
	v_bfe_u32 v12, v109, 23, 8
	v_and_b32_e32 v110, 0x7fffff, v109
	v_sub_nc_u32_e32 v111, 0x70, v12
	v_cmp_gt_u32_e32 vcc_lo, 0x71, v12
	v_or_b32_e32 v120, 0x800000, v110
	v_cndmask_b32_e32 v111, 0, v111, vcc_lo
	v_cmp_eq_u32_e32 vcc_lo, 0, v12
	v_add_nc_u32_e32 v12, 0xffffff91, v12
	v_cndmask_b32_e64 v111, v111, 0x6f, vcc_lo
	v_cndmask_b32_e32 v110, v120, v110, vcc_lo
	v_cndmask_b32_e64 v12, v12, 0xffffff92, vcc_lo
	v_lshl_add_u32 v120, 0x200000, v111, -1
	v_lshrrev_b32_e32 v121, v111, v110
	v_lshlrev_b32_e64 v123, v111, 0x100000
	v_add_nc_u32_e32 v111, v111, v12
	v_and_b32_e32 v110, v120, v110
	v_bfe_u32 v122, v121, 21, 1
	v_cmp_eq_u32_e64 s16, v110, v123
	v_add_nc_u32_e32 v120, -1, v122
	v_cndmask_b32_e64 v110, 0, v120, s16
	v_lshrrev_b32_e32 v120, 23, v121
	s_mov_b32 s16, exec_lo
	v_add_nc_u32_e32 v110, v110, v121
	v_xor_b32_e32 v120, 1, v120
	v_and_b32_e32 v12, 0x1fffff, v110
	v_add_nc_u32_e32 v110, v12, v121
                                        ; implicit-def: $vgpr12
	v_cmpx_ne_u32_e64 v111, v120
	s_xor_b32 s16, exec_lo, s16
; %bb.2555:                             ;   in Loop: Header=BB4_2140 Depth=3
	v_cmp_lt_u32_e32 vcc_lo, 0xffffff, v110
	v_sub_nc_u32_e32 v12, v111, v120
	v_cndmask_b32_e64 v111, 0, 1, vcc_lo
	v_add_co_ci_u32_e64 v12, null, 0, v12, vcc_lo
	v_lshrrev_b32_e32 v110, v111, v110
; %bb.2556:                             ;   in Loop: Header=BB4_2140 Depth=3
	s_andn2_saveexec_b32 s16, s16
; %bb.2557:                             ;   in Loop: Header=BB4_2140 Depth=3
	v_bfe_u32 v12, v110, 23, 1
; %bb.2558:                             ;   in Loop: Header=BB4_2140 Depth=3
	s_or_b32 exec_lo, exec_lo, s16
	v_lshrrev_b32_e32 v110, 21, v110
	v_min_i32_e32 v111, 31, v12
	v_cmp_gt_i32_e32 vcc_lo, 32, v12
	v_and_b32_sdwa v109, v109, v116 dst_sel:DWORD dst_unused:UNUSED_PAD src0_sel:BYTE_3 src1_sel:DWORD
	v_lshlrev_b32_e32 v111, 2, v111
	v_cndmask_b32_e32 v110, 3, v110, vcc_lo
	v_and_b32_e32 v111, 0xfc, v111
	v_and_b32_e32 v120, 3, v110
	v_or_b32_e32 v12, v12, v110
	v_or3_b32 v109, v111, v109, v120
	v_cmp_ne_u32_e32 vcc_lo, 0, v12
	v_cndmask_b32_e32 v12, 0, v109, vcc_lo
.LBB4_2559:                             ;   in Loop: Header=BB4_2140 Depth=3
	s_or_b32 exec_lo, exec_lo, s22
.LBB4_2560:                             ;   in Loop: Header=BB4_2140 Depth=3
	s_or_b32 exec_lo, exec_lo, s19
	v_cmp_gt_i16_sdwa s19, v13, v115 src0_sel:BYTE_1 src1_sel:DWORD
	s_mov_b32 s16, 0
	s_and_saveexec_b32 s22, s19
	s_xor_b32 s19, exec_lo, s22
	s_cbranch_execz .LBB4_2862
; %bb.2561:                             ;   in Loop: Header=BB4_2140 Depth=3
	v_cmp_eq_u16_sdwa s23, v13, v116 src0_sel:BYTE_1 src1_sel:DWORD
	s_mov_b32 s16, -1
	s_and_saveexec_b32 s22, s23
; %bb.2562:                             ;   in Loop: Header=BB4_2140 Depth=3
	s_xor_b32 s16, exec_lo, -1
; %bb.2563:                             ;   in Loop: Header=BB4_2140 Depth=3
	s_or_b32 exec_lo, exec_lo, s22
	s_and_b32 s16, s16, exec_lo
	s_or_saveexec_b32 s19, s19
	v_mov_b32_e32 v109, 0x7f800001
	s_xor_b32 exec_lo, exec_lo, s19
	s_cbranch_execnz .LBB4_2863
.LBB4_2564:                             ;   in Loop: Header=BB4_2140 Depth=3
	s_or_b32 exec_lo, exec_lo, s19
	s_and_saveexec_b32 s19, s16
	s_cbranch_execz .LBB4_2566
.LBB4_2565:                             ;   in Loop: Header=BB4_2140 Depth=3
	v_and_b32_sdwa v109, v117, v13 dst_sel:DWORD dst_unused:UNUSED_PAD src0_sel:DWORD src1_sel:BYTE_1
	v_and_b32_e32 v110, 3, v109
	v_bfe_u32 v121, v109, 2, 5
	v_ffbh_u32_e32 v111, v110
	v_cmp_eq_u32_e32 vcc_lo, 0, v121
	v_min_u32_e32 v111, 32, v111
	v_subrev_nc_u32_e32 v120, 29, v111
	v_sub_nc_u32_e32 v111, 30, v111
	v_lshlrev_b32_e32 v109, v120, v109
	v_lshlrev_b32_sdwa v120, v118, v13 dst_sel:DWORD dst_unused:UNUSED_PAD src0_sel:DWORD src1_sel:BYTE_1
	v_cndmask_b32_e32 v111, v121, v111, vcc_lo
	v_and_b32_e32 v109, 3, v109
	v_lshl_add_u32 v111, v111, 23, 0x37800000
	v_cndmask_b32_e32 v109, v110, v109, vcc_lo
	v_and_b32_e32 v110, 0x80000000, v120
	v_lshlrev_b32_e32 v109, 21, v109
	v_or3_b32 v109, v110, v111, v109
.LBB4_2566:                             ;   in Loop: Header=BB4_2140 Depth=3
	s_or_b32 exec_lo, exec_lo, s19
	v_cmp_gt_i16_sdwa s19, v9, v115 src0_sel:BYTE_1 src1_sel:DWORD
	s_mov_b32 s16, 0
	s_and_saveexec_b32 s22, s19
	s_xor_b32 s19, exec_lo, s22
	s_cbranch_execz .LBB4_2864
; %bb.2567:                             ;   in Loop: Header=BB4_2140 Depth=3
	v_cmp_eq_u16_sdwa s23, v9, v116 src0_sel:BYTE_1 src1_sel:DWORD
	s_mov_b32 s16, -1
	s_and_saveexec_b32 s22, s23
; %bb.2568:                             ;   in Loop: Header=BB4_2140 Depth=3
	s_xor_b32 s16, exec_lo, -1
; %bb.2569:                             ;   in Loop: Header=BB4_2140 Depth=3
	s_or_b32 exec_lo, exec_lo, s22
	s_and_b32 s16, s16, exec_lo
	s_or_saveexec_b32 s19, s19
	v_mov_b32_e32 v110, 0x7f800001
	s_xor_b32 exec_lo, exec_lo, s19
	s_cbranch_execnz .LBB4_2865
.LBB4_2570:                             ;   in Loop: Header=BB4_2140 Depth=3
	s_or_b32 exec_lo, exec_lo, s19
	s_and_saveexec_b32 s19, s16
	s_cbranch_execz .LBB4_2572
.LBB4_2571:                             ;   in Loop: Header=BB4_2140 Depth=3
	v_and_b32_sdwa v110, v117, v9 dst_sel:DWORD dst_unused:UNUSED_PAD src0_sel:DWORD src1_sel:BYTE_1
	v_and_b32_e32 v111, 3, v110
	v_bfe_u32 v122, v110, 2, 5
	v_ffbh_u32_e32 v120, v111
	v_cmp_eq_u32_e32 vcc_lo, 0, v122
	v_min_u32_e32 v120, 32, v120
	v_subrev_nc_u32_e32 v121, 29, v120
	v_sub_nc_u32_e32 v120, 30, v120
	v_lshlrev_b32_e32 v110, v121, v110
	v_lshlrev_b32_sdwa v121, v118, v9 dst_sel:DWORD dst_unused:UNUSED_PAD src0_sel:DWORD src1_sel:BYTE_1
	v_cndmask_b32_e32 v120, v122, v120, vcc_lo
	v_and_b32_e32 v110, 3, v110
	v_lshl_add_u32 v120, v120, 23, 0x37800000
	v_cndmask_b32_e32 v110, v111, v110, vcc_lo
	v_and_b32_e32 v111, 0x80000000, v121
	v_lshlrev_b32_e32 v110, 21, v110
	v_or3_b32 v110, v111, v120, v110
.LBB4_2572:                             ;   in Loop: Header=BB4_2140 Depth=3
	s_or_b32 exec_lo, exec_lo, s19
	v_mul_f32_e32 v110, v109, v110
	v_and_b32_e32 v109, 0x7f800000, v110
	v_cmp_ne_u32_e32 vcc_lo, 0x7f800000, v109
	v_mov_b32_e32 v109, 0x8000
	s_and_saveexec_b32 s19, vcc_lo
	s_cbranch_execz .LBB4_2580
; %bb.2573:                             ;   in Loop: Header=BB4_2140 Depth=3
	v_mov_b32_e32 v109, 0
	s_mov_b32 s22, exec_lo
	v_cmpx_ne_u32_e32 0, v110
	s_cbranch_execz .LBB4_2579
; %bb.2574:                             ;   in Loop: Header=BB4_2140 Depth=3
	v_bfe_u32 v109, v110, 23, 8
	v_and_b32_e32 v111, 0x7fffff, v110
	v_sub_nc_u32_e32 v120, 0x70, v109
	v_cmp_gt_u32_e32 vcc_lo, 0x71, v109
	v_or_b32_e32 v121, 0x800000, v111
	v_cndmask_b32_e32 v120, 0, v120, vcc_lo
	v_cmp_eq_u32_e32 vcc_lo, 0, v109
	v_add_nc_u32_e32 v109, 0xffffff91, v109
	v_cndmask_b32_e64 v120, v120, 0x6f, vcc_lo
	v_cndmask_b32_e32 v111, v121, v111, vcc_lo
	v_cndmask_b32_e64 v109, v109, 0xffffff92, vcc_lo
	v_lshl_add_u32 v121, 0x200000, v120, -1
	v_lshrrev_b32_e32 v122, v120, v111
	v_lshlrev_b32_e64 v124, v120, 0x100000
	v_add_nc_u32_e32 v120, v120, v109
	v_and_b32_e32 v111, v121, v111
	v_bfe_u32 v123, v122, 21, 1
	v_cmp_eq_u32_e64 s16, v111, v124
	v_add_nc_u32_e32 v121, -1, v123
	v_cndmask_b32_e64 v111, 0, v121, s16
	v_lshrrev_b32_e32 v121, 23, v122
	s_mov_b32 s16, exec_lo
	v_add_nc_u32_e32 v111, v111, v122
	v_xor_b32_e32 v121, 1, v121
	v_and_b32_e32 v109, 0x1fffff, v111
	v_add_nc_u32_e32 v111, v109, v122
                                        ; implicit-def: $vgpr109
	v_cmpx_ne_u32_e64 v120, v121
	s_xor_b32 s16, exec_lo, s16
; %bb.2575:                             ;   in Loop: Header=BB4_2140 Depth=3
	v_cmp_lt_u32_e32 vcc_lo, 0xffffff, v111
	v_sub_nc_u32_e32 v109, v120, v121
	v_cndmask_b32_e64 v120, 0, 1, vcc_lo
	v_add_co_ci_u32_e64 v109, null, 0, v109, vcc_lo
	v_lshrrev_b32_e32 v111, v120, v111
; %bb.2576:                             ;   in Loop: Header=BB4_2140 Depth=3
	s_andn2_saveexec_b32 s16, s16
; %bb.2577:                             ;   in Loop: Header=BB4_2140 Depth=3
	v_bfe_u32 v109, v111, 23, 1
; %bb.2578:                             ;   in Loop: Header=BB4_2140 Depth=3
	s_or_b32 exec_lo, exec_lo, s16
	v_lshrrev_b32_e32 v111, 21, v111
	v_min_i32_e32 v120, 31, v109
	v_cmp_gt_i32_e32 vcc_lo, 32, v109
	v_and_b32_sdwa v110, v110, v116 dst_sel:DWORD dst_unused:UNUSED_PAD src0_sel:BYTE_3 src1_sel:DWORD
	v_lshlrev_b32_e32 v120, 2, v120
	v_cndmask_b32_e32 v111, 3, v111, vcc_lo
	v_and_b32_e32 v120, 0xfc, v120
	v_and_b32_e32 v121, 3, v111
	v_or_b32_e32 v109, v109, v111
	v_or3_b32 v110, v110, v120, v121
	v_cmp_ne_u32_e32 vcc_lo, 0, v109
	v_lshlrev_b32_e32 v110, 8, v110
	v_cndmask_b32_e32 v109, 0, v110, vcc_lo
.LBB4_2579:                             ;   in Loop: Header=BB4_2140 Depth=3
	s_or_b32 exec_lo, exec_lo, s22
.LBB4_2580:                             ;   in Loop: Header=BB4_2140 Depth=3
	s_or_b32 exec_lo, exec_lo, s19
	v_and_b32_sdwa v111, v13, v119 dst_sel:DWORD dst_unused:UNUSED_PAD src0_sel:WORD_1 src1_sel:DWORD
	s_mov_b32 s16, 0
	s_mov_b32 s19, exec_lo
	v_cmpx_lt_i16_e32 0x7f, v111
	s_xor_b32 s19, exec_lo, s19
	s_cbranch_execz .LBB4_2866
; %bb.2581:                             ;   in Loop: Header=BB4_2140 Depth=3
	s_mov_b32 s16, -1
	s_mov_b32 s22, exec_lo
	v_cmpx_eq_u16_e32 0x80, v111
; %bb.2582:                             ;   in Loop: Header=BB4_2140 Depth=3
	s_xor_b32 s16, exec_lo, -1
; %bb.2583:                             ;   in Loop: Header=BB4_2140 Depth=3
	s_or_b32 exec_lo, exec_lo, s22
	s_and_b32 s16, s16, exec_lo
                                        ; implicit-def: $vgpr111
	s_or_saveexec_b32 s19, s19
	v_mov_b32_e32 v110, 0x7f800001
	s_xor_b32 exec_lo, exec_lo, s19
	s_cbranch_execnz .LBB4_2867
.LBB4_2584:                             ;   in Loop: Header=BB4_2140 Depth=3
	s_or_b32 exec_lo, exec_lo, s19
	s_and_saveexec_b32 s19, s16
	s_cbranch_execz .LBB4_2586
.LBB4_2585:                             ;   in Loop: Header=BB4_2140 Depth=3
	v_bfe_u32 v110, v13, 16, 2
	v_bfe_u32 v121, v13, 18, 5
	v_lshlrev_b32_e32 v122, 8, v13
	v_ffbh_u32_e32 v111, v110
	v_cmp_eq_u32_e32 vcc_lo, 0, v121
	v_min_u32_e32 v111, 32, v111
	v_subrev_nc_u32_e32 v120, 29, v111
	v_sub_nc_u32_e32 v111, 30, v111
	v_lshlrev_b32_sdwa v120, v120, v13 dst_sel:DWORD dst_unused:UNUSED_PAD src0_sel:DWORD src1_sel:WORD_1
	v_cndmask_b32_e32 v111, v121, v111, vcc_lo
	v_and_b32_e32 v120, 3, v120
	v_lshl_add_u32 v111, v111, 23, 0x37800000
	v_cndmask_b32_e32 v110, v110, v120, vcc_lo
	v_and_b32_e32 v120, 0x80000000, v122
	v_lshlrev_b32_e32 v110, 21, v110
	v_or3_b32 v110, v120, v111, v110
.LBB4_2586:                             ;   in Loop: Header=BB4_2140 Depth=3
	s_or_b32 exec_lo, exec_lo, s19
	v_and_b32_sdwa v120, v9, v119 dst_sel:DWORD dst_unused:UNUSED_PAD src0_sel:WORD_1 src1_sel:DWORD
	s_mov_b32 s16, 0
	s_mov_b32 s19, exec_lo
	v_cmpx_lt_i16_e32 0x7f, v120
	s_xor_b32 s19, exec_lo, s19
	s_cbranch_execz .LBB4_2868
; %bb.2587:                             ;   in Loop: Header=BB4_2140 Depth=3
	s_mov_b32 s16, -1
	s_mov_b32 s22, exec_lo
	v_cmpx_eq_u16_e32 0x80, v120
; %bb.2588:                             ;   in Loop: Header=BB4_2140 Depth=3
	s_xor_b32 s16, exec_lo, -1
; %bb.2589:                             ;   in Loop: Header=BB4_2140 Depth=3
	s_or_b32 exec_lo, exec_lo, s22
	s_and_b32 s16, s16, exec_lo
                                        ; implicit-def: $vgpr120
	s_or_saveexec_b32 s19, s19
	v_mov_b32_e32 v111, 0x7f800001
	s_xor_b32 exec_lo, exec_lo, s19
	s_cbranch_execnz .LBB4_2869
.LBB4_2590:                             ;   in Loop: Header=BB4_2140 Depth=3
	s_or_b32 exec_lo, exec_lo, s19
	s_and_saveexec_b32 s19, s16
	s_cbranch_execz .LBB4_2592
.LBB4_2591:                             ;   in Loop: Header=BB4_2140 Depth=3
	v_bfe_u32 v111, v9, 16, 2
	v_bfe_u32 v122, v9, 18, 5
	v_lshlrev_b32_e32 v123, 8, v9
	v_ffbh_u32_e32 v120, v111
	v_cmp_eq_u32_e32 vcc_lo, 0, v122
	v_min_u32_e32 v120, 32, v120
	v_subrev_nc_u32_e32 v121, 29, v120
	v_sub_nc_u32_e32 v120, 30, v120
	v_lshlrev_b32_sdwa v121, v121, v9 dst_sel:DWORD dst_unused:UNUSED_PAD src0_sel:DWORD src1_sel:WORD_1
	v_cndmask_b32_e32 v120, v122, v120, vcc_lo
	v_and_b32_e32 v121, 3, v121
	v_lshl_add_u32 v120, v120, 23, 0x37800000
	v_cndmask_b32_e32 v111, v111, v121, vcc_lo
	v_and_b32_e32 v121, 0x80000000, v123
	v_lshlrev_b32_e32 v111, 21, v111
	v_or3_b32 v111, v121, v120, v111
.LBB4_2592:                             ;   in Loop: Header=BB4_2140 Depth=3
	s_or_b32 exec_lo, exec_lo, s19
	v_mul_f32_e32 v111, v110, v111
	v_and_b32_e32 v110, 0x7f800000, v111
	v_cmp_ne_u32_e32 vcc_lo, 0x7f800000, v110
	v_mov_b32_e32 v110, 0x80
	s_and_saveexec_b32 s19, vcc_lo
	s_cbranch_execz .LBB4_2600
; %bb.2593:                             ;   in Loop: Header=BB4_2140 Depth=3
	v_mov_b32_e32 v110, 0
	s_mov_b32 s22, exec_lo
	v_cmpx_ne_u32_e32 0, v111
	s_cbranch_execz .LBB4_2599
; %bb.2594:                             ;   in Loop: Header=BB4_2140 Depth=3
	v_bfe_u32 v110, v111, 23, 8
	v_and_b32_e32 v120, 0x7fffff, v111
	v_sub_nc_u32_e32 v121, 0x70, v110
	v_cmp_gt_u32_e32 vcc_lo, 0x71, v110
	v_or_b32_e32 v122, 0x800000, v120
	v_cndmask_b32_e32 v121, 0, v121, vcc_lo
	v_cmp_eq_u32_e32 vcc_lo, 0, v110
	v_add_nc_u32_e32 v110, 0xffffff91, v110
	v_cndmask_b32_e64 v121, v121, 0x6f, vcc_lo
	v_cndmask_b32_e32 v120, v122, v120, vcc_lo
	v_cndmask_b32_e64 v110, v110, 0xffffff92, vcc_lo
	v_lshl_add_u32 v122, 0x200000, v121, -1
	v_lshrrev_b32_e32 v123, v121, v120
	v_lshlrev_b32_e64 v125, v121, 0x100000
	v_add_nc_u32_e32 v121, v121, v110
	v_and_b32_e32 v120, v122, v120
	v_bfe_u32 v124, v123, 21, 1
	v_cmp_eq_u32_e64 s16, v120, v125
	v_add_nc_u32_e32 v122, -1, v124
	v_cndmask_b32_e64 v120, 0, v122, s16
	v_lshrrev_b32_e32 v122, 23, v123
	s_mov_b32 s16, exec_lo
	v_add_nc_u32_e32 v120, v120, v123
	v_xor_b32_e32 v122, 1, v122
	v_and_b32_e32 v110, 0x1fffff, v120
	v_add_nc_u32_e32 v120, v110, v123
                                        ; implicit-def: $vgpr110
	v_cmpx_ne_u32_e64 v121, v122
	s_xor_b32 s16, exec_lo, s16
; %bb.2595:                             ;   in Loop: Header=BB4_2140 Depth=3
	v_cmp_lt_u32_e32 vcc_lo, 0xffffff, v120
	v_sub_nc_u32_e32 v110, v121, v122
	v_cndmask_b32_e64 v121, 0, 1, vcc_lo
	v_add_co_ci_u32_e64 v110, null, 0, v110, vcc_lo
	v_lshrrev_b32_e32 v120, v121, v120
; %bb.2596:                             ;   in Loop: Header=BB4_2140 Depth=3
	s_andn2_saveexec_b32 s16, s16
; %bb.2597:                             ;   in Loop: Header=BB4_2140 Depth=3
	v_bfe_u32 v110, v120, 23, 1
; %bb.2598:                             ;   in Loop: Header=BB4_2140 Depth=3
	s_or_b32 exec_lo, exec_lo, s16
	v_lshrrev_b32_e32 v120, 21, v120
	v_min_i32_e32 v121, 31, v110
	v_cmp_gt_i32_e32 vcc_lo, 32, v110
	v_and_b32_sdwa v111, v111, v116 dst_sel:DWORD dst_unused:UNUSED_PAD src0_sel:BYTE_3 src1_sel:DWORD
	v_lshlrev_b32_e32 v121, 2, v121
	v_cndmask_b32_e32 v120, 3, v120, vcc_lo
	v_and_b32_e32 v121, 0xfc, v121
	v_and_b32_e32 v122, 3, v120
	v_or_b32_e32 v110, v110, v120
	v_or3_b32 v111, v121, v111, v122
	v_cmp_ne_u32_e32 vcc_lo, 0, v110
	v_cndmask_b32_e32 v110, 0, v111, vcc_lo
.LBB4_2599:                             ;   in Loop: Header=BB4_2140 Depth=3
	s_or_b32 exec_lo, exec_lo, s22
.LBB4_2600:                             ;   in Loop: Header=BB4_2140 Depth=3
	s_or_b32 exec_lo, exec_lo, s19
	v_cmp_gt_i16_sdwa s19, v13, v115 src0_sel:BYTE_3 src1_sel:DWORD
	s_mov_b32 s16, 0
	s_and_saveexec_b32 s22, s19
	s_xor_b32 s19, exec_lo, s22
	s_cbranch_execz .LBB4_2870
; %bb.2601:                             ;   in Loop: Header=BB4_2140 Depth=3
	v_cmp_eq_u16_sdwa s23, v13, v116 src0_sel:BYTE_3 src1_sel:DWORD
	s_mov_b32 s16, -1
	s_and_saveexec_b32 s22, s23
; %bb.2602:                             ;   in Loop: Header=BB4_2140 Depth=3
	s_xor_b32 s16, exec_lo, -1
; %bb.2603:                             ;   in Loop: Header=BB4_2140 Depth=3
	s_or_b32 exec_lo, exec_lo, s22
	s_and_b32 s16, s16, exec_lo
	s_or_saveexec_b32 s19, s19
	v_mov_b32_e32 v111, 0x7f800001
	s_xor_b32 exec_lo, exec_lo, s19
	s_cbranch_execnz .LBB4_2871
.LBB4_2604:                             ;   in Loop: Header=BB4_2140 Depth=3
	s_or_b32 exec_lo, exec_lo, s19
	s_and_saveexec_b32 s19, s16
	s_cbranch_execz .LBB4_2606
.LBB4_2605:                             ;   in Loop: Header=BB4_2140 Depth=3
	v_bfe_u32 v111, v13, 24, 2
	v_bfe_u32 v122, v13, 26, 5
	v_ffbh_u32_e32 v120, v111
	v_cmp_eq_u32_e32 vcc_lo, 0, v122
	v_min_u32_e32 v120, 32, v120
	v_subrev_nc_u32_e32 v121, 29, v120
	v_sub_nc_u32_e32 v120, 30, v120
	v_lshlrev_b32_sdwa v121, v121, v13 dst_sel:DWORD dst_unused:UNUSED_PAD src0_sel:DWORD src1_sel:BYTE_3
	v_cndmask_b32_e32 v120, v122, v120, vcc_lo
	v_and_b32_e32 v13, 0x80000000, v13
	v_and_b32_e32 v121, 3, v121
	v_lshl_add_u32 v120, v120, 23, 0x37800000
	v_cndmask_b32_e32 v111, v111, v121, vcc_lo
	v_lshlrev_b32_e32 v111, 21, v111
	v_or3_b32 v111, v13, v120, v111
.LBB4_2606:                             ;   in Loop: Header=BB4_2140 Depth=3
	s_or_b32 exec_lo, exec_lo, s19
	v_cmp_gt_i16_sdwa s19, v9, v115 src0_sel:BYTE_3 src1_sel:DWORD
	s_mov_b32 s16, 0
	s_and_saveexec_b32 s22, s19
	s_xor_b32 s19, exec_lo, s22
	s_cbranch_execz .LBB4_2872
; %bb.2607:                             ;   in Loop: Header=BB4_2140 Depth=3
	v_cmp_eq_u16_sdwa s23, v9, v116 src0_sel:BYTE_3 src1_sel:DWORD
	s_mov_b32 s16, -1
	s_and_saveexec_b32 s22, s23
; %bb.2608:                             ;   in Loop: Header=BB4_2140 Depth=3
	s_xor_b32 s16, exec_lo, -1
; %bb.2609:                             ;   in Loop: Header=BB4_2140 Depth=3
	s_or_b32 exec_lo, exec_lo, s22
	s_and_b32 s16, s16, exec_lo
	s_or_saveexec_b32 s19, s19
	v_mov_b32_e32 v13, 0x7f800001
	s_xor_b32 exec_lo, exec_lo, s19
	s_cbranch_execnz .LBB4_2873
.LBB4_2610:                             ;   in Loop: Header=BB4_2140 Depth=3
	s_or_b32 exec_lo, exec_lo, s19
	s_and_saveexec_b32 s19, s16
	s_cbranch_execz .LBB4_2612
.LBB4_2611:                             ;   in Loop: Header=BB4_2140 Depth=3
	v_bfe_u32 v13, v9, 24, 2
	v_bfe_u32 v122, v9, 26, 5
	v_ffbh_u32_e32 v120, v13
	v_cmp_eq_u32_e32 vcc_lo, 0, v122
	v_min_u32_e32 v120, 32, v120
	v_subrev_nc_u32_e32 v121, 29, v120
	v_sub_nc_u32_e32 v120, 30, v120
	v_lshlrev_b32_sdwa v121, v121, v9 dst_sel:DWORD dst_unused:UNUSED_PAD src0_sel:DWORD src1_sel:BYTE_3
	v_cndmask_b32_e32 v120, v122, v120, vcc_lo
	v_and_b32_e32 v9, 0x80000000, v9
	v_and_b32_e32 v121, 3, v121
	v_lshl_add_u32 v120, v120, 23, 0x37800000
	v_cndmask_b32_e32 v13, v13, v121, vcc_lo
	v_lshlrev_b32_e32 v13, 21, v13
	v_or3_b32 v13, v9, v120, v13
.LBB4_2612:                             ;   in Loop: Header=BB4_2140 Depth=3
	s_or_b32 exec_lo, exec_lo, s19
	v_mul_f32_e32 v13, v111, v13
	v_and_b32_e32 v9, 0x7f800000, v13
	v_cmp_ne_u32_e32 vcc_lo, 0x7f800000, v9
	v_mov_b32_e32 v9, 0x8000
	s_and_saveexec_b32 s19, vcc_lo
	s_cbranch_execz .LBB4_2620
; %bb.2613:                             ;   in Loop: Header=BB4_2140 Depth=3
	v_mov_b32_e32 v9, 0
	s_mov_b32 s22, exec_lo
	v_cmpx_ne_u32_e32 0, v13
	s_cbranch_execz .LBB4_2619
; %bb.2614:                             ;   in Loop: Header=BB4_2140 Depth=3
	v_bfe_u32 v9, v13, 23, 8
	v_and_b32_e32 v111, 0x7fffff, v13
	v_sub_nc_u32_e32 v120, 0x70, v9
	v_cmp_gt_u32_e32 vcc_lo, 0x71, v9
	v_or_b32_e32 v121, 0x800000, v111
	v_cndmask_b32_e32 v120, 0, v120, vcc_lo
	v_cmp_eq_u32_e32 vcc_lo, 0, v9
	v_add_nc_u32_e32 v9, 0xffffff91, v9
	v_cndmask_b32_e64 v120, v120, 0x6f, vcc_lo
	v_cndmask_b32_e32 v111, v121, v111, vcc_lo
	v_cndmask_b32_e64 v9, v9, 0xffffff92, vcc_lo
	v_lshl_add_u32 v121, 0x200000, v120, -1
	v_lshrrev_b32_e32 v122, v120, v111
	v_lshlrev_b32_e64 v124, v120, 0x100000
	v_add_nc_u32_e32 v120, v120, v9
	v_and_b32_e32 v111, v121, v111
	v_bfe_u32 v123, v122, 21, 1
	v_cmp_eq_u32_e64 s16, v111, v124
	v_add_nc_u32_e32 v121, -1, v123
	v_cndmask_b32_e64 v111, 0, v121, s16
	v_lshrrev_b32_e32 v121, 23, v122
	s_mov_b32 s16, exec_lo
	v_add_nc_u32_e32 v111, v111, v122
	v_xor_b32_e32 v121, 1, v121
	v_and_b32_e32 v9, 0x1fffff, v111
	v_add_nc_u32_e32 v111, v9, v122
                                        ; implicit-def: $vgpr9
	v_cmpx_ne_u32_e64 v120, v121
	s_xor_b32 s16, exec_lo, s16
; %bb.2615:                             ;   in Loop: Header=BB4_2140 Depth=3
	v_cmp_lt_u32_e32 vcc_lo, 0xffffff, v111
	v_sub_nc_u32_e32 v9, v120, v121
	v_cndmask_b32_e64 v120, 0, 1, vcc_lo
	v_add_co_ci_u32_e64 v9, null, 0, v9, vcc_lo
	v_lshrrev_b32_e32 v111, v120, v111
; %bb.2616:                             ;   in Loop: Header=BB4_2140 Depth=3
	s_andn2_saveexec_b32 s16, s16
; %bb.2617:                             ;   in Loop: Header=BB4_2140 Depth=3
	v_bfe_u32 v9, v111, 23, 1
; %bb.2618:                             ;   in Loop: Header=BB4_2140 Depth=3
	s_or_b32 exec_lo, exec_lo, s16
	v_lshrrev_b32_e32 v111, 21, v111
	v_min_i32_e32 v120, 31, v9
	v_cmp_gt_i32_e32 vcc_lo, 32, v9
	v_and_b32_sdwa v13, v13, v116 dst_sel:DWORD dst_unused:UNUSED_PAD src0_sel:BYTE_3 src1_sel:DWORD
	v_lshlrev_b32_e32 v120, 2, v120
	v_cndmask_b32_e32 v111, 3, v111, vcc_lo
	v_and_b32_e32 v120, 0xfc, v120
	v_and_b32_e32 v121, 3, v111
	v_or_b32_e32 v9, v9, v111
	v_or3_b32 v13, v13, v120, v121
	v_cmp_ne_u32_e32 vcc_lo, 0, v9
	v_lshlrev_b32_e32 v13, 8, v13
	v_cndmask_b32_e32 v9, 0, v13, vcc_lo
.LBB4_2619:                             ;   in Loop: Header=BB4_2140 Depth=3
	s_or_b32 exec_lo, exec_lo, s22
.LBB4_2620:                             ;   in Loop: Header=BB4_2140 Depth=3
	s_or_b32 exec_lo, exec_lo, s19
	v_cmp_gt_i16_sdwa s19, v14, v115 src0_sel:BYTE_0 src1_sel:DWORD
	s_mov_b32 s16, 0
	s_and_saveexec_b32 s22, s19
	s_xor_b32 s19, exec_lo, s22
	s_cbranch_execz .LBB4_2874
; %bb.2621:                             ;   in Loop: Header=BB4_2140 Depth=3
	v_cmp_eq_u16_sdwa s23, v14, v116 src0_sel:BYTE_0 src1_sel:DWORD
	s_mov_b32 s16, -1
	s_and_saveexec_b32 s22, s23
; %bb.2622:                             ;   in Loop: Header=BB4_2140 Depth=3
	s_xor_b32 s16, exec_lo, -1
; %bb.2623:                             ;   in Loop: Header=BB4_2140 Depth=3
	s_or_b32 exec_lo, exec_lo, s22
	s_and_b32 s16, s16, exec_lo
	s_or_saveexec_b32 s19, s19
	v_mov_b32_e32 v13, 0x7f800001
	s_xor_b32 exec_lo, exec_lo, s19
	s_cbranch_execnz .LBB4_2875
.LBB4_2624:                             ;   in Loop: Header=BB4_2140 Depth=3
	s_or_b32 exec_lo, exec_lo, s19
	s_and_saveexec_b32 s19, s16
	s_cbranch_execz .LBB4_2626
.LBB4_2625:                             ;   in Loop: Header=BB4_2140 Depth=3
	v_and_b32_e32 v13, 3, v14
	v_bfe_u32 v121, v14, 2, 5
	v_lshlrev_b32_e32 v122, 24, v14
	v_ffbh_u32_e32 v111, v13
	v_cmp_eq_u32_e32 vcc_lo, 0, v121
	v_min_u32_e32 v111, 32, v111
	v_subrev_nc_u32_e32 v120, 29, v111
	v_sub_nc_u32_e32 v111, 30, v111
	v_lshlrev_b32_e32 v120, v120, v14
	v_cndmask_b32_e32 v111, v121, v111, vcc_lo
	v_and_b32_e32 v120, 3, v120
	v_lshl_add_u32 v111, v111, 23, 0x37800000
	v_cndmask_b32_e32 v13, v13, v120, vcc_lo
	v_and_b32_e32 v120, 0x80000000, v122
	v_lshlrev_b32_e32 v13, 21, v13
	v_or3_b32 v13, v120, v111, v13
.LBB4_2626:                             ;   in Loop: Header=BB4_2140 Depth=3
	s_or_b32 exec_lo, exec_lo, s19
	v_cmp_gt_i16_sdwa s19, v10, v115 src0_sel:BYTE_0 src1_sel:DWORD
	s_mov_b32 s16, 0
	s_and_saveexec_b32 s22, s19
	s_xor_b32 s19, exec_lo, s22
	s_cbranch_execz .LBB4_2876
; %bb.2627:                             ;   in Loop: Header=BB4_2140 Depth=3
	v_cmp_eq_u16_sdwa s23, v10, v116 src0_sel:BYTE_0 src1_sel:DWORD
	s_mov_b32 s16, -1
	s_and_saveexec_b32 s22, s23
; %bb.2628:                             ;   in Loop: Header=BB4_2140 Depth=3
	s_xor_b32 s16, exec_lo, -1
; %bb.2629:                             ;   in Loop: Header=BB4_2140 Depth=3
	s_or_b32 exec_lo, exec_lo, s22
	s_and_b32 s16, s16, exec_lo
	s_or_saveexec_b32 s19, s19
	v_mov_b32_e32 v111, 0x7f800001
	s_xor_b32 exec_lo, exec_lo, s19
	s_cbranch_execnz .LBB4_2877
.LBB4_2630:                             ;   in Loop: Header=BB4_2140 Depth=3
	s_or_b32 exec_lo, exec_lo, s19
	s_and_saveexec_b32 s19, s16
	s_cbranch_execz .LBB4_2632
.LBB4_2631:                             ;   in Loop: Header=BB4_2140 Depth=3
	v_and_b32_e32 v111, 3, v10
	v_bfe_u32 v122, v10, 2, 5
	v_lshlrev_b32_e32 v123, 24, v10
	v_ffbh_u32_e32 v120, v111
	v_cmp_eq_u32_e32 vcc_lo, 0, v122
	v_min_u32_e32 v120, 32, v120
	v_subrev_nc_u32_e32 v121, 29, v120
	v_sub_nc_u32_e32 v120, 30, v120
	v_lshlrev_b32_e32 v121, v121, v10
	v_cndmask_b32_e32 v120, v122, v120, vcc_lo
	v_and_b32_e32 v121, 3, v121
	v_lshl_add_u32 v120, v120, 23, 0x37800000
	v_cndmask_b32_e32 v111, v111, v121, vcc_lo
	v_and_b32_e32 v121, 0x80000000, v123
	v_lshlrev_b32_e32 v111, 21, v111
	v_or3_b32 v111, v121, v120, v111
.LBB4_2632:                             ;   in Loop: Header=BB4_2140 Depth=3
	s_or_b32 exec_lo, exec_lo, s19
	v_mul_f32_e32 v111, v13, v111
	v_and_b32_e32 v13, 0x7f800000, v111
	v_cmp_ne_u32_e32 vcc_lo, 0x7f800000, v13
	v_mov_b32_e32 v13, 0x80
	s_and_saveexec_b32 s19, vcc_lo
	s_cbranch_execz .LBB4_2640
; %bb.2633:                             ;   in Loop: Header=BB4_2140 Depth=3
	v_mov_b32_e32 v13, 0
	s_mov_b32 s22, exec_lo
	v_cmpx_ne_u32_e32 0, v111
	s_cbranch_execz .LBB4_2639
; %bb.2634:                             ;   in Loop: Header=BB4_2140 Depth=3
	v_bfe_u32 v13, v111, 23, 8
	v_and_b32_e32 v120, 0x7fffff, v111
	v_sub_nc_u32_e32 v121, 0x70, v13
	v_cmp_gt_u32_e32 vcc_lo, 0x71, v13
	v_or_b32_e32 v122, 0x800000, v120
	v_cndmask_b32_e32 v121, 0, v121, vcc_lo
	v_cmp_eq_u32_e32 vcc_lo, 0, v13
	v_add_nc_u32_e32 v13, 0xffffff91, v13
	v_cndmask_b32_e64 v121, v121, 0x6f, vcc_lo
	v_cndmask_b32_e32 v120, v122, v120, vcc_lo
	v_cndmask_b32_e64 v13, v13, 0xffffff92, vcc_lo
	v_lshl_add_u32 v122, 0x200000, v121, -1
	v_lshrrev_b32_e32 v123, v121, v120
	v_lshlrev_b32_e64 v125, v121, 0x100000
	v_add_nc_u32_e32 v121, v121, v13
	v_and_b32_e32 v120, v122, v120
	v_bfe_u32 v124, v123, 21, 1
	v_cmp_eq_u32_e64 s16, v120, v125
	v_add_nc_u32_e32 v122, -1, v124
	v_cndmask_b32_e64 v120, 0, v122, s16
	v_lshrrev_b32_e32 v122, 23, v123
	s_mov_b32 s16, exec_lo
	v_add_nc_u32_e32 v120, v120, v123
	v_xor_b32_e32 v122, 1, v122
	v_and_b32_e32 v13, 0x1fffff, v120
	v_add_nc_u32_e32 v120, v13, v123
                                        ; implicit-def: $vgpr13
	v_cmpx_ne_u32_e64 v121, v122
	s_xor_b32 s16, exec_lo, s16
; %bb.2635:                             ;   in Loop: Header=BB4_2140 Depth=3
	v_cmp_lt_u32_e32 vcc_lo, 0xffffff, v120
	v_sub_nc_u32_e32 v13, v121, v122
	v_cndmask_b32_e64 v121, 0, 1, vcc_lo
	v_add_co_ci_u32_e64 v13, null, 0, v13, vcc_lo
	v_lshrrev_b32_e32 v120, v121, v120
; %bb.2636:                             ;   in Loop: Header=BB4_2140 Depth=3
	s_andn2_saveexec_b32 s16, s16
; %bb.2637:                             ;   in Loop: Header=BB4_2140 Depth=3
	v_bfe_u32 v13, v120, 23, 1
; %bb.2638:                             ;   in Loop: Header=BB4_2140 Depth=3
	s_or_b32 exec_lo, exec_lo, s16
	v_lshrrev_b32_e32 v120, 21, v120
	v_min_i32_e32 v121, 31, v13
	v_cmp_gt_i32_e32 vcc_lo, 32, v13
	v_and_b32_sdwa v111, v111, v116 dst_sel:DWORD dst_unused:UNUSED_PAD src0_sel:BYTE_3 src1_sel:DWORD
	v_lshlrev_b32_e32 v121, 2, v121
	v_cndmask_b32_e32 v120, 3, v120, vcc_lo
	v_and_b32_e32 v121, 0xfc, v121
	v_and_b32_e32 v122, 3, v120
	v_or_b32_e32 v13, v13, v120
	v_or3_b32 v111, v121, v111, v122
	v_cmp_ne_u32_e32 vcc_lo, 0, v13
	v_cndmask_b32_e32 v13, 0, v111, vcc_lo
.LBB4_2639:                             ;   in Loop: Header=BB4_2140 Depth=3
	s_or_b32 exec_lo, exec_lo, s22
.LBB4_2640:                             ;   in Loop: Header=BB4_2140 Depth=3
	s_or_b32 exec_lo, exec_lo, s19
	v_cmp_gt_i16_sdwa s19, v14, v115 src0_sel:BYTE_1 src1_sel:DWORD
	s_mov_b32 s16, 0
	s_and_saveexec_b32 s22, s19
	s_xor_b32 s19, exec_lo, s22
	s_cbranch_execz .LBB4_2878
; %bb.2641:                             ;   in Loop: Header=BB4_2140 Depth=3
	v_cmp_eq_u16_sdwa s23, v14, v116 src0_sel:BYTE_1 src1_sel:DWORD
	s_mov_b32 s16, -1
	s_and_saveexec_b32 s22, s23
; %bb.2642:                             ;   in Loop: Header=BB4_2140 Depth=3
	s_xor_b32 s16, exec_lo, -1
; %bb.2643:                             ;   in Loop: Header=BB4_2140 Depth=3
	s_or_b32 exec_lo, exec_lo, s22
	s_and_b32 s16, s16, exec_lo
	s_or_saveexec_b32 s19, s19
	v_mov_b32_e32 v111, 0x7f800001
	s_xor_b32 exec_lo, exec_lo, s19
	s_cbranch_execnz .LBB4_2879
.LBB4_2644:                             ;   in Loop: Header=BB4_2140 Depth=3
	s_or_b32 exec_lo, exec_lo, s19
	s_and_saveexec_b32 s19, s16
	s_cbranch_execz .LBB4_2646
.LBB4_2645:                             ;   in Loop: Header=BB4_2140 Depth=3
	v_and_b32_sdwa v111, v117, v14 dst_sel:DWORD dst_unused:UNUSED_PAD src0_sel:DWORD src1_sel:BYTE_1
	v_and_b32_e32 v120, 3, v111
	v_bfe_u32 v123, v111, 2, 5
	v_ffbh_u32_e32 v121, v120
	v_cmp_eq_u32_e32 vcc_lo, 0, v123
	v_min_u32_e32 v121, 32, v121
	v_subrev_nc_u32_e32 v122, 29, v121
	v_sub_nc_u32_e32 v121, 30, v121
	v_lshlrev_b32_e32 v111, v122, v111
	v_lshlrev_b32_sdwa v122, v118, v14 dst_sel:DWORD dst_unused:UNUSED_PAD src0_sel:DWORD src1_sel:BYTE_1
	v_cndmask_b32_e32 v121, v123, v121, vcc_lo
	v_and_b32_e32 v111, 3, v111
	v_lshl_add_u32 v121, v121, 23, 0x37800000
	v_cndmask_b32_e32 v111, v120, v111, vcc_lo
	v_and_b32_e32 v120, 0x80000000, v122
	v_lshlrev_b32_e32 v111, 21, v111
	v_or3_b32 v111, v120, v121, v111
.LBB4_2646:                             ;   in Loop: Header=BB4_2140 Depth=3
	s_or_b32 exec_lo, exec_lo, s19
	v_cmp_gt_i16_sdwa s19, v10, v115 src0_sel:BYTE_1 src1_sel:DWORD
	s_mov_b32 s16, 0
	s_and_saveexec_b32 s22, s19
	s_xor_b32 s19, exec_lo, s22
	s_cbranch_execz .LBB4_2880
; %bb.2647:                             ;   in Loop: Header=BB4_2140 Depth=3
	v_cmp_eq_u16_sdwa s23, v10, v116 src0_sel:BYTE_1 src1_sel:DWORD
	s_mov_b32 s16, -1
	s_and_saveexec_b32 s22, s23
; %bb.2648:                             ;   in Loop: Header=BB4_2140 Depth=3
	s_xor_b32 s16, exec_lo, -1
; %bb.2649:                             ;   in Loop: Header=BB4_2140 Depth=3
	s_or_b32 exec_lo, exec_lo, s22
	s_and_b32 s16, s16, exec_lo
	s_or_saveexec_b32 s19, s19
	v_mov_b32_e32 v120, 0x7f800001
	s_xor_b32 exec_lo, exec_lo, s19
	s_cbranch_execnz .LBB4_2881
.LBB4_2650:                             ;   in Loop: Header=BB4_2140 Depth=3
	s_or_b32 exec_lo, exec_lo, s19
	s_and_saveexec_b32 s19, s16
	s_cbranch_execz .LBB4_2652
.LBB4_2651:                             ;   in Loop: Header=BB4_2140 Depth=3
	v_and_b32_sdwa v120, v117, v10 dst_sel:DWORD dst_unused:UNUSED_PAD src0_sel:DWORD src1_sel:BYTE_1
	v_and_b32_e32 v121, 3, v120
	v_bfe_u32 v124, v120, 2, 5
	v_ffbh_u32_e32 v122, v121
	v_cmp_eq_u32_e32 vcc_lo, 0, v124
	v_min_u32_e32 v122, 32, v122
	v_subrev_nc_u32_e32 v123, 29, v122
	v_sub_nc_u32_e32 v122, 30, v122
	v_lshlrev_b32_e32 v120, v123, v120
	v_lshlrev_b32_sdwa v123, v118, v10 dst_sel:DWORD dst_unused:UNUSED_PAD src0_sel:DWORD src1_sel:BYTE_1
	v_cndmask_b32_e32 v122, v124, v122, vcc_lo
	v_and_b32_e32 v120, 3, v120
	v_lshl_add_u32 v122, v122, 23, 0x37800000
	v_cndmask_b32_e32 v120, v121, v120, vcc_lo
	v_and_b32_e32 v121, 0x80000000, v123
	v_lshlrev_b32_e32 v120, 21, v120
	v_or3_b32 v120, v121, v122, v120
.LBB4_2652:                             ;   in Loop: Header=BB4_2140 Depth=3
	s_or_b32 exec_lo, exec_lo, s19
	v_mul_f32_e32 v120, v111, v120
	v_and_b32_e32 v111, 0x7f800000, v120
	v_cmp_ne_u32_e32 vcc_lo, 0x7f800000, v111
	v_mov_b32_e32 v111, 0x8000
	s_and_saveexec_b32 s19, vcc_lo
	s_cbranch_execz .LBB4_2660
; %bb.2653:                             ;   in Loop: Header=BB4_2140 Depth=3
	v_mov_b32_e32 v111, 0
	s_mov_b32 s22, exec_lo
	v_cmpx_ne_u32_e32 0, v120
	s_cbranch_execz .LBB4_2659
; %bb.2654:                             ;   in Loop: Header=BB4_2140 Depth=3
	v_bfe_u32 v121, v120, 23, 8
	v_and_b32_e32 v111, 0x7fffff, v120
	v_cmp_gt_u32_e64 s16, 0x71, v121
	v_sub_nc_u32_e32 v122, 0x70, v121
	v_cmp_eq_u32_e32 vcc_lo, 0, v121
	v_or_b32_e32 v123, 0x800000, v111
	v_cndmask_b32_e64 v122, 0, v122, s16
	v_cndmask_b32_e32 v111, v123, v111, vcc_lo
	v_cndmask_b32_e64 v122, v122, 0x6f, vcc_lo
	v_lshl_add_u32 v123, 0x200000, v122, -1
	v_lshlrev_b32_e64 v124, v122, 0x100000
	v_and_b32_e32 v123, v123, v111
	v_cmp_eq_u32_e64 s16, v123, v124
	v_lshrrev_b32_e32 v123, v122, v111
	v_add_nc_u32_e32 v111, 0xffffff91, v121
	v_lshrrev_b32_e32 v121, 23, v123
	v_cndmask_b32_e64 v111, v111, 0xffffff92, vcc_lo
	v_xor_b32_e32 v121, 1, v121
	v_add_nc_u32_e32 v111, v122, v111
	v_bfe_u32 v122, v123, 21, 1
	v_add_nc_u32_e32 v122, -1, v122
	v_cndmask_b32_e64 v122, 0, v122, s16
	s_mov_b32 s16, exec_lo
	v_add_nc_u32_e32 v122, v122, v123
	v_and_b32_e32 v122, 0x1fffff, v122
	v_add_nc_u32_e32 v123, v122, v123
                                        ; implicit-def: $vgpr122
	v_cmpx_ne_u32_e64 v111, v121
	s_xor_b32 s16, exec_lo, s16
; %bb.2655:                             ;   in Loop: Header=BB4_2140 Depth=3
	v_cmp_lt_u32_e32 vcc_lo, 0xffffff, v123
	v_sub_nc_u32_e32 v111, v111, v121
	v_cndmask_b32_e64 v121, 0, 1, vcc_lo
	v_add_co_ci_u32_e64 v122, null, 0, v111, vcc_lo
	v_lshrrev_b32_e32 v123, v121, v123
; %bb.2656:                             ;   in Loop: Header=BB4_2140 Depth=3
	s_andn2_saveexec_b32 s16, s16
; %bb.2657:                             ;   in Loop: Header=BB4_2140 Depth=3
	v_bfe_u32 v122, v123, 23, 1
; %bb.2658:                             ;   in Loop: Header=BB4_2140 Depth=3
	s_or_b32 exec_lo, exec_lo, s16
	v_lshrrev_b32_e32 v111, 21, v123
	v_min_i32_e32 v121, 31, v122
	v_cmp_gt_i32_e32 vcc_lo, 32, v122
	v_and_b32_sdwa v120, v120, v116 dst_sel:DWORD dst_unused:UNUSED_PAD src0_sel:BYTE_3 src1_sel:DWORD
	v_lshlrev_b32_e32 v121, 2, v121
	v_cndmask_b32_e32 v111, 3, v111, vcc_lo
	v_and_b32_e32 v121, 0xfc, v121
	v_and_b32_e32 v123, 3, v111
	v_or_b32_e32 v111, v122, v111
	v_or3_b32 v120, v120, v121, v123
	v_cmp_ne_u32_e32 vcc_lo, 0, v111
	v_lshlrev_b32_e32 v120, 8, v120
	v_cndmask_b32_e32 v111, 0, v120, vcc_lo
.LBB4_2659:                             ;   in Loop: Header=BB4_2140 Depth=3
	s_or_b32 exec_lo, exec_lo, s22
.LBB4_2660:                             ;   in Loop: Header=BB4_2140 Depth=3
	s_or_b32 exec_lo, exec_lo, s19
	v_and_b32_sdwa v121, v14, v119 dst_sel:DWORD dst_unused:UNUSED_PAD src0_sel:WORD_1 src1_sel:DWORD
	s_mov_b32 s16, 0
	s_mov_b32 s19, exec_lo
	v_cmpx_lt_i16_e32 0x7f, v121
	s_xor_b32 s19, exec_lo, s19
	s_cbranch_execz .LBB4_2882
; %bb.2661:                             ;   in Loop: Header=BB4_2140 Depth=3
	s_mov_b32 s16, -1
	s_mov_b32 s22, exec_lo
	v_cmpx_eq_u16_e32 0x80, v121
; %bb.2662:                             ;   in Loop: Header=BB4_2140 Depth=3
	s_xor_b32 s16, exec_lo, -1
; %bb.2663:                             ;   in Loop: Header=BB4_2140 Depth=3
	s_or_b32 exec_lo, exec_lo, s22
	s_and_b32 s16, s16, exec_lo
                                        ; implicit-def: $vgpr121
	s_or_saveexec_b32 s19, s19
	v_mov_b32_e32 v120, 0x7f800001
	s_xor_b32 exec_lo, exec_lo, s19
	s_cbranch_execnz .LBB4_2883
.LBB4_2664:                             ;   in Loop: Header=BB4_2140 Depth=3
	s_or_b32 exec_lo, exec_lo, s19
	s_and_saveexec_b32 s19, s16
	s_cbranch_execz .LBB4_2666
.LBB4_2665:                             ;   in Loop: Header=BB4_2140 Depth=3
	v_bfe_u32 v120, v14, 16, 2
	v_bfe_u32 v123, v14, 18, 5
	v_lshlrev_b32_e32 v124, 8, v14
	v_ffbh_u32_e32 v121, v120
	v_cmp_eq_u32_e32 vcc_lo, 0, v123
	v_min_u32_e32 v121, 32, v121
	v_subrev_nc_u32_e32 v122, 29, v121
	v_sub_nc_u32_e32 v121, 30, v121
	v_lshlrev_b32_sdwa v122, v122, v14 dst_sel:DWORD dst_unused:UNUSED_PAD src0_sel:DWORD src1_sel:WORD_1
	v_cndmask_b32_e32 v121, v123, v121, vcc_lo
	v_and_b32_e32 v122, 3, v122
	v_lshl_add_u32 v121, v121, 23, 0x37800000
	v_cndmask_b32_e32 v120, v120, v122, vcc_lo
	v_and_b32_e32 v122, 0x80000000, v124
	v_lshlrev_b32_e32 v120, 21, v120
	v_or3_b32 v120, v122, v121, v120
.LBB4_2666:                             ;   in Loop: Header=BB4_2140 Depth=3
	s_or_b32 exec_lo, exec_lo, s19
	v_and_b32_sdwa v122, v10, v119 dst_sel:DWORD dst_unused:UNUSED_PAD src0_sel:WORD_1 src1_sel:DWORD
	s_mov_b32 s16, 0
	s_mov_b32 s19, exec_lo
	v_cmpx_lt_i16_e32 0x7f, v122
	s_xor_b32 s19, exec_lo, s19
	s_cbranch_execz .LBB4_2884
; %bb.2667:                             ;   in Loop: Header=BB4_2140 Depth=3
	s_mov_b32 s16, -1
	s_mov_b32 s22, exec_lo
	v_cmpx_eq_u16_e32 0x80, v122
; %bb.2668:                             ;   in Loop: Header=BB4_2140 Depth=3
	s_xor_b32 s16, exec_lo, -1
; %bb.2669:                             ;   in Loop: Header=BB4_2140 Depth=3
	s_or_b32 exec_lo, exec_lo, s22
	s_and_b32 s16, s16, exec_lo
                                        ; implicit-def: $vgpr122
	s_or_saveexec_b32 s19, s19
	v_mov_b32_e32 v121, 0x7f800001
	s_xor_b32 exec_lo, exec_lo, s19
	s_cbranch_execnz .LBB4_2885
.LBB4_2670:                             ;   in Loop: Header=BB4_2140 Depth=3
	s_or_b32 exec_lo, exec_lo, s19
	s_and_saveexec_b32 s19, s16
	s_cbranch_execz .LBB4_2672
.LBB4_2671:                             ;   in Loop: Header=BB4_2140 Depth=3
	v_bfe_u32 v121, v10, 16, 2
	v_bfe_u32 v124, v10, 18, 5
	v_lshlrev_b32_e32 v125, 8, v10
	v_ffbh_u32_e32 v122, v121
	v_cmp_eq_u32_e32 vcc_lo, 0, v124
	v_min_u32_e32 v122, 32, v122
	v_subrev_nc_u32_e32 v123, 29, v122
	v_sub_nc_u32_e32 v122, 30, v122
	v_lshlrev_b32_sdwa v123, v123, v10 dst_sel:DWORD dst_unused:UNUSED_PAD src0_sel:DWORD src1_sel:WORD_1
	v_cndmask_b32_e32 v122, v124, v122, vcc_lo
	v_and_b32_e32 v123, 3, v123
	v_lshl_add_u32 v122, v122, 23, 0x37800000
	v_cndmask_b32_e32 v121, v121, v123, vcc_lo
	v_and_b32_e32 v123, 0x80000000, v125
	v_lshlrev_b32_e32 v121, 21, v121
	v_or3_b32 v121, v123, v122, v121
.LBB4_2672:                             ;   in Loop: Header=BB4_2140 Depth=3
	s_or_b32 exec_lo, exec_lo, s19
	v_mul_f32_e32 v121, v120, v121
	v_and_b32_e32 v120, 0x7f800000, v121
	v_cmp_ne_u32_e32 vcc_lo, 0x7f800000, v120
	v_mov_b32_e32 v120, 0x80
	s_and_saveexec_b32 s19, vcc_lo
	s_cbranch_execz .LBB4_2680
; %bb.2673:                             ;   in Loop: Header=BB4_2140 Depth=3
	v_mov_b32_e32 v120, 0
	s_mov_b32 s22, exec_lo
	v_cmpx_ne_u32_e32 0, v121
	s_cbranch_execz .LBB4_2679
; %bb.2674:                             ;   in Loop: Header=BB4_2140 Depth=3
	v_bfe_u32 v122, v121, 23, 8
	v_and_b32_e32 v120, 0x7fffff, v121
	v_cmp_gt_u32_e64 s16, 0x71, v122
	v_sub_nc_u32_e32 v123, 0x70, v122
	v_cmp_eq_u32_e32 vcc_lo, 0, v122
	v_or_b32_e32 v124, 0x800000, v120
	v_cndmask_b32_e64 v123, 0, v123, s16
	v_cndmask_b32_e32 v120, v124, v120, vcc_lo
	v_cndmask_b32_e64 v123, v123, 0x6f, vcc_lo
	v_lshl_add_u32 v124, 0x200000, v123, -1
	v_lshlrev_b32_e64 v125, v123, 0x100000
	v_and_b32_e32 v124, v124, v120
	v_cmp_eq_u32_e64 s16, v124, v125
	v_lshrrev_b32_e32 v124, v123, v120
	v_add_nc_u32_e32 v120, 0xffffff91, v122
	v_lshrrev_b32_e32 v122, 23, v124
	v_cndmask_b32_e64 v120, v120, 0xffffff92, vcc_lo
	v_xor_b32_e32 v122, 1, v122
	v_add_nc_u32_e32 v120, v123, v120
	v_bfe_u32 v123, v124, 21, 1
	v_add_nc_u32_e32 v123, -1, v123
	v_cndmask_b32_e64 v123, 0, v123, s16
	s_mov_b32 s16, exec_lo
	v_add_nc_u32_e32 v123, v123, v124
	v_and_b32_e32 v123, 0x1fffff, v123
	v_add_nc_u32_e32 v124, v123, v124
                                        ; implicit-def: $vgpr123
	v_cmpx_ne_u32_e64 v120, v122
	s_xor_b32 s16, exec_lo, s16
; %bb.2675:                             ;   in Loop: Header=BB4_2140 Depth=3
	v_cmp_lt_u32_e32 vcc_lo, 0xffffff, v124
	v_sub_nc_u32_e32 v120, v120, v122
	v_cndmask_b32_e64 v122, 0, 1, vcc_lo
	v_add_co_ci_u32_e64 v123, null, 0, v120, vcc_lo
	v_lshrrev_b32_e32 v124, v122, v124
; %bb.2676:                             ;   in Loop: Header=BB4_2140 Depth=3
	s_andn2_saveexec_b32 s16, s16
; %bb.2677:                             ;   in Loop: Header=BB4_2140 Depth=3
	v_bfe_u32 v123, v124, 23, 1
; %bb.2678:                             ;   in Loop: Header=BB4_2140 Depth=3
	s_or_b32 exec_lo, exec_lo, s16
	v_lshrrev_b32_e32 v120, 21, v124
	v_min_i32_e32 v122, 31, v123
	v_cmp_gt_i32_e32 vcc_lo, 32, v123
	v_and_b32_sdwa v121, v121, v116 dst_sel:DWORD dst_unused:UNUSED_PAD src0_sel:BYTE_3 src1_sel:DWORD
	v_lshlrev_b32_e32 v122, 2, v122
	v_cndmask_b32_e32 v120, 3, v120, vcc_lo
	v_and_b32_e32 v122, 0xfc, v122
	v_and_b32_e32 v124, 3, v120
	v_or_b32_e32 v120, v123, v120
	v_or3_b32 v121, v122, v121, v124
	v_cmp_ne_u32_e32 vcc_lo, 0, v120
	v_cndmask_b32_e32 v120, 0, v121, vcc_lo
.LBB4_2679:                             ;   in Loop: Header=BB4_2140 Depth=3
	s_or_b32 exec_lo, exec_lo, s22
.LBB4_2680:                             ;   in Loop: Header=BB4_2140 Depth=3
	s_or_b32 exec_lo, exec_lo, s19
	v_cmp_gt_i16_sdwa s19, v14, v115 src0_sel:BYTE_3 src1_sel:DWORD
	s_mov_b32 s16, 0
	s_and_saveexec_b32 s22, s19
	s_xor_b32 s19, exec_lo, s22
	s_cbranch_execz .LBB4_2886
; %bb.2681:                             ;   in Loop: Header=BB4_2140 Depth=3
	v_cmp_eq_u16_sdwa s23, v14, v116 src0_sel:BYTE_3 src1_sel:DWORD
	s_mov_b32 s16, -1
	s_and_saveexec_b32 s22, s23
; %bb.2682:                             ;   in Loop: Header=BB4_2140 Depth=3
	s_xor_b32 s16, exec_lo, -1
; %bb.2683:                             ;   in Loop: Header=BB4_2140 Depth=3
	s_or_b32 exec_lo, exec_lo, s22
	s_and_b32 s16, s16, exec_lo
	s_or_saveexec_b32 s19, s19
	v_mov_b32_e32 v121, 0x7f800001
	s_xor_b32 exec_lo, exec_lo, s19
	s_cbranch_execnz .LBB4_2887
.LBB4_2684:                             ;   in Loop: Header=BB4_2140 Depth=3
	s_or_b32 exec_lo, exec_lo, s19
	s_and_saveexec_b32 s19, s16
	s_cbranch_execz .LBB4_2686
.LBB4_2685:                             ;   in Loop: Header=BB4_2140 Depth=3
	v_bfe_u32 v121, v14, 24, 2
	v_bfe_u32 v124, v14, 26, 5
	v_ffbh_u32_e32 v122, v121
	v_cmp_eq_u32_e32 vcc_lo, 0, v124
	v_min_u32_e32 v122, 32, v122
	v_subrev_nc_u32_e32 v123, 29, v122
	v_sub_nc_u32_e32 v122, 30, v122
	v_lshlrev_b32_sdwa v123, v123, v14 dst_sel:DWORD dst_unused:UNUSED_PAD src0_sel:DWORD src1_sel:BYTE_3
	v_cndmask_b32_e32 v122, v124, v122, vcc_lo
	v_and_b32_e32 v14, 0x80000000, v14
	v_and_b32_e32 v123, 3, v123
	v_lshl_add_u32 v122, v122, 23, 0x37800000
	v_cndmask_b32_e32 v121, v121, v123, vcc_lo
	v_lshlrev_b32_e32 v121, 21, v121
	v_or3_b32 v121, v14, v122, v121
.LBB4_2686:                             ;   in Loop: Header=BB4_2140 Depth=3
	s_or_b32 exec_lo, exec_lo, s19
	v_cmp_gt_i16_sdwa s19, v10, v115 src0_sel:BYTE_3 src1_sel:DWORD
	s_mov_b32 s16, 0
	s_and_saveexec_b32 s22, s19
	s_xor_b32 s19, exec_lo, s22
	s_cbranch_execz .LBB4_2888
; %bb.2687:                             ;   in Loop: Header=BB4_2140 Depth=3
	v_cmp_eq_u16_sdwa s23, v10, v116 src0_sel:BYTE_3 src1_sel:DWORD
	s_mov_b32 s16, -1
	s_and_saveexec_b32 s22, s23
; %bb.2688:                             ;   in Loop: Header=BB4_2140 Depth=3
	s_xor_b32 s16, exec_lo, -1
; %bb.2689:                             ;   in Loop: Header=BB4_2140 Depth=3
	s_or_b32 exec_lo, exec_lo, s22
	s_and_b32 s16, s16, exec_lo
	s_or_saveexec_b32 s19, s19
	v_mov_b32_e32 v14, 0x7f800001
	s_xor_b32 exec_lo, exec_lo, s19
	s_cbranch_execnz .LBB4_2889
.LBB4_2690:                             ;   in Loop: Header=BB4_2140 Depth=3
	s_or_b32 exec_lo, exec_lo, s19
	s_and_saveexec_b32 s19, s16
	s_cbranch_execz .LBB4_2692
.LBB4_2691:                             ;   in Loop: Header=BB4_2140 Depth=3
	v_bfe_u32 v14, v10, 24, 2
	v_bfe_u32 v124, v10, 26, 5
	v_ffbh_u32_e32 v122, v14
	v_cmp_eq_u32_e32 vcc_lo, 0, v124
	v_min_u32_e32 v122, 32, v122
	v_subrev_nc_u32_e32 v123, 29, v122
	v_sub_nc_u32_e32 v122, 30, v122
	v_lshlrev_b32_sdwa v123, v123, v10 dst_sel:DWORD dst_unused:UNUSED_PAD src0_sel:DWORD src1_sel:BYTE_3
	v_cndmask_b32_e32 v122, v124, v122, vcc_lo
	v_and_b32_e32 v10, 0x80000000, v10
	v_and_b32_e32 v123, 3, v123
	v_lshl_add_u32 v122, v122, 23, 0x37800000
	v_cndmask_b32_e32 v14, v14, v123, vcc_lo
	v_lshlrev_b32_e32 v14, 21, v14
	v_or3_b32 v14, v10, v122, v14
.LBB4_2692:                             ;   in Loop: Header=BB4_2140 Depth=3
	s_or_b32 exec_lo, exec_lo, s19
	v_mul_f32_e32 v14, v121, v14
	v_and_b32_e32 v10, 0x7f800000, v14
	v_cmp_ne_u32_e32 vcc_lo, 0x7f800000, v10
	v_mov_b32_e32 v10, 0x8000
	s_and_saveexec_b32 s19, vcc_lo
	s_cbranch_execz .LBB4_2700
; %bb.2693:                             ;   in Loop: Header=BB4_2140 Depth=3
	v_mov_b32_e32 v10, 0
	s_mov_b32 s22, exec_lo
	v_cmpx_ne_u32_e32 0, v14
	s_cbranch_execz .LBB4_2699
; %bb.2694:                             ;   in Loop: Header=BB4_2140 Depth=3
	v_bfe_u32 v121, v14, 23, 8
	v_and_b32_e32 v10, 0x7fffff, v14
	v_cmp_gt_u32_e64 s16, 0x71, v121
	v_sub_nc_u32_e32 v122, 0x70, v121
	v_cmp_eq_u32_e32 vcc_lo, 0, v121
	v_or_b32_e32 v123, 0x800000, v10
	v_cndmask_b32_e64 v122, 0, v122, s16
	v_cndmask_b32_e32 v10, v123, v10, vcc_lo
	v_cndmask_b32_e64 v122, v122, 0x6f, vcc_lo
	v_lshl_add_u32 v123, 0x200000, v122, -1
	v_lshlrev_b32_e64 v124, v122, 0x100000
	v_and_b32_e32 v123, v123, v10
	v_cmp_eq_u32_e64 s16, v123, v124
	v_lshrrev_b32_e32 v123, v122, v10
	v_add_nc_u32_e32 v10, 0xffffff91, v121
	v_lshrrev_b32_e32 v121, 23, v123
	v_cndmask_b32_e64 v10, v10, 0xffffff92, vcc_lo
	v_xor_b32_e32 v121, 1, v121
	v_add_nc_u32_e32 v10, v122, v10
	v_bfe_u32 v122, v123, 21, 1
	v_add_nc_u32_e32 v122, -1, v122
	v_cndmask_b32_e64 v122, 0, v122, s16
	s_mov_b32 s16, exec_lo
	v_add_nc_u32_e32 v122, v122, v123
	v_and_b32_e32 v122, 0x1fffff, v122
	v_add_nc_u32_e32 v123, v122, v123
                                        ; implicit-def: $vgpr122
	v_cmpx_ne_u32_e64 v10, v121
	s_xor_b32 s16, exec_lo, s16
; %bb.2695:                             ;   in Loop: Header=BB4_2140 Depth=3
	v_cmp_lt_u32_e32 vcc_lo, 0xffffff, v123
	v_sub_nc_u32_e32 v10, v10, v121
	v_cndmask_b32_e64 v121, 0, 1, vcc_lo
	v_add_co_ci_u32_e64 v122, null, 0, v10, vcc_lo
	v_lshrrev_b32_e32 v123, v121, v123
; %bb.2696:                             ;   in Loop: Header=BB4_2140 Depth=3
	s_andn2_saveexec_b32 s16, s16
; %bb.2697:                             ;   in Loop: Header=BB4_2140 Depth=3
	v_bfe_u32 v122, v123, 23, 1
; %bb.2698:                             ;   in Loop: Header=BB4_2140 Depth=3
	s_or_b32 exec_lo, exec_lo, s16
	v_lshrrev_b32_e32 v10, 21, v123
	v_min_i32_e32 v121, 31, v122
	v_cmp_gt_i32_e32 vcc_lo, 32, v122
	v_and_b32_sdwa v14, v14, v116 dst_sel:DWORD dst_unused:UNUSED_PAD src0_sel:BYTE_3 src1_sel:DWORD
	v_lshlrev_b32_e32 v121, 2, v121
	v_cndmask_b32_e32 v10, 3, v10, vcc_lo
	v_and_b32_e32 v121, 0xfc, v121
	v_and_b32_e32 v123, 3, v10
	v_or_b32_e32 v10, v122, v10
	v_or3_b32 v14, v14, v121, v123
	v_cmp_ne_u32_e32 vcc_lo, 0, v10
	v_lshlrev_b32_e32 v14, 8, v14
	v_cndmask_b32_e32 v10, 0, v14, vcc_lo
.LBB4_2699:                             ;   in Loop: Header=BB4_2140 Depth=3
	s_or_b32 exec_lo, exec_lo, s22
.LBB4_2700:                             ;   in Loop: Header=BB4_2140 Depth=3
	s_or_b32 exec_lo, exec_lo, s19
	v_cmp_gt_i16_sdwa s19, v15, v115 src0_sel:BYTE_0 src1_sel:DWORD
	s_mov_b32 s16, 0
	s_and_saveexec_b32 s22, s19
	s_xor_b32 s19, exec_lo, s22
	s_cbranch_execz .LBB4_2890
; %bb.2701:                             ;   in Loop: Header=BB4_2140 Depth=3
	v_cmp_eq_u16_sdwa s23, v15, v116 src0_sel:BYTE_0 src1_sel:DWORD
	s_mov_b32 s16, -1
	s_and_saveexec_b32 s22, s23
; %bb.2702:                             ;   in Loop: Header=BB4_2140 Depth=3
	s_xor_b32 s16, exec_lo, -1
; %bb.2703:                             ;   in Loop: Header=BB4_2140 Depth=3
	s_or_b32 exec_lo, exec_lo, s22
	s_and_b32 s16, s16, exec_lo
	s_or_saveexec_b32 s19, s19
	v_mov_b32_e32 v14, 0x7f800001
	s_xor_b32 exec_lo, exec_lo, s19
	s_cbranch_execnz .LBB4_2891
.LBB4_2704:                             ;   in Loop: Header=BB4_2140 Depth=3
	s_or_b32 exec_lo, exec_lo, s19
	s_and_saveexec_b32 s19, s16
	s_cbranch_execz .LBB4_2706
.LBB4_2705:                             ;   in Loop: Header=BB4_2140 Depth=3
	v_and_b32_e32 v14, 3, v15
	v_bfe_u32 v123, v15, 2, 5
	v_lshlrev_b32_e32 v124, 24, v15
	v_ffbh_u32_e32 v121, v14
	v_cmp_eq_u32_e32 vcc_lo, 0, v123
	v_min_u32_e32 v121, 32, v121
	v_subrev_nc_u32_e32 v122, 29, v121
	v_sub_nc_u32_e32 v121, 30, v121
	v_lshlrev_b32_e32 v122, v122, v15
	v_cndmask_b32_e32 v121, v123, v121, vcc_lo
	v_and_b32_e32 v122, 3, v122
	v_lshl_add_u32 v121, v121, 23, 0x37800000
	v_cndmask_b32_e32 v14, v14, v122, vcc_lo
	v_and_b32_e32 v122, 0x80000000, v124
	v_lshlrev_b32_e32 v14, 21, v14
	v_or3_b32 v14, v122, v121, v14
.LBB4_2706:                             ;   in Loop: Header=BB4_2140 Depth=3
	s_or_b32 exec_lo, exec_lo, s19
	v_cmp_gt_i16_sdwa s19, v11, v115 src0_sel:BYTE_0 src1_sel:DWORD
	s_mov_b32 s16, 0
	s_and_saveexec_b32 s22, s19
	s_xor_b32 s19, exec_lo, s22
	s_cbranch_execz .LBB4_2892
; %bb.2707:                             ;   in Loop: Header=BB4_2140 Depth=3
	v_cmp_eq_u16_sdwa s23, v11, v116 src0_sel:BYTE_0 src1_sel:DWORD
	s_mov_b32 s16, -1
	s_and_saveexec_b32 s22, s23
; %bb.2708:                             ;   in Loop: Header=BB4_2140 Depth=3
	s_xor_b32 s16, exec_lo, -1
; %bb.2709:                             ;   in Loop: Header=BB4_2140 Depth=3
	s_or_b32 exec_lo, exec_lo, s22
	s_and_b32 s16, s16, exec_lo
	s_or_saveexec_b32 s19, s19
	v_mov_b32_e32 v121, 0x7f800001
	s_xor_b32 exec_lo, exec_lo, s19
	s_cbranch_execnz .LBB4_2893
.LBB4_2710:                             ;   in Loop: Header=BB4_2140 Depth=3
	s_or_b32 exec_lo, exec_lo, s19
	s_and_saveexec_b32 s19, s16
	s_cbranch_execz .LBB4_2712
.LBB4_2711:                             ;   in Loop: Header=BB4_2140 Depth=3
	v_and_b32_e32 v121, 3, v11
	v_bfe_u32 v124, v11, 2, 5
	v_lshlrev_b32_e32 v125, 24, v11
	v_ffbh_u32_e32 v122, v121
	v_cmp_eq_u32_e32 vcc_lo, 0, v124
	v_min_u32_e32 v122, 32, v122
	v_subrev_nc_u32_e32 v123, 29, v122
	v_sub_nc_u32_e32 v122, 30, v122
	v_lshlrev_b32_e32 v123, v123, v11
	v_cndmask_b32_e32 v122, v124, v122, vcc_lo
	v_and_b32_e32 v123, 3, v123
	v_lshl_add_u32 v122, v122, 23, 0x37800000
	v_cndmask_b32_e32 v121, v121, v123, vcc_lo
	v_and_b32_e32 v123, 0x80000000, v125
	v_lshlrev_b32_e32 v121, 21, v121
	v_or3_b32 v121, v123, v122, v121
.LBB4_2712:                             ;   in Loop: Header=BB4_2140 Depth=3
	s_or_b32 exec_lo, exec_lo, s19
	v_mul_f32_e32 v121, v14, v121
	v_and_b32_e32 v14, 0x7f800000, v121
	v_cmp_ne_u32_e32 vcc_lo, 0x7f800000, v14
	v_mov_b32_e32 v14, 0x80
	s_and_saveexec_b32 s19, vcc_lo
	s_cbranch_execz .LBB4_2720
; %bb.2713:                             ;   in Loop: Header=BB4_2140 Depth=3
	v_mov_b32_e32 v14, 0
	s_mov_b32 s22, exec_lo
	v_cmpx_ne_u32_e32 0, v121
	s_cbranch_execz .LBB4_2719
; %bb.2714:                             ;   in Loop: Header=BB4_2140 Depth=3
	v_bfe_u32 v122, v121, 23, 8
	v_and_b32_e32 v14, 0x7fffff, v121
	v_cmp_gt_u32_e64 s16, 0x71, v122
	v_sub_nc_u32_e32 v123, 0x70, v122
	v_cmp_eq_u32_e32 vcc_lo, 0, v122
	v_or_b32_e32 v124, 0x800000, v14
	v_cndmask_b32_e64 v123, 0, v123, s16
	v_cndmask_b32_e32 v14, v124, v14, vcc_lo
	v_cndmask_b32_e64 v123, v123, 0x6f, vcc_lo
	v_lshl_add_u32 v124, 0x200000, v123, -1
	v_lshlrev_b32_e64 v125, v123, 0x100000
	v_and_b32_e32 v124, v124, v14
	v_cmp_eq_u32_e64 s16, v124, v125
	v_lshrrev_b32_e32 v124, v123, v14
	v_add_nc_u32_e32 v14, 0xffffff91, v122
	v_lshrrev_b32_e32 v122, 23, v124
	v_cndmask_b32_e64 v14, v14, 0xffffff92, vcc_lo
	v_xor_b32_e32 v122, 1, v122
	v_add_nc_u32_e32 v14, v123, v14
	v_bfe_u32 v123, v124, 21, 1
	v_add_nc_u32_e32 v123, -1, v123
	v_cndmask_b32_e64 v123, 0, v123, s16
	s_mov_b32 s16, exec_lo
	v_add_nc_u32_e32 v123, v123, v124
	v_and_b32_e32 v123, 0x1fffff, v123
	v_add_nc_u32_e32 v124, v123, v124
                                        ; implicit-def: $vgpr123
	v_cmpx_ne_u32_e64 v14, v122
	s_xor_b32 s16, exec_lo, s16
; %bb.2715:                             ;   in Loop: Header=BB4_2140 Depth=3
	v_cmp_lt_u32_e32 vcc_lo, 0xffffff, v124
	v_sub_nc_u32_e32 v14, v14, v122
	v_cndmask_b32_e64 v122, 0, 1, vcc_lo
	v_add_co_ci_u32_e64 v123, null, 0, v14, vcc_lo
	v_lshrrev_b32_e32 v124, v122, v124
; %bb.2716:                             ;   in Loop: Header=BB4_2140 Depth=3
	s_andn2_saveexec_b32 s16, s16
; %bb.2717:                             ;   in Loop: Header=BB4_2140 Depth=3
	v_bfe_u32 v123, v124, 23, 1
; %bb.2718:                             ;   in Loop: Header=BB4_2140 Depth=3
	s_or_b32 exec_lo, exec_lo, s16
	v_lshrrev_b32_e32 v14, 21, v124
	v_min_i32_e32 v122, 31, v123
	v_cmp_gt_i32_e32 vcc_lo, 32, v123
	v_and_b32_sdwa v121, v121, v116 dst_sel:DWORD dst_unused:UNUSED_PAD src0_sel:BYTE_3 src1_sel:DWORD
	v_lshlrev_b32_e32 v122, 2, v122
	v_cndmask_b32_e32 v14, 3, v14, vcc_lo
	v_and_b32_e32 v122, 0xfc, v122
	v_and_b32_e32 v124, 3, v14
	v_or_b32_e32 v14, v123, v14
	v_or3_b32 v121, v122, v121, v124
	v_cmp_ne_u32_e32 vcc_lo, 0, v14
	v_cndmask_b32_e32 v14, 0, v121, vcc_lo
.LBB4_2719:                             ;   in Loop: Header=BB4_2140 Depth=3
	s_or_b32 exec_lo, exec_lo, s22
.LBB4_2720:                             ;   in Loop: Header=BB4_2140 Depth=3
	s_or_b32 exec_lo, exec_lo, s19
	v_cmp_gt_i16_sdwa s19, v15, v115 src0_sel:BYTE_1 src1_sel:DWORD
	s_mov_b32 s16, 0
	s_and_saveexec_b32 s22, s19
	s_xor_b32 s19, exec_lo, s22
	s_cbranch_execz .LBB4_2894
; %bb.2721:                             ;   in Loop: Header=BB4_2140 Depth=3
	v_cmp_eq_u16_sdwa s23, v15, v116 src0_sel:BYTE_1 src1_sel:DWORD
	s_mov_b32 s16, -1
	s_and_saveexec_b32 s22, s23
; %bb.2722:                             ;   in Loop: Header=BB4_2140 Depth=3
	s_xor_b32 s16, exec_lo, -1
; %bb.2723:                             ;   in Loop: Header=BB4_2140 Depth=3
	s_or_b32 exec_lo, exec_lo, s22
	s_and_b32 s16, s16, exec_lo
	s_or_saveexec_b32 s19, s19
	v_mov_b32_e32 v121, 0x7f800001
	s_xor_b32 exec_lo, exec_lo, s19
	s_cbranch_execnz .LBB4_2895
.LBB4_2724:                             ;   in Loop: Header=BB4_2140 Depth=3
	s_or_b32 exec_lo, exec_lo, s19
	s_and_saveexec_b32 s19, s16
	s_cbranch_execz .LBB4_2726
.LBB4_2725:                             ;   in Loop: Header=BB4_2140 Depth=3
	v_and_b32_sdwa v121, v117, v15 dst_sel:DWORD dst_unused:UNUSED_PAD src0_sel:DWORD src1_sel:BYTE_1
	v_and_b32_e32 v122, 3, v121
	v_bfe_u32 v125, v121, 2, 5
	v_ffbh_u32_e32 v123, v122
	v_cmp_eq_u32_e32 vcc_lo, 0, v125
	v_min_u32_e32 v123, 32, v123
	v_subrev_nc_u32_e32 v124, 29, v123
	v_sub_nc_u32_e32 v123, 30, v123
	v_lshlrev_b32_e32 v121, v124, v121
	v_lshlrev_b32_sdwa v124, v118, v15 dst_sel:DWORD dst_unused:UNUSED_PAD src0_sel:DWORD src1_sel:BYTE_1
	v_cndmask_b32_e32 v123, v125, v123, vcc_lo
	v_and_b32_e32 v121, 3, v121
	v_lshl_add_u32 v123, v123, 23, 0x37800000
	v_cndmask_b32_e32 v121, v122, v121, vcc_lo
	v_and_b32_e32 v122, 0x80000000, v124
	v_lshlrev_b32_e32 v121, 21, v121
	v_or3_b32 v121, v122, v123, v121
.LBB4_2726:                             ;   in Loop: Header=BB4_2140 Depth=3
	s_or_b32 exec_lo, exec_lo, s19
	v_cmp_gt_i16_sdwa s19, v11, v115 src0_sel:BYTE_1 src1_sel:DWORD
	s_mov_b32 s16, 0
	s_and_saveexec_b32 s22, s19
	s_xor_b32 s19, exec_lo, s22
	s_cbranch_execz .LBB4_2896
; %bb.2727:                             ;   in Loop: Header=BB4_2140 Depth=3
	v_cmp_eq_u16_sdwa s23, v11, v116 src0_sel:BYTE_1 src1_sel:DWORD
	s_mov_b32 s16, -1
	s_and_saveexec_b32 s22, s23
; %bb.2728:                             ;   in Loop: Header=BB4_2140 Depth=3
	s_xor_b32 s16, exec_lo, -1
; %bb.2729:                             ;   in Loop: Header=BB4_2140 Depth=3
	s_or_b32 exec_lo, exec_lo, s22
	s_and_b32 s16, s16, exec_lo
	s_or_saveexec_b32 s19, s19
	v_mov_b32_e32 v122, 0x7f800001
	s_xor_b32 exec_lo, exec_lo, s19
	s_cbranch_execnz .LBB4_2897
.LBB4_2730:                             ;   in Loop: Header=BB4_2140 Depth=3
	s_or_b32 exec_lo, exec_lo, s19
	s_and_saveexec_b32 s19, s16
	s_cbranch_execz .LBB4_2732
.LBB4_2731:                             ;   in Loop: Header=BB4_2140 Depth=3
	v_and_b32_sdwa v122, v117, v11 dst_sel:DWORD dst_unused:UNUSED_PAD src0_sel:DWORD src1_sel:BYTE_1
	v_and_b32_e32 v123, 3, v122
	v_bfe_u32 v126, v122, 2, 5
	v_ffbh_u32_e32 v124, v123
	v_cmp_eq_u32_e32 vcc_lo, 0, v126
	v_min_u32_e32 v124, 32, v124
	v_subrev_nc_u32_e32 v125, 29, v124
	v_sub_nc_u32_e32 v124, 30, v124
	v_lshlrev_b32_e32 v122, v125, v122
	v_lshlrev_b32_sdwa v125, v118, v11 dst_sel:DWORD dst_unused:UNUSED_PAD src0_sel:DWORD src1_sel:BYTE_1
	v_cndmask_b32_e32 v124, v126, v124, vcc_lo
	v_and_b32_e32 v122, 3, v122
	v_lshl_add_u32 v124, v124, 23, 0x37800000
	v_cndmask_b32_e32 v122, v123, v122, vcc_lo
	v_and_b32_e32 v123, 0x80000000, v125
	v_lshlrev_b32_e32 v122, 21, v122
	v_or3_b32 v122, v123, v124, v122
.LBB4_2732:                             ;   in Loop: Header=BB4_2140 Depth=3
	s_or_b32 exec_lo, exec_lo, s19
	v_mul_f32_e32 v122, v121, v122
	v_and_b32_e32 v121, 0x7f800000, v122
	v_cmp_ne_u32_e32 vcc_lo, 0x7f800000, v121
	v_mov_b32_e32 v121, 0x8000
	s_and_saveexec_b32 s19, vcc_lo
	s_cbranch_execz .LBB4_2740
; %bb.2733:                             ;   in Loop: Header=BB4_2140 Depth=3
	v_mov_b32_e32 v121, 0
	s_mov_b32 s22, exec_lo
	v_cmpx_ne_u32_e32 0, v122
	s_cbranch_execz .LBB4_2739
; %bb.2734:                             ;   in Loop: Header=BB4_2140 Depth=3
	v_bfe_u32 v123, v122, 23, 8
	v_and_b32_e32 v121, 0x7fffff, v122
	v_cmp_gt_u32_e64 s16, 0x71, v123
	v_sub_nc_u32_e32 v124, 0x70, v123
	v_cmp_eq_u32_e32 vcc_lo, 0, v123
	v_or_b32_e32 v125, 0x800000, v121
	v_cndmask_b32_e64 v124, 0, v124, s16
	v_cndmask_b32_e32 v121, v125, v121, vcc_lo
	v_cndmask_b32_e64 v124, v124, 0x6f, vcc_lo
	v_lshl_add_u32 v125, 0x200000, v124, -1
	v_lshlrev_b32_e64 v126, v124, 0x100000
	v_and_b32_e32 v125, v125, v121
	v_cmp_eq_u32_e64 s16, v125, v126
	v_lshrrev_b32_e32 v125, v124, v121
	v_add_nc_u32_e32 v121, 0xffffff91, v123
	v_lshrrev_b32_e32 v123, 23, v125
	v_cndmask_b32_e64 v121, v121, 0xffffff92, vcc_lo
	v_xor_b32_e32 v123, 1, v123
	v_add_nc_u32_e32 v121, v124, v121
	v_bfe_u32 v124, v125, 21, 1
	v_add_nc_u32_e32 v124, -1, v124
	v_cndmask_b32_e64 v124, 0, v124, s16
	s_mov_b32 s16, exec_lo
	v_add_nc_u32_e32 v124, v124, v125
	v_and_b32_e32 v124, 0x1fffff, v124
	v_add_nc_u32_e32 v125, v124, v125
                                        ; implicit-def: $vgpr124
	v_cmpx_ne_u32_e64 v121, v123
	s_xor_b32 s16, exec_lo, s16
; %bb.2735:                             ;   in Loop: Header=BB4_2140 Depth=3
	v_cmp_lt_u32_e32 vcc_lo, 0xffffff, v125
	v_sub_nc_u32_e32 v121, v121, v123
	v_cndmask_b32_e64 v123, 0, 1, vcc_lo
	v_add_co_ci_u32_e64 v124, null, 0, v121, vcc_lo
	v_lshrrev_b32_e32 v125, v123, v125
; %bb.2736:                             ;   in Loop: Header=BB4_2140 Depth=3
	s_andn2_saveexec_b32 s16, s16
; %bb.2737:                             ;   in Loop: Header=BB4_2140 Depth=3
	v_bfe_u32 v124, v125, 23, 1
; %bb.2738:                             ;   in Loop: Header=BB4_2140 Depth=3
	s_or_b32 exec_lo, exec_lo, s16
	v_lshrrev_b32_e32 v121, 21, v125
	v_min_i32_e32 v123, 31, v124
	v_cmp_gt_i32_e32 vcc_lo, 32, v124
	v_and_b32_sdwa v122, v122, v116 dst_sel:DWORD dst_unused:UNUSED_PAD src0_sel:BYTE_3 src1_sel:DWORD
	v_lshlrev_b32_e32 v123, 2, v123
	v_cndmask_b32_e32 v121, 3, v121, vcc_lo
	v_and_b32_e32 v123, 0xfc, v123
	v_and_b32_e32 v125, 3, v121
	v_or_b32_e32 v121, v124, v121
	v_or3_b32 v122, v122, v123, v125
	v_cmp_ne_u32_e32 vcc_lo, 0, v121
	v_lshlrev_b32_e32 v122, 8, v122
	v_cndmask_b32_e32 v121, 0, v122, vcc_lo
.LBB4_2739:                             ;   in Loop: Header=BB4_2140 Depth=3
	s_or_b32 exec_lo, exec_lo, s22
.LBB4_2740:                             ;   in Loop: Header=BB4_2140 Depth=3
	s_or_b32 exec_lo, exec_lo, s19
	v_and_b32_sdwa v123, v15, v119 dst_sel:DWORD dst_unused:UNUSED_PAD src0_sel:WORD_1 src1_sel:DWORD
	s_mov_b32 s19, 0
	s_mov_b32 s16, exec_lo
	v_cmpx_lt_i16_e32 0x7f, v123
	s_xor_b32 s16, exec_lo, s16
	s_cbranch_execz .LBB4_2898
; %bb.2741:                             ;   in Loop: Header=BB4_2140 Depth=3
	s_mov_b32 s19, -1
	s_mov_b32 s22, exec_lo
	v_cmpx_eq_u16_e32 0x80, v123
; %bb.2742:                             ;   in Loop: Header=BB4_2140 Depth=3
	s_xor_b32 s19, exec_lo, -1
; %bb.2743:                             ;   in Loop: Header=BB4_2140 Depth=3
	s_or_b32 exec_lo, exec_lo, s22
	s_and_b32 s19, s19, exec_lo
                                        ; implicit-def: $vgpr123
	s_or_saveexec_b32 s16, s16
	v_mov_b32_e32 v122, 0x7f800001
	s_xor_b32 exec_lo, exec_lo, s16
	s_cbranch_execnz .LBB4_2899
.LBB4_2744:                             ;   in Loop: Header=BB4_2140 Depth=3
	s_or_b32 exec_lo, exec_lo, s16
	s_and_saveexec_b32 s16, s19
	s_cbranch_execz .LBB4_2746
.LBB4_2745:                             ;   in Loop: Header=BB4_2140 Depth=3
	v_bfe_u32 v122, v15, 16, 2
	v_bfe_u32 v123, v15, 18, 5
	v_ffbh_u32_e32 v124, v122
	v_cmp_eq_u32_e32 vcc_lo, 0, v123
	v_min_u32_e32 v124, 32, v124
	v_subrev_nc_u32_e32 v125, 29, v124
	v_sub_nc_u32_e32 v124, 30, v124
	v_lshlrev_b32_sdwa v125, v125, v15 dst_sel:DWORD dst_unused:UNUSED_PAD src0_sel:DWORD src1_sel:WORD_1
	v_cndmask_b32_e32 v123, v123, v124, vcc_lo
	v_lshlrev_b32_e32 v124, 8, v15
	v_and_b32_e32 v125, 3, v125
	v_lshl_add_u32 v123, v123, 23, 0x37800000
	v_and_b32_e32 v124, 0x80000000, v124
	v_cndmask_b32_e32 v122, v122, v125, vcc_lo
	v_lshlrev_b32_e32 v122, 21, v122
	v_or3_b32 v122, v124, v123, v122
.LBB4_2746:                             ;   in Loop: Header=BB4_2140 Depth=3
	s_or_b32 exec_lo, exec_lo, s16
	v_and_b32_sdwa v124, v11, v119 dst_sel:DWORD dst_unused:UNUSED_PAD src0_sel:WORD_1 src1_sel:DWORD
	s_mov_b32 s19, 0
	s_mov_b32 s16, exec_lo
	v_cmpx_lt_i16_e32 0x7f, v124
	s_xor_b32 s16, exec_lo, s16
	s_cbranch_execz .LBB4_2900
; %bb.2747:                             ;   in Loop: Header=BB4_2140 Depth=3
	s_mov_b32 s19, -1
	s_mov_b32 s22, exec_lo
	v_cmpx_eq_u16_e32 0x80, v124
; %bb.2748:                             ;   in Loop: Header=BB4_2140 Depth=3
	s_xor_b32 s19, exec_lo, -1
; %bb.2749:                             ;   in Loop: Header=BB4_2140 Depth=3
	s_or_b32 exec_lo, exec_lo, s22
	s_and_b32 s19, s19, exec_lo
                                        ; implicit-def: $vgpr124
	s_or_saveexec_b32 s16, s16
	v_mov_b32_e32 v123, 0x7f800001
	s_xor_b32 exec_lo, exec_lo, s16
	s_cbranch_execnz .LBB4_2901
.LBB4_2750:                             ;   in Loop: Header=BB4_2140 Depth=3
	s_or_b32 exec_lo, exec_lo, s16
	s_and_saveexec_b32 s16, s19
	s_cbranch_execz .LBB4_2752
.LBB4_2751:                             ;   in Loop: Header=BB4_2140 Depth=3
	v_bfe_u32 v123, v11, 16, 2
	v_bfe_u32 v124, v11, 18, 5
	v_ffbh_u32_e32 v125, v123
	v_cmp_eq_u32_e32 vcc_lo, 0, v124
	v_min_u32_e32 v125, 32, v125
	v_subrev_nc_u32_e32 v126, 29, v125
	v_sub_nc_u32_e32 v125, 30, v125
	v_lshlrev_b32_sdwa v126, v126, v11 dst_sel:DWORD dst_unused:UNUSED_PAD src0_sel:DWORD src1_sel:WORD_1
	v_cndmask_b32_e32 v124, v124, v125, vcc_lo
	v_lshlrev_b32_e32 v125, 8, v11
	v_and_b32_e32 v126, 3, v126
	v_lshl_add_u32 v124, v124, 23, 0x37800000
	v_and_b32_e32 v125, 0x80000000, v125
	v_cndmask_b32_e32 v123, v123, v126, vcc_lo
	v_lshlrev_b32_e32 v123, 21, v123
	v_or3_b32 v123, v125, v124, v123
.LBB4_2752:                             ;   in Loop: Header=BB4_2140 Depth=3
	s_or_b32 exec_lo, exec_lo, s16
	v_mul_f32_e32 v123, v122, v123
	v_and_b32_e32 v122, 0x7f800000, v123
	v_cmp_ne_u32_e32 vcc_lo, 0x7f800000, v122
	v_mov_b32_e32 v122, 0x80
	s_and_saveexec_b32 s19, vcc_lo
	s_cbranch_execz .LBB4_2760
; %bb.2753:                             ;   in Loop: Header=BB4_2140 Depth=3
	v_mov_b32_e32 v122, 0
	s_mov_b32 s22, exec_lo
	v_cmpx_ne_u32_e32 0, v123
	s_cbranch_execz .LBB4_2759
; %bb.2754:                             ;   in Loop: Header=BB4_2140 Depth=3
	v_bfe_u32 v124, v123, 23, 8
	v_and_b32_e32 v122, 0x7fffff, v123
	v_cmp_gt_u32_e64 s16, 0x71, v124
	v_sub_nc_u32_e32 v125, 0x70, v124
	v_cmp_eq_u32_e32 vcc_lo, 0, v124
	v_or_b32_e32 v126, 0x800000, v122
	v_add_nc_u32_e32 v27, 0xffffff91, v124
	v_cndmask_b32_e64 v125, 0, v125, s16
	v_cndmask_b32_e32 v122, v126, v122, vcc_lo
	v_cndmask_b32_e64 v27, v27, 0xffffff92, vcc_lo
	v_cndmask_b32_e64 v125, v125, 0x6f, vcc_lo
	v_lshl_add_u32 v126, 0x200000, v125, -1
	v_lshlrev_b32_e64 v26, v125, 0x100000
	v_and_b32_e32 v126, v126, v122
	v_cmp_eq_u32_e64 s16, v126, v26
	v_lshrrev_b32_e32 v26, v125, v122
	v_add_nc_u32_e32 v122, v125, v27
                                        ; implicit-def: $vgpr126
	v_lshrrev_b32_e32 v27, 23, v26
	v_xor_b32_e32 v124, 1, v27
	v_bfe_u32 v27, v26, 21, 1
	v_add_nc_u32_e32 v27, -1, v27
	v_cndmask_b32_e64 v27, 0, v27, s16
	s_mov_b32 s16, exec_lo
	v_add_nc_u32_e32 v27, v27, v26
	v_and_b32_e32 v27, 0x1fffff, v27
	v_add_nc_u32_e32 v125, v27, v26
	v_cmpx_ne_u32_e64 v122, v124
	s_xor_b32 s16, exec_lo, s16
; %bb.2755:                             ;   in Loop: Header=BB4_2140 Depth=3
	v_cmp_lt_u32_e32 vcc_lo, 0xffffff, v125
	v_sub_nc_u32_e32 v26, v122, v124
	v_cndmask_b32_e64 v27, 0, 1, vcc_lo
	v_add_co_ci_u32_e64 v126, null, 0, v26, vcc_lo
	v_lshrrev_b32_e32 v125, v27, v125
; %bb.2756:                             ;   in Loop: Header=BB4_2140 Depth=3
	s_andn2_saveexec_b32 s16, s16
; %bb.2757:                             ;   in Loop: Header=BB4_2140 Depth=3
	v_bfe_u32 v126, v125, 23, 1
; %bb.2758:                             ;   in Loop: Header=BB4_2140 Depth=3
	s_or_b32 exec_lo, exec_lo, s16
	v_lshrrev_b32_e32 v27, 21, v125
	v_min_i32_e32 v122, 31, v126
	v_cmp_gt_i32_e32 vcc_lo, 32, v126
	v_and_b32_sdwa v26, v123, v116 dst_sel:DWORD dst_unused:UNUSED_PAD src0_sel:BYTE_3 src1_sel:DWORD
	v_lshlrev_b32_e32 v122, 2, v122
	v_cndmask_b32_e32 v27, 3, v27, vcc_lo
	v_and_b32_e32 v122, 0xfc, v122
	v_or_b32_e32 v123, v126, v27
	v_and_b32_e32 v27, 3, v27
	v_cmp_ne_u32_e32 vcc_lo, 0, v123
	v_or3_b32 v26, v122, v26, v27
	v_cndmask_b32_e32 v122, 0, v26, vcc_lo
.LBB4_2759:                             ;   in Loop: Header=BB4_2140 Depth=3
	s_or_b32 exec_lo, exec_lo, s22
.LBB4_2760:                             ;   in Loop: Header=BB4_2140 Depth=3
	s_or_b32 exec_lo, exec_lo, s19
	v_cmp_gt_i16_sdwa s19, v15, v115 src0_sel:BYTE_3 src1_sel:DWORD
	s_mov_b32 s16, 0
	s_and_saveexec_b32 s22, s19
	s_xor_b32 s19, exec_lo, s22
	s_cbranch_execz .LBB4_2902
; %bb.2761:                             ;   in Loop: Header=BB4_2140 Depth=3
	v_cmp_eq_u16_sdwa s23, v15, v116 src0_sel:BYTE_3 src1_sel:DWORD
	s_mov_b32 s16, -1
	s_and_saveexec_b32 s22, s23
; %bb.2762:                             ;   in Loop: Header=BB4_2140 Depth=3
	s_xor_b32 s16, exec_lo, -1
; %bb.2763:                             ;   in Loop: Header=BB4_2140 Depth=3
	s_or_b32 exec_lo, exec_lo, s22
	s_and_b32 s16, s16, exec_lo
	s_or_saveexec_b32 s19, s19
	v_mov_b32_e32 v123, 0x7f800001
	s_xor_b32 exec_lo, exec_lo, s19
	s_cbranch_execnz .LBB4_2903
.LBB4_2764:                             ;   in Loop: Header=BB4_2140 Depth=3
	s_or_b32 exec_lo, exec_lo, s19
	s_and_saveexec_b32 s19, s16
	s_cbranch_execz .LBB4_2766
.LBB4_2765:                             ;   in Loop: Header=BB4_2140 Depth=3
	v_bfe_u32 v26, v15, 24, 2
	v_bfe_u32 v124, v15, 26, 5
	v_ffbh_u32_e32 v27, v26
	v_cmp_eq_u32_e32 vcc_lo, 0, v124
	v_min_u32_e32 v27, 32, v27
	v_subrev_nc_u32_e32 v123, 29, v27
	v_sub_nc_u32_e32 v27, 30, v27
	v_lshlrev_b32_sdwa v123, v123, v15 dst_sel:DWORD dst_unused:UNUSED_PAD src0_sel:DWORD src1_sel:BYTE_3
	v_cndmask_b32_e32 v27, v124, v27, vcc_lo
	v_and_b32_e32 v15, 0x80000000, v15
	v_and_b32_e32 v123, 3, v123
	v_lshl_add_u32 v27, v27, 23, 0x37800000
	v_cndmask_b32_e32 v26, v26, v123, vcc_lo
	v_lshlrev_b32_e32 v26, 21, v26
	v_or3_b32 v123, v15, v27, v26
.LBB4_2766:                             ;   in Loop: Header=BB4_2140 Depth=3
	s_or_b32 exec_lo, exec_lo, s19
	v_cmp_gt_i16_sdwa s19, v11, v115 src0_sel:BYTE_3 src1_sel:DWORD
	s_mov_b32 s16, 0
	s_and_saveexec_b32 s22, s19
	s_xor_b32 s19, exec_lo, s22
	s_cbranch_execz .LBB4_2904
; %bb.2767:                             ;   in Loop: Header=BB4_2140 Depth=3
	v_cmp_eq_u16_sdwa s23, v11, v116 src0_sel:BYTE_3 src1_sel:DWORD
	s_mov_b32 s16, -1
	s_and_saveexec_b32 s22, s23
; %bb.2768:                             ;   in Loop: Header=BB4_2140 Depth=3
	s_xor_b32 s16, exec_lo, -1
; %bb.2769:                             ;   in Loop: Header=BB4_2140 Depth=3
	s_or_b32 exec_lo, exec_lo, s22
	s_and_b32 s16, s16, exec_lo
	s_or_saveexec_b32 s19, s19
	v_mov_b32_e32 v15, 0x7f800001
	s_xor_b32 exec_lo, exec_lo, s19
	s_cbranch_execnz .LBB4_2905
.LBB4_2770:                             ;   in Loop: Header=BB4_2140 Depth=3
	s_or_b32 exec_lo, exec_lo, s19
	s_and_saveexec_b32 s19, s16
	s_cbranch_execz .LBB4_2772
.LBB4_2771:                             ;   in Loop: Header=BB4_2140 Depth=3
	v_bfe_u32 v15, v11, 24, 2
	v_bfe_u32 v124, v11, 26, 5
	v_ffbh_u32_e32 v26, v15
	v_cmp_eq_u32_e32 vcc_lo, 0, v124
	v_min_u32_e32 v26, 32, v26
	v_subrev_nc_u32_e32 v27, 29, v26
	v_sub_nc_u32_e32 v26, 30, v26
	v_lshlrev_b32_sdwa v27, v27, v11 dst_sel:DWORD dst_unused:UNUSED_PAD src0_sel:DWORD src1_sel:BYTE_3
	v_cndmask_b32_e32 v26, v124, v26, vcc_lo
	v_and_b32_e32 v11, 0x80000000, v11
	v_and_b32_e32 v27, 3, v27
	v_lshl_add_u32 v26, v26, 23, 0x37800000
	v_cndmask_b32_e32 v15, v15, v27, vcc_lo
	v_lshlrev_b32_e32 v15, 21, v15
	v_or3_b32 v15, v11, v26, v15
.LBB4_2772:                             ;   in Loop: Header=BB4_2140 Depth=3
	s_or_b32 exec_lo, exec_lo, s19
	v_mul_f32_e32 v11, v123, v15
	v_and_b32_e32 v15, 0x7f800000, v11
	v_cmp_ne_u32_e32 vcc_lo, 0x7f800000, v15
	v_mov_b32_e32 v15, 0x8000
	s_and_saveexec_b32 s19, vcc_lo
	s_cbranch_execz .LBB4_2139
; %bb.2773:                             ;   in Loop: Header=BB4_2140 Depth=3
	v_mov_b32_e32 v15, 0
	s_mov_b32 s22, exec_lo
	v_cmpx_ne_u32_e32 0, v11
	s_cbranch_execz .LBB4_2138
; %bb.2774:                             ;   in Loop: Header=BB4_2140 Depth=3
	v_bfe_u32 v26, v11, 23, 8
	v_and_b32_e32 v15, 0x7fffff, v11
	v_cmp_gt_u32_e64 s16, 0x71, v26
	v_sub_nc_u32_e32 v27, 0x70, v26
	v_cmp_eq_u32_e32 vcc_lo, 0, v26
	v_or_b32_e32 v123, 0x800000, v15
	v_cndmask_b32_e64 v27, 0, v27, s16
	v_cndmask_b32_e32 v15, v123, v15, vcc_lo
	v_cndmask_b32_e64 v27, v27, 0x6f, vcc_lo
	v_lshl_add_u32 v123, 0x200000, v27, -1
	v_lshlrev_b32_e64 v124, v27, 0x100000
	v_and_b32_e32 v123, v123, v15
	v_cmp_eq_u32_e64 s16, v123, v124
	v_lshrrev_b32_e32 v124, v27, v15
	v_add_nc_u32_e32 v15, 0xffffff91, v26
	v_lshrrev_b32_e32 v26, 23, v124
	v_cndmask_b32_e64 v15, v15, 0xffffff92, vcc_lo
	v_xor_b32_e32 v123, 1, v26
	v_bfe_u32 v26, v124, 21, 1
	v_add_nc_u32_e32 v15, v27, v15
	v_add_nc_u32_e32 v26, -1, v26
	v_cndmask_b32_e64 v26, 0, v26, s16
	s_mov_b32 s16, exec_lo
	v_add_nc_u32_e32 v26, v26, v124
	v_and_b32_e32 v26, 0x1fffff, v26
	v_add_nc_u32_e32 v125, v26, v124
                                        ; implicit-def: $vgpr124
	v_cmpx_ne_u32_e64 v15, v123
	s_xor_b32 s16, exec_lo, s16
; %bb.2775:                             ;   in Loop: Header=BB4_2140 Depth=3
	v_cmp_lt_u32_e32 vcc_lo, 0xffffff, v125
	v_sub_nc_u32_e32 v15, v15, v123
	v_cndmask_b32_e64 v26, 0, 1, vcc_lo
	v_add_co_ci_u32_e64 v124, null, 0, v15, vcc_lo
	v_lshrrev_b32_e32 v125, v26, v125
; %bb.2776:                             ;   in Loop: Header=BB4_2140 Depth=3
	s_andn2_saveexec_b32 s16, s16
	s_cbranch_execz .LBB4_2137
; %bb.2777:                             ;   in Loop: Header=BB4_2140 Depth=3
	v_bfe_u32 v124, v125, 23, 1
	s_branch .LBB4_2137
.LBB4_2778:                             ;   in Loop: Header=BB4_2140 Depth=3
	s_or_saveexec_b32 s19, s19
	v_mov_b32_e32 v90, 0x7f800001
	s_xor_b32 exec_lo, exec_lo, s19
	s_cbranch_execz .LBB4_2144
.LBB4_2779:                             ;   in Loop: Header=BB4_2140 Depth=3
	v_cmp_ne_u16_sdwa s22, v20, v2 src0_sel:BYTE_0 src1_sel:DWORD
	v_mov_b32_e32 v90, 0
	s_andn2_b32 s16, s16, exec_lo
	s_and_b32 s22, s22, exec_lo
	s_or_b32 s16, s16, s22
	s_or_b32 exec_lo, exec_lo, s19
	s_and_saveexec_b32 s19, s16
	s_cbranch_execnz .LBB4_2145
	s_branch .LBB4_2146
.LBB4_2780:                             ;   in Loop: Header=BB4_2140 Depth=3
	s_or_saveexec_b32 s19, s19
	v_mov_b32_e32 v91, 0x7f800001
	s_xor_b32 exec_lo, exec_lo, s19
	s_cbranch_execz .LBB4_2150
.LBB4_2781:                             ;   in Loop: Header=BB4_2140 Depth=3
	v_cmp_ne_u16_sdwa s22, v16, v2 src0_sel:BYTE_0 src1_sel:DWORD
	v_mov_b32_e32 v91, 0
	s_andn2_b32 s16, s16, exec_lo
	s_and_b32 s22, s22, exec_lo
	s_or_b32 s16, s16, s22
	s_or_b32 exec_lo, exec_lo, s19
	s_and_saveexec_b32 s19, s16
	s_cbranch_execnz .LBB4_2151
	s_branch .LBB4_2152
.LBB4_2782:                             ;   in Loop: Header=BB4_2140 Depth=3
	s_or_saveexec_b32 s19, s19
	v_mov_b32_e32 v91, 0x7f800001
	s_xor_b32 exec_lo, exec_lo, s19
	s_cbranch_execz .LBB4_2164
.LBB4_2783:                             ;   in Loop: Header=BB4_2140 Depth=3
	v_cmp_ne_u16_sdwa s22, v20, v2 src0_sel:BYTE_1 src1_sel:DWORD
	v_mov_b32_e32 v91, 0
	s_andn2_b32 s16, s16, exec_lo
	s_and_b32 s22, s22, exec_lo
	s_or_b32 s16, s16, s22
	s_or_b32 exec_lo, exec_lo, s19
	s_and_saveexec_b32 s19, s16
	s_cbranch_execnz .LBB4_2165
	s_branch .LBB4_2166
.LBB4_2784:                             ;   in Loop: Header=BB4_2140 Depth=3
	s_or_saveexec_b32 s19, s19
	v_mov_b32_e32 v92, 0x7f800001
	s_xor_b32 exec_lo, exec_lo, s19
	s_cbranch_execz .LBB4_2170
.LBB4_2785:                             ;   in Loop: Header=BB4_2140 Depth=3
	v_cmp_ne_u16_sdwa s22, v16, v2 src0_sel:BYTE_1 src1_sel:DWORD
	v_mov_b32_e32 v92, 0
	s_andn2_b32 s16, s16, exec_lo
	s_and_b32 s22, s22, exec_lo
	s_or_b32 s16, s16, s22
	s_or_b32 exec_lo, exec_lo, s19
	s_and_saveexec_b32 s19, s16
	s_cbranch_execnz .LBB4_2171
	s_branch .LBB4_2172
.LBB4_2786:                             ;   in Loop: Header=BB4_2140 Depth=3
	s_or_saveexec_b32 s19, s19
	v_mov_b32_e32 v92, 0x7f800001
	s_xor_b32 exec_lo, exec_lo, s19
	s_cbranch_execz .LBB4_2184
.LBB4_2787:                             ;   in Loop: Header=BB4_2140 Depth=3
	v_cmp_ne_u16_e32 vcc_lo, 0, v93
	v_mov_b32_e32 v92, 0
	s_andn2_b32 s16, s16, exec_lo
	s_and_b32 s22, vcc_lo, exec_lo
	s_or_b32 s16, s16, s22
	s_or_b32 exec_lo, exec_lo, s19
	s_and_saveexec_b32 s19, s16
	s_cbranch_execnz .LBB4_2185
	s_branch .LBB4_2186
.LBB4_2788:                             ;   in Loop: Header=BB4_2140 Depth=3
	s_or_saveexec_b32 s19, s19
	v_mov_b32_e32 v93, 0x7f800001
	s_xor_b32 exec_lo, exec_lo, s19
	s_cbranch_execz .LBB4_2190
.LBB4_2789:                             ;   in Loop: Header=BB4_2140 Depth=3
	v_cmp_ne_u16_e32 vcc_lo, 0, v94
	v_mov_b32_e32 v93, 0
	s_andn2_b32 s16, s16, exec_lo
	s_and_b32 s22, vcc_lo, exec_lo
	s_or_b32 s16, s16, s22
	s_or_b32 exec_lo, exec_lo, s19
	s_and_saveexec_b32 s19, s16
	s_cbranch_execnz .LBB4_2191
	s_branch .LBB4_2192
.LBB4_2790:                             ;   in Loop: Header=BB4_2140 Depth=3
	s_or_saveexec_b32 s19, s19
	v_mov_b32_e32 v93, 0x7f800001
	s_xor_b32 exec_lo, exec_lo, s19
	s_cbranch_execz .LBB4_2204
.LBB4_2791:                             ;   in Loop: Header=BB4_2140 Depth=3
	v_cmp_ne_u16_sdwa s22, v20, v2 src0_sel:BYTE_3 src1_sel:DWORD
	v_mov_b32_e32 v93, 0
	s_andn2_b32 s16, s16, exec_lo
	s_and_b32 s22, s22, exec_lo
	s_or_b32 s16, s16, s22
	s_or_b32 exec_lo, exec_lo, s19
	s_and_saveexec_b32 s19, s16
	s_cbranch_execnz .LBB4_2205
	s_branch .LBB4_2206
.LBB4_2792:                             ;   in Loop: Header=BB4_2140 Depth=3
	s_or_saveexec_b32 s19, s19
	v_mov_b32_e32 v20, 0x7f800001
	s_xor_b32 exec_lo, exec_lo, s19
	s_cbranch_execz .LBB4_2210
.LBB4_2793:                             ;   in Loop: Header=BB4_2140 Depth=3
	v_cmp_ne_u16_sdwa s22, v16, v2 src0_sel:BYTE_3 src1_sel:DWORD
	v_mov_b32_e32 v20, 0
	s_andn2_b32 s16, s16, exec_lo
	s_and_b32 s22, s22, exec_lo
	s_or_b32 s16, s16, s22
	s_or_b32 exec_lo, exec_lo, s19
	s_and_saveexec_b32 s19, s16
	s_cbranch_execnz .LBB4_2211
	s_branch .LBB4_2212
.LBB4_2794:                             ;   in Loop: Header=BB4_2140 Depth=3
	s_or_saveexec_b32 s19, s19
	v_mov_b32_e32 v20, 0x7f800001
	s_xor_b32 exec_lo, exec_lo, s19
	s_cbranch_execz .LBB4_2224
.LBB4_2795:                             ;   in Loop: Header=BB4_2140 Depth=3
	v_cmp_ne_u16_sdwa s22, v21, v2 src0_sel:BYTE_0 src1_sel:DWORD
	v_mov_b32_e32 v20, 0
	s_andn2_b32 s16, s16, exec_lo
	s_and_b32 s22, s22, exec_lo
	s_or_b32 s16, s16, s22
	s_or_b32 exec_lo, exec_lo, s19
	s_and_saveexec_b32 s19, s16
	s_cbranch_execnz .LBB4_2225
	s_branch .LBB4_2226
.LBB4_2796:                             ;   in Loop: Header=BB4_2140 Depth=3
	s_or_saveexec_b32 s19, s19
	v_mov_b32_e32 v93, 0x7f800001
	s_xor_b32 exec_lo, exec_lo, s19
	s_cbranch_execz .LBB4_2230
.LBB4_2797:                             ;   in Loop: Header=BB4_2140 Depth=3
	v_cmp_ne_u16_sdwa s22, v17, v2 src0_sel:BYTE_0 src1_sel:DWORD
	v_mov_b32_e32 v93, 0
	s_andn2_b32 s16, s16, exec_lo
	s_and_b32 s22, s22, exec_lo
	s_or_b32 s16, s16, s22
	s_or_b32 exec_lo, exec_lo, s19
	s_and_saveexec_b32 s19, s16
	s_cbranch_execnz .LBB4_2231
	s_branch .LBB4_2232
.LBB4_2798:                             ;   in Loop: Header=BB4_2140 Depth=3
	s_or_saveexec_b32 s19, s19
	v_mov_b32_e32 v93, 0x7f800001
	s_xor_b32 exec_lo, exec_lo, s19
	s_cbranch_execz .LBB4_2244
.LBB4_2799:                             ;   in Loop: Header=BB4_2140 Depth=3
	v_cmp_ne_u16_sdwa s22, v21, v2 src0_sel:BYTE_1 src1_sel:DWORD
	v_mov_b32_e32 v93, 0
	s_andn2_b32 s16, s16, exec_lo
	s_and_b32 s22, s22, exec_lo
	s_or_b32 s16, s16, s22
	s_or_b32 exec_lo, exec_lo, s19
	s_and_saveexec_b32 s19, s16
	s_cbranch_execnz .LBB4_2245
	s_branch .LBB4_2246
.LBB4_2800:                             ;   in Loop: Header=BB4_2140 Depth=3
	s_or_saveexec_b32 s19, s19
	v_mov_b32_e32 v94, 0x7f800001
	s_xor_b32 exec_lo, exec_lo, s19
	s_cbranch_execz .LBB4_2250
.LBB4_2801:                             ;   in Loop: Header=BB4_2140 Depth=3
	v_cmp_ne_u16_sdwa s22, v17, v2 src0_sel:BYTE_1 src1_sel:DWORD
	v_mov_b32_e32 v94, 0
	s_andn2_b32 s16, s16, exec_lo
	s_and_b32 s22, s22, exec_lo
	s_or_b32 s16, s16, s22
	s_or_b32 exec_lo, exec_lo, s19
	s_and_saveexec_b32 s19, s16
	s_cbranch_execnz .LBB4_2251
	s_branch .LBB4_2252
.LBB4_2802:                             ;   in Loop: Header=BB4_2140 Depth=3
	s_or_saveexec_b32 s19, s19
	v_mov_b32_e32 v94, 0x7f800001
	s_xor_b32 exec_lo, exec_lo, s19
	s_cbranch_execz .LBB4_2264
.LBB4_2803:                             ;   in Loop: Header=BB4_2140 Depth=3
	v_cmp_ne_u16_e32 vcc_lo, 0, v95
	v_mov_b32_e32 v94, 0
	s_andn2_b32 s16, s16, exec_lo
	s_and_b32 s22, vcc_lo, exec_lo
	s_or_b32 s16, s16, s22
	s_or_b32 exec_lo, exec_lo, s19
	s_and_saveexec_b32 s19, s16
	s_cbranch_execnz .LBB4_2265
	s_branch .LBB4_2266
.LBB4_2804:                             ;   in Loop: Header=BB4_2140 Depth=3
	s_or_saveexec_b32 s19, s19
	v_mov_b32_e32 v95, 0x7f800001
	s_xor_b32 exec_lo, exec_lo, s19
	s_cbranch_execz .LBB4_2270
.LBB4_2805:                             ;   in Loop: Header=BB4_2140 Depth=3
	v_cmp_ne_u16_e32 vcc_lo, 0, v104
	v_mov_b32_e32 v95, 0
	s_andn2_b32 s16, s16, exec_lo
	s_and_b32 s22, vcc_lo, exec_lo
	s_or_b32 s16, s16, s22
	s_or_b32 exec_lo, exec_lo, s19
	s_and_saveexec_b32 s19, s16
	s_cbranch_execnz .LBB4_2271
	s_branch .LBB4_2272
.LBB4_2806:                             ;   in Loop: Header=BB4_2140 Depth=3
	s_or_saveexec_b32 s19, s19
	v_mov_b32_e32 v95, 0x7f800001
	s_xor_b32 exec_lo, exec_lo, s19
	s_cbranch_execz .LBB4_2284
.LBB4_2807:                             ;   in Loop: Header=BB4_2140 Depth=3
	v_cmp_ne_u16_sdwa s22, v21, v2 src0_sel:BYTE_3 src1_sel:DWORD
	v_mov_b32_e32 v95, 0
	s_andn2_b32 s16, s16, exec_lo
	s_and_b32 s22, s22, exec_lo
	s_or_b32 s16, s16, s22
	s_or_b32 exec_lo, exec_lo, s19
	s_and_saveexec_b32 s19, s16
	s_cbranch_execnz .LBB4_2285
	s_branch .LBB4_2286
.LBB4_2808:                             ;   in Loop: Header=BB4_2140 Depth=3
	s_or_saveexec_b32 s19, s19
	v_mov_b32_e32 v21, 0x7f800001
	s_xor_b32 exec_lo, exec_lo, s19
	s_cbranch_execz .LBB4_2290
.LBB4_2809:                             ;   in Loop: Header=BB4_2140 Depth=3
	v_cmp_ne_u16_sdwa s22, v17, v2 src0_sel:BYTE_3 src1_sel:DWORD
	v_mov_b32_e32 v21, 0
	s_andn2_b32 s16, s16, exec_lo
	s_and_b32 s22, s22, exec_lo
	s_or_b32 s16, s16, s22
	s_or_b32 exec_lo, exec_lo, s19
	s_and_saveexec_b32 s19, s16
	s_cbranch_execnz .LBB4_2291
	s_branch .LBB4_2292
.LBB4_2810:                             ;   in Loop: Header=BB4_2140 Depth=3
	s_or_saveexec_b32 s19, s19
	v_mov_b32_e32 v21, 0x7f800001
	s_xor_b32 exec_lo, exec_lo, s19
	s_cbranch_execz .LBB4_2304
.LBB4_2811:                             ;   in Loop: Header=BB4_2140 Depth=3
	v_cmp_ne_u16_sdwa s22, v22, v2 src0_sel:BYTE_0 src1_sel:DWORD
	v_mov_b32_e32 v21, 0
	s_andn2_b32 s16, s16, exec_lo
	s_and_b32 s22, s22, exec_lo
	s_or_b32 s16, s16, s22
	s_or_b32 exec_lo, exec_lo, s19
	s_and_saveexec_b32 s19, s16
	s_cbranch_execnz .LBB4_2305
	s_branch .LBB4_2306
.LBB4_2812:                             ;   in Loop: Header=BB4_2140 Depth=3
	s_or_saveexec_b32 s19, s19
	v_mov_b32_e32 v95, 0x7f800001
	s_xor_b32 exec_lo, exec_lo, s19
	s_cbranch_execz .LBB4_2310
.LBB4_2813:                             ;   in Loop: Header=BB4_2140 Depth=3
	v_cmp_ne_u16_sdwa s22, v18, v2 src0_sel:BYTE_0 src1_sel:DWORD
	v_mov_b32_e32 v95, 0
	s_andn2_b32 s16, s16, exec_lo
	s_and_b32 s22, s22, exec_lo
	s_or_b32 s16, s16, s22
	s_or_b32 exec_lo, exec_lo, s19
	s_and_saveexec_b32 s19, s16
	s_cbranch_execnz .LBB4_2311
	s_branch .LBB4_2312
.LBB4_2814:                             ;   in Loop: Header=BB4_2140 Depth=3
	s_or_saveexec_b32 s19, s19
	v_mov_b32_e32 v95, 0x7f800001
	s_xor_b32 exec_lo, exec_lo, s19
	s_cbranch_execz .LBB4_2324
.LBB4_2815:                             ;   in Loop: Header=BB4_2140 Depth=3
	v_cmp_ne_u16_sdwa s22, v22, v2 src0_sel:BYTE_1 src1_sel:DWORD
	v_mov_b32_e32 v95, 0
	s_andn2_b32 s16, s16, exec_lo
	s_and_b32 s22, s22, exec_lo
	s_or_b32 s16, s16, s22
	s_or_b32 exec_lo, exec_lo, s19
	s_and_saveexec_b32 s19, s16
	s_cbranch_execnz .LBB4_2325
	s_branch .LBB4_2326
.LBB4_2816:                             ;   in Loop: Header=BB4_2140 Depth=3
	s_or_saveexec_b32 s19, s19
	v_mov_b32_e32 v104, 0x7f800001
	s_xor_b32 exec_lo, exec_lo, s19
	s_cbranch_execz .LBB4_2330
.LBB4_2817:                             ;   in Loop: Header=BB4_2140 Depth=3
	v_cmp_ne_u16_sdwa s22, v18, v2 src0_sel:BYTE_1 src1_sel:DWORD
	v_mov_b32_e32 v104, 0
	s_andn2_b32 s16, s16, exec_lo
	s_and_b32 s22, s22, exec_lo
	s_or_b32 s16, s16, s22
	s_or_b32 exec_lo, exec_lo, s19
	s_and_saveexec_b32 s19, s16
	s_cbranch_execnz .LBB4_2331
	s_branch .LBB4_2332
.LBB4_2818:                             ;   in Loop: Header=BB4_2140 Depth=3
	s_or_saveexec_b32 s19, s19
	v_mov_b32_e32 v104, 0x7f800001
	s_xor_b32 exec_lo, exec_lo, s19
	s_cbranch_execz .LBB4_2344
.LBB4_2819:                             ;   in Loop: Header=BB4_2140 Depth=3
	v_cmp_ne_u16_e32 vcc_lo, 0, v105
	v_mov_b32_e32 v104, 0
	s_andn2_b32 s16, s16, exec_lo
	s_and_b32 s22, vcc_lo, exec_lo
	s_or_b32 s16, s16, s22
	s_or_b32 exec_lo, exec_lo, s19
	s_and_saveexec_b32 s19, s16
	s_cbranch_execnz .LBB4_2345
	s_branch .LBB4_2346
.LBB4_2820:                             ;   in Loop: Header=BB4_2140 Depth=3
	s_or_saveexec_b32 s19, s19
	v_mov_b32_e32 v105, 0x7f800001
	s_xor_b32 exec_lo, exec_lo, s19
	s_cbranch_execz .LBB4_2350
.LBB4_2821:                             ;   in Loop: Header=BB4_2140 Depth=3
	v_cmp_ne_u16_e32 vcc_lo, 0, v106
	v_mov_b32_e32 v105, 0
	s_andn2_b32 s16, s16, exec_lo
	s_and_b32 s22, vcc_lo, exec_lo
	s_or_b32 s16, s16, s22
	s_or_b32 exec_lo, exec_lo, s19
	s_and_saveexec_b32 s19, s16
	s_cbranch_execnz .LBB4_2351
	s_branch .LBB4_2352
.LBB4_2822:                             ;   in Loop: Header=BB4_2140 Depth=3
	s_or_saveexec_b32 s19, s19
	v_mov_b32_e32 v105, 0x7f800001
	s_xor_b32 exec_lo, exec_lo, s19
	s_cbranch_execz .LBB4_2364
.LBB4_2823:                             ;   in Loop: Header=BB4_2140 Depth=3
	v_cmp_ne_u16_sdwa s22, v22, v2 src0_sel:BYTE_3 src1_sel:DWORD
	v_mov_b32_e32 v105, 0
	s_andn2_b32 s16, s16, exec_lo
	s_and_b32 s22, s22, exec_lo
	s_or_b32 s16, s16, s22
	s_or_b32 exec_lo, exec_lo, s19
	s_and_saveexec_b32 s19, s16
	s_cbranch_execnz .LBB4_2365
	s_branch .LBB4_2366
.LBB4_2824:                             ;   in Loop: Header=BB4_2140 Depth=3
	s_or_saveexec_b32 s19, s19
	v_mov_b32_e32 v22, 0x7f800001
	s_xor_b32 exec_lo, exec_lo, s19
	s_cbranch_execz .LBB4_2370
.LBB4_2825:                             ;   in Loop: Header=BB4_2140 Depth=3
	v_cmp_ne_u16_sdwa s22, v18, v2 src0_sel:BYTE_3 src1_sel:DWORD
	v_mov_b32_e32 v22, 0
	s_andn2_b32 s16, s16, exec_lo
	s_and_b32 s22, s22, exec_lo
	s_or_b32 s16, s16, s22
	s_or_b32 exec_lo, exec_lo, s19
	s_and_saveexec_b32 s19, s16
	s_cbranch_execnz .LBB4_2371
	s_branch .LBB4_2372
.LBB4_2826:                             ;   in Loop: Header=BB4_2140 Depth=3
	s_or_saveexec_b32 s19, s19
	v_mov_b32_e32 v22, 0x7f800001
	s_xor_b32 exec_lo, exec_lo, s19
	s_cbranch_execz .LBB4_2384
.LBB4_2827:                             ;   in Loop: Header=BB4_2140 Depth=3
	v_cmp_ne_u16_sdwa s22, v23, v2 src0_sel:BYTE_0 src1_sel:DWORD
	v_mov_b32_e32 v22, 0
	s_andn2_b32 s16, s16, exec_lo
	s_and_b32 s22, s22, exec_lo
	s_or_b32 s16, s16, s22
	s_or_b32 exec_lo, exec_lo, s19
	s_and_saveexec_b32 s19, s16
	s_cbranch_execnz .LBB4_2385
	s_branch .LBB4_2386
.LBB4_2828:                             ;   in Loop: Header=BB4_2140 Depth=3
	s_or_saveexec_b32 s19, s19
	v_mov_b32_e32 v105, 0x7f800001
	s_xor_b32 exec_lo, exec_lo, s19
	s_cbranch_execz .LBB4_2390
.LBB4_2829:                             ;   in Loop: Header=BB4_2140 Depth=3
	v_cmp_ne_u16_sdwa s22, v19, v2 src0_sel:BYTE_0 src1_sel:DWORD
	v_mov_b32_e32 v105, 0
	s_andn2_b32 s16, s16, exec_lo
	s_and_b32 s22, s22, exec_lo
	s_or_b32 s16, s16, s22
	s_or_b32 exec_lo, exec_lo, s19
	s_and_saveexec_b32 s19, s16
	s_cbranch_execnz .LBB4_2391
	s_branch .LBB4_2392
.LBB4_2830:                             ;   in Loop: Header=BB4_2140 Depth=3
	s_or_saveexec_b32 s19, s19
	v_mov_b32_e32 v105, 0x7f800001
	s_xor_b32 exec_lo, exec_lo, s19
	s_cbranch_execz .LBB4_2404
.LBB4_2831:                             ;   in Loop: Header=BB4_2140 Depth=3
	v_cmp_ne_u16_sdwa s22, v23, v2 src0_sel:BYTE_1 src1_sel:DWORD
	v_mov_b32_e32 v105, 0
	s_andn2_b32 s16, s16, exec_lo
	s_and_b32 s22, s22, exec_lo
	s_or_b32 s16, s16, s22
	s_or_b32 exec_lo, exec_lo, s19
	s_and_saveexec_b32 s19, s16
	s_cbranch_execnz .LBB4_2405
	s_branch .LBB4_2406
.LBB4_2832:                             ;   in Loop: Header=BB4_2140 Depth=3
	s_or_saveexec_b32 s19, s19
	v_mov_b32_e32 v106, 0x7f800001
	s_xor_b32 exec_lo, exec_lo, s19
	s_cbranch_execz .LBB4_2410
.LBB4_2833:                             ;   in Loop: Header=BB4_2140 Depth=3
	v_cmp_ne_u16_sdwa s22, v19, v2 src0_sel:BYTE_1 src1_sel:DWORD
	v_mov_b32_e32 v106, 0
	s_andn2_b32 s16, s16, exec_lo
	s_and_b32 s22, s22, exec_lo
	s_or_b32 s16, s16, s22
	s_or_b32 exec_lo, exec_lo, s19
	s_and_saveexec_b32 s19, s16
	s_cbranch_execnz .LBB4_2411
	s_branch .LBB4_2412
.LBB4_2834:                             ;   in Loop: Header=BB4_2140 Depth=3
	s_or_saveexec_b32 s19, s19
	v_mov_b32_e32 v106, 0x7f800001
	s_xor_b32 exec_lo, exec_lo, s19
	s_cbranch_execz .LBB4_2424
.LBB4_2835:                             ;   in Loop: Header=BB4_2140 Depth=3
	v_cmp_ne_u16_e32 vcc_lo, 0, v107
	v_mov_b32_e32 v106, 0
	s_andn2_b32 s16, s16, exec_lo
	s_and_b32 s22, vcc_lo, exec_lo
	s_or_b32 s16, s16, s22
	s_or_b32 exec_lo, exec_lo, s19
	s_and_saveexec_b32 s19, s16
	s_cbranch_execnz .LBB4_2425
	s_branch .LBB4_2426
.LBB4_2836:                             ;   in Loop: Header=BB4_2140 Depth=3
	s_or_saveexec_b32 s19, s19
	v_mov_b32_e32 v107, 0x7f800001
	s_xor_b32 exec_lo, exec_lo, s19
	s_cbranch_execz .LBB4_2430
.LBB4_2837:                             ;   in Loop: Header=BB4_2140 Depth=3
	v_cmp_ne_u16_e32 vcc_lo, 0, v108
	v_mov_b32_e32 v107, 0
	s_andn2_b32 s16, s16, exec_lo
	s_and_b32 s22, vcc_lo, exec_lo
	s_or_b32 s16, s16, s22
	s_or_b32 exec_lo, exec_lo, s19
	s_and_saveexec_b32 s19, s16
	s_cbranch_execnz .LBB4_2431
	s_branch .LBB4_2432
.LBB4_2838:                             ;   in Loop: Header=BB4_2140 Depth=3
	s_or_saveexec_b32 s19, s19
	v_mov_b32_e32 v107, 0x7f800001
	s_xor_b32 exec_lo, exec_lo, s19
	s_cbranch_execz .LBB4_2444
.LBB4_2839:                             ;   in Loop: Header=BB4_2140 Depth=3
	v_cmp_ne_u16_sdwa s22, v23, v2 src0_sel:BYTE_3 src1_sel:DWORD
	v_mov_b32_e32 v107, 0
	s_andn2_b32 s16, s16, exec_lo
	s_and_b32 s22, s22, exec_lo
	s_or_b32 s16, s16, s22
	s_or_b32 exec_lo, exec_lo, s19
	s_and_saveexec_b32 s19, s16
	s_cbranch_execnz .LBB4_2445
	s_branch .LBB4_2446
.LBB4_2840:                             ;   in Loop: Header=BB4_2140 Depth=3
	s_or_saveexec_b32 s19, s19
	v_mov_b32_e32 v23, 0x7f800001
	s_xor_b32 exec_lo, exec_lo, s19
	s_cbranch_execz .LBB4_2450
.LBB4_2841:                             ;   in Loop: Header=BB4_2140 Depth=3
	v_cmp_ne_u16_sdwa s22, v19, v2 src0_sel:BYTE_3 src1_sel:DWORD
	v_mov_b32_e32 v23, 0
	s_andn2_b32 s16, s16, exec_lo
	s_and_b32 s22, s22, exec_lo
	s_or_b32 s16, s16, s22
	s_or_b32 exec_lo, exec_lo, s19
	s_and_saveexec_b32 s19, s16
	s_cbranch_execnz .LBB4_2451
	s_branch .LBB4_2452
.LBB4_2842:                             ;   in Loop: Header=BB4_2140 Depth=3
	s_or_saveexec_b32 s19, s19
	v_mov_b32_e32 v23, 0x7f800001
	s_xor_b32 exec_lo, exec_lo, s19
	s_cbranch_execz .LBB4_2464
.LBB4_2843:                             ;   in Loop: Header=BB4_2140 Depth=3
	v_cmp_ne_u16_sdwa s22, v12, v2 src0_sel:BYTE_0 src1_sel:DWORD
	v_mov_b32_e32 v23, 0
	s_andn2_b32 s16, s16, exec_lo
	s_and_b32 s22, s22, exec_lo
	s_or_b32 s16, s16, s22
	s_or_b32 exec_lo, exec_lo, s19
	s_and_saveexec_b32 s19, s16
	s_cbranch_execnz .LBB4_2465
	s_branch .LBB4_2466
.LBB4_2844:                             ;   in Loop: Header=BB4_2140 Depth=3
	s_or_saveexec_b32 s19, s19
	v_mov_b32_e32 v107, 0x7f800001
	s_xor_b32 exec_lo, exec_lo, s19
	s_cbranch_execz .LBB4_2470
.LBB4_2845:                             ;   in Loop: Header=BB4_2140 Depth=3
	v_cmp_ne_u16_sdwa s22, v8, v2 src0_sel:BYTE_0 src1_sel:DWORD
	v_mov_b32_e32 v107, 0
	s_andn2_b32 s16, s16, exec_lo
	s_and_b32 s22, s22, exec_lo
	s_or_b32 s16, s16, s22
	s_or_b32 exec_lo, exec_lo, s19
	s_and_saveexec_b32 s19, s16
	s_cbranch_execnz .LBB4_2471
	s_branch .LBB4_2472
.LBB4_2846:                             ;   in Loop: Header=BB4_2140 Depth=3
	s_or_saveexec_b32 s19, s19
	v_mov_b32_e32 v107, 0x7f800001
	s_xor_b32 exec_lo, exec_lo, s19
	s_cbranch_execz .LBB4_2484
.LBB4_2847:                             ;   in Loop: Header=BB4_2140 Depth=3
	v_cmp_ne_u16_sdwa s22, v12, v2 src0_sel:BYTE_1 src1_sel:DWORD
	v_mov_b32_e32 v107, 0
	s_andn2_b32 s16, s16, exec_lo
	s_and_b32 s22, s22, exec_lo
	s_or_b32 s16, s16, s22
	s_or_b32 exec_lo, exec_lo, s19
	s_and_saveexec_b32 s19, s16
	s_cbranch_execnz .LBB4_2485
	s_branch .LBB4_2486
.LBB4_2848:                             ;   in Loop: Header=BB4_2140 Depth=3
	s_or_saveexec_b32 s19, s19
	v_mov_b32_e32 v108, 0x7f800001
	s_xor_b32 exec_lo, exec_lo, s19
	s_cbranch_execz .LBB4_2490
.LBB4_2849:                             ;   in Loop: Header=BB4_2140 Depth=3
	v_cmp_ne_u16_sdwa s22, v8, v2 src0_sel:BYTE_1 src1_sel:DWORD
	v_mov_b32_e32 v108, 0
	s_andn2_b32 s16, s16, exec_lo
	s_and_b32 s22, s22, exec_lo
	s_or_b32 s16, s16, s22
	s_or_b32 exec_lo, exec_lo, s19
	s_and_saveexec_b32 s19, s16
	s_cbranch_execnz .LBB4_2491
	s_branch .LBB4_2492
.LBB4_2850:                             ;   in Loop: Header=BB4_2140 Depth=3
	s_or_saveexec_b32 s19, s19
	v_mov_b32_e32 v108, 0x7f800001
	s_xor_b32 exec_lo, exec_lo, s19
	s_cbranch_execz .LBB4_2504
.LBB4_2851:                             ;   in Loop: Header=BB4_2140 Depth=3
	v_cmp_ne_u16_e32 vcc_lo, 0, v109
	v_mov_b32_e32 v108, 0
	s_andn2_b32 s16, s16, exec_lo
	s_and_b32 s22, vcc_lo, exec_lo
	s_or_b32 s16, s16, s22
	s_or_b32 exec_lo, exec_lo, s19
	s_and_saveexec_b32 s19, s16
	s_cbranch_execnz .LBB4_2505
	s_branch .LBB4_2506
.LBB4_2852:                             ;   in Loop: Header=BB4_2140 Depth=3
	s_or_saveexec_b32 s19, s19
	v_mov_b32_e32 v109, 0x7f800001
	s_xor_b32 exec_lo, exec_lo, s19
	s_cbranch_execz .LBB4_2510
.LBB4_2853:                             ;   in Loop: Header=BB4_2140 Depth=3
	v_cmp_ne_u16_e32 vcc_lo, 0, v110
	v_mov_b32_e32 v109, 0
	s_andn2_b32 s16, s16, exec_lo
	s_and_b32 s22, vcc_lo, exec_lo
	s_or_b32 s16, s16, s22
	s_or_b32 exec_lo, exec_lo, s19
	s_and_saveexec_b32 s19, s16
	s_cbranch_execnz .LBB4_2511
	s_branch .LBB4_2512
.LBB4_2854:                             ;   in Loop: Header=BB4_2140 Depth=3
	s_or_saveexec_b32 s19, s19
	v_mov_b32_e32 v109, 0x7f800001
	s_xor_b32 exec_lo, exec_lo, s19
	s_cbranch_execz .LBB4_2524
.LBB4_2855:                             ;   in Loop: Header=BB4_2140 Depth=3
	v_cmp_ne_u16_sdwa s22, v12, v2 src0_sel:BYTE_3 src1_sel:DWORD
	v_mov_b32_e32 v109, 0
	s_andn2_b32 s16, s16, exec_lo
	s_and_b32 s22, s22, exec_lo
	s_or_b32 s16, s16, s22
	s_or_b32 exec_lo, exec_lo, s19
	s_and_saveexec_b32 s19, s16
	s_cbranch_execnz .LBB4_2525
	s_branch .LBB4_2526
.LBB4_2856:                             ;   in Loop: Header=BB4_2140 Depth=3
	s_or_saveexec_b32 s19, s19
	v_mov_b32_e32 v12, 0x7f800001
	s_xor_b32 exec_lo, exec_lo, s19
	s_cbranch_execz .LBB4_2530
.LBB4_2857:                             ;   in Loop: Header=BB4_2140 Depth=3
	v_cmp_ne_u16_sdwa s22, v8, v2 src0_sel:BYTE_3 src1_sel:DWORD
	v_mov_b32_e32 v12, 0
	s_andn2_b32 s16, s16, exec_lo
	s_and_b32 s22, s22, exec_lo
	s_or_b32 s16, s16, s22
	s_or_b32 exec_lo, exec_lo, s19
	s_and_saveexec_b32 s19, s16
	s_cbranch_execnz .LBB4_2531
	s_branch .LBB4_2532
.LBB4_2858:                             ;   in Loop: Header=BB4_2140 Depth=3
	s_or_saveexec_b32 s19, s19
	v_mov_b32_e32 v12, 0x7f800001
	s_xor_b32 exec_lo, exec_lo, s19
	s_cbranch_execz .LBB4_2544
.LBB4_2859:                             ;   in Loop: Header=BB4_2140 Depth=3
	v_cmp_ne_u16_sdwa s22, v13, v2 src0_sel:BYTE_0 src1_sel:DWORD
	v_mov_b32_e32 v12, 0
	s_andn2_b32 s16, s16, exec_lo
	s_and_b32 s22, s22, exec_lo
	s_or_b32 s16, s16, s22
	s_or_b32 exec_lo, exec_lo, s19
	s_and_saveexec_b32 s19, s16
	s_cbranch_execnz .LBB4_2545
	s_branch .LBB4_2546
.LBB4_2860:                             ;   in Loop: Header=BB4_2140 Depth=3
	s_or_saveexec_b32 s19, s19
	v_mov_b32_e32 v109, 0x7f800001
	s_xor_b32 exec_lo, exec_lo, s19
	s_cbranch_execz .LBB4_2550
.LBB4_2861:                             ;   in Loop: Header=BB4_2140 Depth=3
	v_cmp_ne_u16_sdwa s22, v9, v2 src0_sel:BYTE_0 src1_sel:DWORD
	v_mov_b32_e32 v109, 0
	s_andn2_b32 s16, s16, exec_lo
	s_and_b32 s22, s22, exec_lo
	s_or_b32 s16, s16, s22
	s_or_b32 exec_lo, exec_lo, s19
	s_and_saveexec_b32 s19, s16
	s_cbranch_execnz .LBB4_2551
	s_branch .LBB4_2552
.LBB4_2862:                             ;   in Loop: Header=BB4_2140 Depth=3
	s_or_saveexec_b32 s19, s19
	v_mov_b32_e32 v109, 0x7f800001
	s_xor_b32 exec_lo, exec_lo, s19
	s_cbranch_execz .LBB4_2564
.LBB4_2863:                             ;   in Loop: Header=BB4_2140 Depth=3
	v_cmp_ne_u16_sdwa s22, v13, v2 src0_sel:BYTE_1 src1_sel:DWORD
	v_mov_b32_e32 v109, 0
	s_andn2_b32 s16, s16, exec_lo
	s_and_b32 s22, s22, exec_lo
	s_or_b32 s16, s16, s22
	s_or_b32 exec_lo, exec_lo, s19
	s_and_saveexec_b32 s19, s16
	s_cbranch_execnz .LBB4_2565
	s_branch .LBB4_2566
.LBB4_2864:                             ;   in Loop: Header=BB4_2140 Depth=3
	s_or_saveexec_b32 s19, s19
	v_mov_b32_e32 v110, 0x7f800001
	s_xor_b32 exec_lo, exec_lo, s19
	s_cbranch_execz .LBB4_2570
.LBB4_2865:                             ;   in Loop: Header=BB4_2140 Depth=3
	v_cmp_ne_u16_sdwa s22, v9, v2 src0_sel:BYTE_1 src1_sel:DWORD
	v_mov_b32_e32 v110, 0
	s_andn2_b32 s16, s16, exec_lo
	s_and_b32 s22, s22, exec_lo
	s_or_b32 s16, s16, s22
	s_or_b32 exec_lo, exec_lo, s19
	s_and_saveexec_b32 s19, s16
	s_cbranch_execnz .LBB4_2571
	s_branch .LBB4_2572
.LBB4_2866:                             ;   in Loop: Header=BB4_2140 Depth=3
	s_or_saveexec_b32 s19, s19
	v_mov_b32_e32 v110, 0x7f800001
	s_xor_b32 exec_lo, exec_lo, s19
	s_cbranch_execz .LBB4_2584
.LBB4_2867:                             ;   in Loop: Header=BB4_2140 Depth=3
	v_cmp_ne_u16_e32 vcc_lo, 0, v111
	v_mov_b32_e32 v110, 0
	s_andn2_b32 s16, s16, exec_lo
	s_and_b32 s22, vcc_lo, exec_lo
	s_or_b32 s16, s16, s22
	s_or_b32 exec_lo, exec_lo, s19
	s_and_saveexec_b32 s19, s16
	s_cbranch_execnz .LBB4_2585
	s_branch .LBB4_2586
.LBB4_2868:                             ;   in Loop: Header=BB4_2140 Depth=3
	s_or_saveexec_b32 s19, s19
	v_mov_b32_e32 v111, 0x7f800001
	s_xor_b32 exec_lo, exec_lo, s19
	s_cbranch_execz .LBB4_2590
.LBB4_2869:                             ;   in Loop: Header=BB4_2140 Depth=3
	v_cmp_ne_u16_e32 vcc_lo, 0, v120
	v_mov_b32_e32 v111, 0
	s_andn2_b32 s16, s16, exec_lo
	s_and_b32 s22, vcc_lo, exec_lo
	s_or_b32 s16, s16, s22
	s_or_b32 exec_lo, exec_lo, s19
	s_and_saveexec_b32 s19, s16
	s_cbranch_execnz .LBB4_2591
	s_branch .LBB4_2592
.LBB4_2870:                             ;   in Loop: Header=BB4_2140 Depth=3
	s_or_saveexec_b32 s19, s19
	v_mov_b32_e32 v111, 0x7f800001
	s_xor_b32 exec_lo, exec_lo, s19
	s_cbranch_execz .LBB4_2604
.LBB4_2871:                             ;   in Loop: Header=BB4_2140 Depth=3
	v_cmp_ne_u16_sdwa s22, v13, v2 src0_sel:BYTE_3 src1_sel:DWORD
	v_mov_b32_e32 v111, 0
	s_andn2_b32 s16, s16, exec_lo
	s_and_b32 s22, s22, exec_lo
	s_or_b32 s16, s16, s22
	s_or_b32 exec_lo, exec_lo, s19
	s_and_saveexec_b32 s19, s16
	s_cbranch_execnz .LBB4_2605
	s_branch .LBB4_2606
.LBB4_2872:                             ;   in Loop: Header=BB4_2140 Depth=3
	s_or_saveexec_b32 s19, s19
	v_mov_b32_e32 v13, 0x7f800001
	s_xor_b32 exec_lo, exec_lo, s19
	s_cbranch_execz .LBB4_2610
.LBB4_2873:                             ;   in Loop: Header=BB4_2140 Depth=3
	v_cmp_ne_u16_sdwa s22, v9, v2 src0_sel:BYTE_3 src1_sel:DWORD
	v_mov_b32_e32 v13, 0
	s_andn2_b32 s16, s16, exec_lo
	s_and_b32 s22, s22, exec_lo
	s_or_b32 s16, s16, s22
	s_or_b32 exec_lo, exec_lo, s19
	s_and_saveexec_b32 s19, s16
	s_cbranch_execnz .LBB4_2611
	s_branch .LBB4_2612
.LBB4_2874:                             ;   in Loop: Header=BB4_2140 Depth=3
	s_or_saveexec_b32 s19, s19
	v_mov_b32_e32 v13, 0x7f800001
	s_xor_b32 exec_lo, exec_lo, s19
	s_cbranch_execz .LBB4_2624
.LBB4_2875:                             ;   in Loop: Header=BB4_2140 Depth=3
	v_cmp_ne_u16_sdwa s22, v14, v2 src0_sel:BYTE_0 src1_sel:DWORD
	v_mov_b32_e32 v13, 0
	s_andn2_b32 s16, s16, exec_lo
	s_and_b32 s22, s22, exec_lo
	s_or_b32 s16, s16, s22
	s_or_b32 exec_lo, exec_lo, s19
	s_and_saveexec_b32 s19, s16
	s_cbranch_execnz .LBB4_2625
	s_branch .LBB4_2626
.LBB4_2876:                             ;   in Loop: Header=BB4_2140 Depth=3
	s_or_saveexec_b32 s19, s19
	v_mov_b32_e32 v111, 0x7f800001
	s_xor_b32 exec_lo, exec_lo, s19
	s_cbranch_execz .LBB4_2630
.LBB4_2877:                             ;   in Loop: Header=BB4_2140 Depth=3
	v_cmp_ne_u16_sdwa s22, v10, v2 src0_sel:BYTE_0 src1_sel:DWORD
	v_mov_b32_e32 v111, 0
	s_andn2_b32 s16, s16, exec_lo
	s_and_b32 s22, s22, exec_lo
	s_or_b32 s16, s16, s22
	s_or_b32 exec_lo, exec_lo, s19
	s_and_saveexec_b32 s19, s16
	s_cbranch_execnz .LBB4_2631
	s_branch .LBB4_2632
.LBB4_2878:                             ;   in Loop: Header=BB4_2140 Depth=3
	s_or_saveexec_b32 s19, s19
	v_mov_b32_e32 v111, 0x7f800001
	s_xor_b32 exec_lo, exec_lo, s19
	s_cbranch_execz .LBB4_2644
.LBB4_2879:                             ;   in Loop: Header=BB4_2140 Depth=3
	v_cmp_ne_u16_sdwa s22, v14, v2 src0_sel:BYTE_1 src1_sel:DWORD
	v_mov_b32_e32 v111, 0
	s_andn2_b32 s16, s16, exec_lo
	s_and_b32 s22, s22, exec_lo
	s_or_b32 s16, s16, s22
	s_or_b32 exec_lo, exec_lo, s19
	s_and_saveexec_b32 s19, s16
	s_cbranch_execnz .LBB4_2645
	s_branch .LBB4_2646
.LBB4_2880:                             ;   in Loop: Header=BB4_2140 Depth=3
	s_or_saveexec_b32 s19, s19
	v_mov_b32_e32 v120, 0x7f800001
	s_xor_b32 exec_lo, exec_lo, s19
	s_cbranch_execz .LBB4_2650
.LBB4_2881:                             ;   in Loop: Header=BB4_2140 Depth=3
	v_cmp_ne_u16_sdwa s22, v10, v2 src0_sel:BYTE_1 src1_sel:DWORD
	v_mov_b32_e32 v120, 0
	s_andn2_b32 s16, s16, exec_lo
	s_and_b32 s22, s22, exec_lo
	s_or_b32 s16, s16, s22
	s_or_b32 exec_lo, exec_lo, s19
	s_and_saveexec_b32 s19, s16
	s_cbranch_execnz .LBB4_2651
	s_branch .LBB4_2652
.LBB4_2882:                             ;   in Loop: Header=BB4_2140 Depth=3
	s_or_saveexec_b32 s19, s19
	v_mov_b32_e32 v120, 0x7f800001
	s_xor_b32 exec_lo, exec_lo, s19
	s_cbranch_execz .LBB4_2664
.LBB4_2883:                             ;   in Loop: Header=BB4_2140 Depth=3
	v_cmp_ne_u16_e32 vcc_lo, 0, v121
	v_mov_b32_e32 v120, 0
	s_andn2_b32 s16, s16, exec_lo
	s_and_b32 s22, vcc_lo, exec_lo
	s_or_b32 s16, s16, s22
	s_or_b32 exec_lo, exec_lo, s19
	s_and_saveexec_b32 s19, s16
	s_cbranch_execnz .LBB4_2665
	s_branch .LBB4_2666
.LBB4_2884:                             ;   in Loop: Header=BB4_2140 Depth=3
	s_or_saveexec_b32 s19, s19
	v_mov_b32_e32 v121, 0x7f800001
	s_xor_b32 exec_lo, exec_lo, s19
	s_cbranch_execz .LBB4_2670
.LBB4_2885:                             ;   in Loop: Header=BB4_2140 Depth=3
	v_cmp_ne_u16_e32 vcc_lo, 0, v122
	v_mov_b32_e32 v121, 0
	s_andn2_b32 s16, s16, exec_lo
	s_and_b32 s22, vcc_lo, exec_lo
	s_or_b32 s16, s16, s22
	s_or_b32 exec_lo, exec_lo, s19
	s_and_saveexec_b32 s19, s16
	s_cbranch_execnz .LBB4_2671
	s_branch .LBB4_2672
.LBB4_2886:                             ;   in Loop: Header=BB4_2140 Depth=3
	s_or_saveexec_b32 s19, s19
	v_mov_b32_e32 v121, 0x7f800001
	s_xor_b32 exec_lo, exec_lo, s19
	s_cbranch_execz .LBB4_2684
.LBB4_2887:                             ;   in Loop: Header=BB4_2140 Depth=3
	v_cmp_ne_u16_sdwa s22, v14, v2 src0_sel:BYTE_3 src1_sel:DWORD
	v_mov_b32_e32 v121, 0
	s_andn2_b32 s16, s16, exec_lo
	s_and_b32 s22, s22, exec_lo
	s_or_b32 s16, s16, s22
	s_or_b32 exec_lo, exec_lo, s19
	s_and_saveexec_b32 s19, s16
	s_cbranch_execnz .LBB4_2685
	s_branch .LBB4_2686
.LBB4_2888:                             ;   in Loop: Header=BB4_2140 Depth=3
	s_or_saveexec_b32 s19, s19
	v_mov_b32_e32 v14, 0x7f800001
	s_xor_b32 exec_lo, exec_lo, s19
	s_cbranch_execz .LBB4_2690
.LBB4_2889:                             ;   in Loop: Header=BB4_2140 Depth=3
	v_cmp_ne_u16_sdwa s22, v10, v2 src0_sel:BYTE_3 src1_sel:DWORD
	v_mov_b32_e32 v14, 0
	s_andn2_b32 s16, s16, exec_lo
	s_and_b32 s22, s22, exec_lo
	s_or_b32 s16, s16, s22
	s_or_b32 exec_lo, exec_lo, s19
	s_and_saveexec_b32 s19, s16
	s_cbranch_execnz .LBB4_2691
	s_branch .LBB4_2692
.LBB4_2890:                             ;   in Loop: Header=BB4_2140 Depth=3
	s_or_saveexec_b32 s19, s19
	v_mov_b32_e32 v14, 0x7f800001
	s_xor_b32 exec_lo, exec_lo, s19
	s_cbranch_execz .LBB4_2704
.LBB4_2891:                             ;   in Loop: Header=BB4_2140 Depth=3
	v_cmp_ne_u16_sdwa s22, v15, v2 src0_sel:BYTE_0 src1_sel:DWORD
	v_mov_b32_e32 v14, 0
	s_andn2_b32 s16, s16, exec_lo
	s_and_b32 s22, s22, exec_lo
	s_or_b32 s16, s16, s22
	s_or_b32 exec_lo, exec_lo, s19
	s_and_saveexec_b32 s19, s16
	s_cbranch_execnz .LBB4_2705
	s_branch .LBB4_2706
.LBB4_2892:                             ;   in Loop: Header=BB4_2140 Depth=3
	s_or_saveexec_b32 s19, s19
	v_mov_b32_e32 v121, 0x7f800001
	s_xor_b32 exec_lo, exec_lo, s19
	s_cbranch_execz .LBB4_2710
.LBB4_2893:                             ;   in Loop: Header=BB4_2140 Depth=3
	v_cmp_ne_u16_sdwa s22, v11, v2 src0_sel:BYTE_0 src1_sel:DWORD
	v_mov_b32_e32 v121, 0
	s_andn2_b32 s16, s16, exec_lo
	s_and_b32 s22, s22, exec_lo
	s_or_b32 s16, s16, s22
	s_or_b32 exec_lo, exec_lo, s19
	s_and_saveexec_b32 s19, s16
	s_cbranch_execnz .LBB4_2711
	s_branch .LBB4_2712
.LBB4_2894:                             ;   in Loop: Header=BB4_2140 Depth=3
	s_or_saveexec_b32 s19, s19
	v_mov_b32_e32 v121, 0x7f800001
	s_xor_b32 exec_lo, exec_lo, s19
	s_cbranch_execz .LBB4_2724
.LBB4_2895:                             ;   in Loop: Header=BB4_2140 Depth=3
	v_cmp_ne_u16_sdwa s22, v15, v2 src0_sel:BYTE_1 src1_sel:DWORD
	v_mov_b32_e32 v121, 0
	s_andn2_b32 s16, s16, exec_lo
	s_and_b32 s22, s22, exec_lo
	s_or_b32 s16, s16, s22
	s_or_b32 exec_lo, exec_lo, s19
	s_and_saveexec_b32 s19, s16
	s_cbranch_execnz .LBB4_2725
	s_branch .LBB4_2726
.LBB4_2896:                             ;   in Loop: Header=BB4_2140 Depth=3
	s_or_saveexec_b32 s19, s19
	v_mov_b32_e32 v122, 0x7f800001
	s_xor_b32 exec_lo, exec_lo, s19
	s_cbranch_execz .LBB4_2730
.LBB4_2897:                             ;   in Loop: Header=BB4_2140 Depth=3
	v_cmp_ne_u16_sdwa s22, v11, v2 src0_sel:BYTE_1 src1_sel:DWORD
	v_mov_b32_e32 v122, 0
	s_andn2_b32 s16, s16, exec_lo
	s_and_b32 s22, s22, exec_lo
	s_or_b32 s16, s16, s22
	s_or_b32 exec_lo, exec_lo, s19
	s_and_saveexec_b32 s19, s16
	s_cbranch_execnz .LBB4_2731
	s_branch .LBB4_2732
.LBB4_2898:                             ;   in Loop: Header=BB4_2140 Depth=3
	s_or_saveexec_b32 s16, s16
	v_mov_b32_e32 v122, 0x7f800001
	s_xor_b32 exec_lo, exec_lo, s16
	s_cbranch_execz .LBB4_2744
.LBB4_2899:                             ;   in Loop: Header=BB4_2140 Depth=3
	v_cmp_ne_u16_e32 vcc_lo, 0, v123
	v_mov_b32_e32 v122, 0
	s_andn2_b32 s19, s19, exec_lo
	s_and_b32 s22, vcc_lo, exec_lo
	s_or_b32 s19, s19, s22
	s_or_b32 exec_lo, exec_lo, s16
	s_and_saveexec_b32 s16, s19
	s_cbranch_execnz .LBB4_2745
	s_branch .LBB4_2746
.LBB4_2900:                             ;   in Loop: Header=BB4_2140 Depth=3
	s_or_saveexec_b32 s16, s16
	v_mov_b32_e32 v123, 0x7f800001
	s_xor_b32 exec_lo, exec_lo, s16
	s_cbranch_execz .LBB4_2750
.LBB4_2901:                             ;   in Loop: Header=BB4_2140 Depth=3
	v_cmp_ne_u16_e32 vcc_lo, 0, v124
	v_mov_b32_e32 v123, 0
	s_andn2_b32 s19, s19, exec_lo
	s_and_b32 s22, vcc_lo, exec_lo
	s_or_b32 s19, s19, s22
	s_or_b32 exec_lo, exec_lo, s16
	s_and_saveexec_b32 s16, s19
	s_cbranch_execnz .LBB4_2751
	s_branch .LBB4_2752
.LBB4_2902:                             ;   in Loop: Header=BB4_2140 Depth=3
	s_or_saveexec_b32 s19, s19
	v_mov_b32_e32 v123, 0x7f800001
	s_xor_b32 exec_lo, exec_lo, s19
	s_cbranch_execz .LBB4_2764
.LBB4_2903:                             ;   in Loop: Header=BB4_2140 Depth=3
	v_cmp_ne_u16_sdwa s22, v15, v2 src0_sel:BYTE_3 src1_sel:DWORD
	v_mov_b32_e32 v123, 0
	s_andn2_b32 s16, s16, exec_lo
	s_and_b32 s22, s22, exec_lo
	s_or_b32 s16, s16, s22
	s_or_b32 exec_lo, exec_lo, s19
	s_and_saveexec_b32 s19, s16
	s_cbranch_execnz .LBB4_2765
	s_branch .LBB4_2766
.LBB4_2904:                             ;   in Loop: Header=BB4_2140 Depth=3
	s_or_saveexec_b32 s19, s19
	v_mov_b32_e32 v15, 0x7f800001
	s_xor_b32 exec_lo, exec_lo, s19
	s_cbranch_execz .LBB4_2770
.LBB4_2905:                             ;   in Loop: Header=BB4_2140 Depth=3
	v_cmp_ne_u16_sdwa s22, v11, v2 src0_sel:BYTE_3 src1_sel:DWORD
	v_mov_b32_e32 v15, 0
	s_andn2_b32 s16, s16, exec_lo
	s_and_b32 s22, s22, exec_lo
	s_or_b32 s16, s16, s22
	s_or_b32 exec_lo, exec_lo, s19
	s_and_saveexec_b32 s19, s16
	s_cbranch_execnz .LBB4_2771
	s_branch .LBB4_2772
.LBB4_2906:                             ;   in Loop: Header=BB4_2055 Depth=2
	s_or_b32 exec_lo, exec_lo, s18
.LBB4_2907:                             ;   in Loop: Header=BB4_2055 Depth=2
	s_or_b32 exec_lo, exec_lo, s17
	v_lshlrev_b32_e32 v20, 10, v89
	v_mov_b32_e32 v16, 0
	s_mov_b32 s16, 0
	s_mov_b32 s19, exec_lo
                                        ; implicit-def: $vgpr17
                                        ; implicit-def: $vgpr18
                                        ; implicit-def: $vgpr8
	v_cmpx_ne_u32_e64 v79, v20
	s_cbranch_execz .LBB4_3301
; %bb.2908:                             ;   in Loop: Header=BB4_2055 Depth=2
	v_lshlrev_b32_e32 v8, 5, v88
	v_sub_nc_u32_e32 v10, v79, v20
	s_mov_b32 s72, exec_lo
	v_sub_nc_u32_e32 v8, v58, v8
	v_ashrrev_i32_e32 v11, 31, v10
	v_ashrrev_i32_e32 v9, 31, v8
	v_lshrrev_b32_e32 v11, 23, v11
	v_lshrrev_b32_e32 v9, 27, v9
	v_add_nc_u32_e32 v11, v10, v11
	v_add_nc_u32_e32 v9, v8, v9
	v_and_b32_e32 v21, 0xfffffe00, v11
	v_ashrrev_i32_e32 v11, 9, v11
	v_and_b32_e32 v12, 0xffffffe0, v9
	v_sub_nc_u32_e32 v23, v10, v21
	v_ashrrev_i32_e32 v9, 5, v9
	v_sub_nc_u32_e32 v22, v8, v12
	v_cmp_lt_i32_e64 s16, 15, v23
	v_lshlrev_b32_e32 v8, 4, v22
	v_add_co_ci_u32_e64 v11, null, 0, v11, s16
	v_lshl_add_u32 v8, v9, 9, v8
	v_sub_nc_u32_e32 v84, v11, v9
	v_sub_nc_u32_e32 v85, v10, v8
	v_cmpx_lt_i32_e32 15, v85
	s_cbranch_execz .LBB4_3298
; %bb.2909:                             ;   in Loop: Header=BB4_2055 Depth=2
	s_trap 2
	ds_read_b64 v[9:10], v0
	v_add_nc_u32_e32 v8, v8, v20
	s_mov_b32 s73, 0
	v_ashrrev_i32_e32 v11, 31, v8
	v_add_co_u32 v86, vcc_lo, v8, v80
	v_add_co_ci_u32_e64 v87, null, v11, v81, vcc_lo
	v_add_co_u32 v96, vcc_lo, v8, v82
	v_add_co_ci_u32_e64 v97, null, v11, v83, vcc_lo
	;; [unrolled: 2-line block ×3, first 2 shown]
	s_waitcnt lgkmcnt(0)
	v_add_co_u32 v18, vcc_lo, v9, v8
	v_add_co_ci_u32_e64 v19, null, v10, v11, vcc_lo
.LBB4_2910:                             ;   Parent Loop BB4_47 Depth=1
                                        ;     Parent Loop BB4_2055 Depth=2
                                        ; =>    This Loop Header: Depth=3
                                        ;         Child Loop BB4_3231 Depth 4
	global_load_dwordx4 v[12:15], v[16:17], off slc
	global_load_dwordx4 v[8:11], v[18:19], off slc
	s_mov_b32 s17, 0
	s_waitcnt vmcnt(1)
	v_cmp_gt_i16_sdwa s18, v12, v115 src0_sel:BYTE_0 src1_sel:DWORD
	s_and_saveexec_b32 s22, s18
	s_xor_b32 s18, exec_lo, s22
	s_cbranch_execz .LBB4_3233
; %bb.2911:                             ;   in Loop: Header=BB4_2910 Depth=3
	v_cmp_eq_u16_sdwa s23, v12, v116 src0_sel:BYTE_0 src1_sel:DWORD
	s_mov_b32 s17, -1
	s_and_saveexec_b32 s22, s23
; %bb.2912:                             ;   in Loop: Header=BB4_2910 Depth=3
	s_xor_b32 s17, exec_lo, -1
; %bb.2913:                             ;   in Loop: Header=BB4_2910 Depth=3
	s_or_b32 exec_lo, exec_lo, s22
	s_and_b32 s17, s17, exec_lo
	s_or_saveexec_b32 s18, s18
	v_mov_b32_e32 v98, 0x7f800001
	s_xor_b32 exec_lo, exec_lo, s18
	s_cbranch_execnz .LBB4_3234
.LBB4_2914:                             ;   in Loop: Header=BB4_2910 Depth=3
	s_or_b32 exec_lo, exec_lo, s18
	s_and_saveexec_b32 s18, s17
	s_cbranch_execz .LBB4_2916
.LBB4_2915:                             ;   in Loop: Header=BB4_2910 Depth=3
	v_and_b32_e32 v26, 3, v12
	v_bfe_u32 v99, v12, 2, 5
	v_lshlrev_b32_e32 v88, 24, v12
	v_ffbh_u32_e32 v27, v26
	v_cmp_eq_u32_e32 vcc_lo, 0, v99
	v_min_u32_e32 v27, 32, v27
	v_subrev_nc_u32_e32 v98, 29, v27
	v_sub_nc_u32_e32 v27, 30, v27
	v_lshlrev_b32_e32 v98, v98, v12
	v_cndmask_b32_e32 v27, v99, v27, vcc_lo
	v_and_b32_e32 v98, 3, v98
	v_lshl_add_u32 v27, v27, 23, 0x37800000
	v_cndmask_b32_e32 v26, v26, v98, vcc_lo
	v_and_b32_e32 v98, 0x80000000, v88
	v_lshlrev_b32_e32 v26, 21, v26
	v_or3_b32 v98, v98, v27, v26
.LBB4_2916:                             ;   in Loop: Header=BB4_2910 Depth=3
	s_or_b32 exec_lo, exec_lo, s18
	s_waitcnt vmcnt(0)
	v_cmp_gt_i16_sdwa s18, v8, v115 src0_sel:BYTE_0 src1_sel:DWORD
	s_mov_b32 s17, 0
	s_and_saveexec_b32 s22, s18
	s_xor_b32 s18, exec_lo, s22
	s_cbranch_execz .LBB4_3235
; %bb.2917:                             ;   in Loop: Header=BB4_2910 Depth=3
	v_cmp_eq_u16_sdwa s23, v8, v116 src0_sel:BYTE_0 src1_sel:DWORD
	s_mov_b32 s17, -1
	s_and_saveexec_b32 s22, s23
; %bb.2918:                             ;   in Loop: Header=BB4_2910 Depth=3
	s_xor_b32 s17, exec_lo, -1
; %bb.2919:                             ;   in Loop: Header=BB4_2910 Depth=3
	s_or_b32 exec_lo, exec_lo, s22
	s_and_b32 s17, s17, exec_lo
	s_or_saveexec_b32 s18, s18
	v_mov_b32_e32 v99, 0x7f800001
	s_xor_b32 exec_lo, exec_lo, s18
	s_cbranch_execnz .LBB4_3236
.LBB4_2920:                             ;   in Loop: Header=BB4_2910 Depth=3
	s_or_b32 exec_lo, exec_lo, s18
	s_and_saveexec_b32 s18, s17
	s_cbranch_execz .LBB4_2922
.LBB4_2921:                             ;   in Loop: Header=BB4_2910 Depth=3
	v_and_b32_e32 v26, 3, v8
	v_bfe_u32 v88, v8, 2, 5
	v_lshlrev_b32_e32 v89, 24, v8
	v_ffbh_u32_e32 v27, v26
	v_cmp_eq_u32_e32 vcc_lo, 0, v88
	v_min_u32_e32 v27, 32, v27
	v_subrev_nc_u32_e32 v99, 29, v27
	v_sub_nc_u32_e32 v27, 30, v27
	v_lshlrev_b32_e32 v99, v99, v8
	v_cndmask_b32_e32 v27, v88, v27, vcc_lo
	v_and_b32_e32 v99, 3, v99
	v_lshl_add_u32 v27, v27, 23, 0x37800000
	v_cndmask_b32_e32 v26, v26, v99, vcc_lo
	v_and_b32_e32 v99, 0x80000000, v89
	v_lshlrev_b32_e32 v26, 21, v26
	v_or3_b32 v99, v99, v27, v26
.LBB4_2922:                             ;   in Loop: Header=BB4_2910 Depth=3
	s_or_b32 exec_lo, exec_lo, s18
	v_mul_f32_e32 v99, v98, v99
	v_mov_b32_e32 v98, 0x80
	s_mov_b32 s18, exec_lo
	v_and_b32_e32 v26, 0x7f800000, v99
	v_cmpx_ne_u32_e32 0x7f800000, v26
	s_cbranch_execz .LBB4_2930
; %bb.2923:                             ;   in Loop: Header=BB4_2910 Depth=3
	v_mov_b32_e32 v98, 0
	s_mov_b32 s22, exec_lo
	v_cmpx_ne_u32_e32 0, v99
	s_cbranch_execz .LBB4_2929
; %bb.2924:                             ;   in Loop: Header=BB4_2910 Depth=3
	v_bfe_u32 v26, v99, 23, 8
	v_and_b32_e32 v27, 0x7fffff, v99
	v_sub_nc_u32_e32 v98, 0x70, v26
	v_cmp_gt_u32_e32 vcc_lo, 0x71, v26
	v_or_b32_e32 v88, 0x800000, v27
	v_cndmask_b32_e32 v98, 0, v98, vcc_lo
	v_cmp_eq_u32_e32 vcc_lo, 0, v26
	v_add_nc_u32_e32 v26, 0xffffff91, v26
	v_cndmask_b32_e64 v98, v98, 0x6f, vcc_lo
	v_cndmask_b32_e32 v27, v88, v27, vcc_lo
	v_cndmask_b32_e64 v26, v26, 0xffffff92, vcc_lo
	v_lshl_add_u32 v89, 0x200000, v98, -1
	v_lshrrev_b32_e32 v88, v98, v27
	v_lshlrev_b32_e64 v91, v98, 0x100000
	v_and_b32_e32 v27, v89, v27
	v_bfe_u32 v90, v88, 21, 1
	v_cmp_eq_u32_e64 s17, v27, v91
	v_add_nc_u32_e32 v89, -1, v90
	v_lshrrev_b32_e32 v90, 23, v88
	v_cndmask_b32_e64 v27, 0, v89, s17
	v_add_nc_u32_e32 v89, v98, v26
	v_xor_b32_e32 v90, 1, v90
	s_mov_b32 s17, exec_lo
                                        ; implicit-def: $vgpr98
	v_add_nc_u32_e32 v27, v27, v88
	v_and_b32_e32 v26, 0x1fffff, v27
	v_add_nc_u32_e32 v88, v26, v88
	v_cmpx_ne_u32_e64 v89, v90
	s_xor_b32 s17, exec_lo, s17
; %bb.2925:                             ;   in Loop: Header=BB4_2910 Depth=3
	v_cmp_lt_u32_e32 vcc_lo, 0xffffff, v88
	v_sub_nc_u32_e32 v26, v89, v90
	v_cndmask_b32_e64 v27, 0, 1, vcc_lo
	v_add_co_ci_u32_e64 v98, null, 0, v26, vcc_lo
	v_lshrrev_b32_e32 v88, v27, v88
; %bb.2926:                             ;   in Loop: Header=BB4_2910 Depth=3
	s_andn2_saveexec_b32 s17, s17
; %bb.2927:                             ;   in Loop: Header=BB4_2910 Depth=3
	v_bfe_u32 v98, v88, 23, 1
; %bb.2928:                             ;   in Loop: Header=BB4_2910 Depth=3
	s_or_b32 exec_lo, exec_lo, s17
	v_lshrrev_b32_e32 v26, 21, v88
	v_min_i32_e32 v27, 31, v98
	v_cmp_gt_i32_e32 vcc_lo, 32, v98
	v_and_b32_sdwa v99, v99, v116 dst_sel:DWORD dst_unused:UNUSED_PAD src0_sel:BYTE_3 src1_sel:DWORD
	v_lshlrev_b32_e32 v27, 2, v27
	v_cndmask_b32_e32 v26, 3, v26, vcc_lo
	v_and_b32_e32 v27, 0xfc, v27
	v_and_b32_e32 v88, 3, v26
	v_or_b32_e32 v26, v98, v26
	v_or3_b32 v27, v27, v99, v88
	v_cmp_ne_u32_e32 vcc_lo, 0, v26
	v_cndmask_b32_e32 v98, 0, v27, vcc_lo
.LBB4_2929:                             ;   in Loop: Header=BB4_2910 Depth=3
	s_or_b32 exec_lo, exec_lo, s22
.LBB4_2930:                             ;   in Loop: Header=BB4_2910 Depth=3
	s_or_b32 exec_lo, exec_lo, s18
	v_cmp_gt_i16_sdwa s18, v12, v115 src0_sel:BYTE_1 src1_sel:DWORD
	s_mov_b32 s17, 0
	s_and_saveexec_b32 s22, s18
	s_xor_b32 s18, exec_lo, s22
	s_cbranch_execz .LBB4_3237
; %bb.2931:                             ;   in Loop: Header=BB4_2910 Depth=3
	v_cmp_eq_u16_sdwa s23, v12, v116 src0_sel:BYTE_1 src1_sel:DWORD
	s_mov_b32 s17, -1
	s_and_saveexec_b32 s22, s23
; %bb.2932:                             ;   in Loop: Header=BB4_2910 Depth=3
	s_xor_b32 s17, exec_lo, -1
; %bb.2933:                             ;   in Loop: Header=BB4_2910 Depth=3
	s_or_b32 exec_lo, exec_lo, s22
	s_and_b32 s17, s17, exec_lo
	s_or_saveexec_b32 s18, s18
	v_mov_b32_e32 v99, 0x7f800001
	s_xor_b32 exec_lo, exec_lo, s18
	s_cbranch_execnz .LBB4_3238
.LBB4_2934:                             ;   in Loop: Header=BB4_2910 Depth=3
	s_or_b32 exec_lo, exec_lo, s18
	s_and_saveexec_b32 s18, s17
	s_cbranch_execz .LBB4_2936
.LBB4_2935:                             ;   in Loop: Header=BB4_2910 Depth=3
	v_and_b32_sdwa v26, v117, v12 dst_sel:DWORD dst_unused:UNUSED_PAD src0_sel:DWORD src1_sel:BYTE_1
	v_and_b32_e32 v27, 3, v26
	v_bfe_u32 v89, v26, 2, 5
	v_ffbh_u32_e32 v99, v27
	v_cmp_eq_u32_e32 vcc_lo, 0, v89
	v_min_u32_e32 v99, 32, v99
	v_subrev_nc_u32_e32 v88, 29, v99
	v_sub_nc_u32_e32 v99, 30, v99
	v_lshlrev_b32_e32 v26, v88, v26
	v_lshlrev_b32_sdwa v88, v118, v12 dst_sel:DWORD dst_unused:UNUSED_PAD src0_sel:DWORD src1_sel:BYTE_1
	v_cndmask_b32_e32 v99, v89, v99, vcc_lo
	v_and_b32_e32 v26, 3, v26
	v_lshl_add_u32 v99, v99, 23, 0x37800000
	v_cndmask_b32_e32 v26, v27, v26, vcc_lo
	v_and_b32_e32 v27, 0x80000000, v88
	v_lshlrev_b32_e32 v26, 21, v26
	v_or3_b32 v99, v27, v99, v26
.LBB4_2936:                             ;   in Loop: Header=BB4_2910 Depth=3
	s_or_b32 exec_lo, exec_lo, s18
	v_cmp_gt_i16_sdwa s18, v8, v115 src0_sel:BYTE_1 src1_sel:DWORD
	s_mov_b32 s17, 0
	s_and_saveexec_b32 s22, s18
	s_xor_b32 s18, exec_lo, s22
	s_cbranch_execz .LBB4_3239
; %bb.2937:                             ;   in Loop: Header=BB4_2910 Depth=3
	v_cmp_eq_u16_sdwa s23, v8, v116 src0_sel:BYTE_1 src1_sel:DWORD
	s_mov_b32 s17, -1
	s_and_saveexec_b32 s22, s23
; %bb.2938:                             ;   in Loop: Header=BB4_2910 Depth=3
	s_xor_b32 s17, exec_lo, -1
; %bb.2939:                             ;   in Loop: Header=BB4_2910 Depth=3
	s_or_b32 exec_lo, exec_lo, s22
	s_and_b32 s17, s17, exec_lo
	s_or_saveexec_b32 s18, s18
	v_mov_b32_e32 v88, 0x7f800001
	s_xor_b32 exec_lo, exec_lo, s18
	s_cbranch_execnz .LBB4_3240
.LBB4_2940:                             ;   in Loop: Header=BB4_2910 Depth=3
	s_or_b32 exec_lo, exec_lo, s18
	s_and_saveexec_b32 s18, s17
	s_cbranch_execz .LBB4_2942
.LBB4_2941:                             ;   in Loop: Header=BB4_2910 Depth=3
	v_and_b32_sdwa v26, v117, v8 dst_sel:DWORD dst_unused:UNUSED_PAD src0_sel:DWORD src1_sel:BYTE_1
	v_and_b32_e32 v27, 3, v26
	v_bfe_u32 v90, v26, 2, 5
	v_ffbh_u32_e32 v88, v27
	v_cmp_eq_u32_e32 vcc_lo, 0, v90
	v_min_u32_e32 v88, 32, v88
	v_subrev_nc_u32_e32 v89, 29, v88
	v_sub_nc_u32_e32 v88, 30, v88
	v_lshlrev_b32_e32 v26, v89, v26
	v_lshlrev_b32_sdwa v89, v118, v8 dst_sel:DWORD dst_unused:UNUSED_PAD src0_sel:DWORD src1_sel:BYTE_1
	v_cndmask_b32_e32 v88, v90, v88, vcc_lo
	v_and_b32_e32 v26, 3, v26
	v_lshl_add_u32 v88, v88, 23, 0x37800000
	v_cndmask_b32_e32 v26, v27, v26, vcc_lo
	v_and_b32_e32 v27, 0x80000000, v89
	v_lshlrev_b32_e32 v26, 21, v26
	v_or3_b32 v88, v27, v88, v26
.LBB4_2942:                             ;   in Loop: Header=BB4_2910 Depth=3
	s_or_b32 exec_lo, exec_lo, s18
	v_mul_f32_e32 v88, v99, v88
	v_mov_b32_e32 v99, 0x8000
	s_mov_b32 s18, exec_lo
	v_and_b32_e32 v26, 0x7f800000, v88
	v_cmpx_ne_u32_e32 0x7f800000, v26
	s_cbranch_execz .LBB4_2950
; %bb.2943:                             ;   in Loop: Header=BB4_2910 Depth=3
	v_mov_b32_e32 v99, 0
	s_mov_b32 s22, exec_lo
	v_cmpx_ne_u32_e32 0, v88
	s_cbranch_execz .LBB4_2949
; %bb.2944:                             ;   in Loop: Header=BB4_2910 Depth=3
	v_bfe_u32 v26, v88, 23, 8
	v_and_b32_e32 v27, 0x7fffff, v88
	v_sub_nc_u32_e32 v99, 0x70, v26
	v_cmp_gt_u32_e32 vcc_lo, 0x71, v26
	v_or_b32_e32 v89, 0x800000, v27
	v_cndmask_b32_e32 v99, 0, v99, vcc_lo
	v_cmp_eq_u32_e32 vcc_lo, 0, v26
	v_add_nc_u32_e32 v26, 0xffffff91, v26
	v_cndmask_b32_e64 v99, v99, 0x6f, vcc_lo
	v_cndmask_b32_e32 v27, v89, v27, vcc_lo
	v_cndmask_b32_e64 v26, v26, 0xffffff92, vcc_lo
	v_lshl_add_u32 v90, 0x200000, v99, -1
	v_lshrrev_b32_e32 v89, v99, v27
	v_lshlrev_b32_e64 v92, v99, 0x100000
	v_and_b32_e32 v27, v90, v27
	v_bfe_u32 v91, v89, 21, 1
	v_cmp_eq_u32_e64 s17, v27, v92
	v_add_nc_u32_e32 v90, -1, v91
	v_lshrrev_b32_e32 v91, 23, v89
	v_cndmask_b32_e64 v27, 0, v90, s17
	v_add_nc_u32_e32 v90, v99, v26
	v_xor_b32_e32 v91, 1, v91
	s_mov_b32 s17, exec_lo
                                        ; implicit-def: $vgpr99
	v_add_nc_u32_e32 v27, v27, v89
	v_and_b32_e32 v26, 0x1fffff, v27
	v_add_nc_u32_e32 v89, v26, v89
	v_cmpx_ne_u32_e64 v90, v91
	s_xor_b32 s17, exec_lo, s17
; %bb.2945:                             ;   in Loop: Header=BB4_2910 Depth=3
	v_cmp_lt_u32_e32 vcc_lo, 0xffffff, v89
	v_sub_nc_u32_e32 v26, v90, v91
	v_cndmask_b32_e64 v27, 0, 1, vcc_lo
	v_add_co_ci_u32_e64 v99, null, 0, v26, vcc_lo
	v_lshrrev_b32_e32 v89, v27, v89
; %bb.2946:                             ;   in Loop: Header=BB4_2910 Depth=3
	s_andn2_saveexec_b32 s17, s17
; %bb.2947:                             ;   in Loop: Header=BB4_2910 Depth=3
	v_bfe_u32 v99, v89, 23, 1
; %bb.2948:                             ;   in Loop: Header=BB4_2910 Depth=3
	s_or_b32 exec_lo, exec_lo, s17
	v_lshrrev_b32_e32 v26, 21, v89
	v_min_i32_e32 v27, 31, v99
	v_cmp_gt_i32_e32 vcc_lo, 32, v99
	v_and_b32_sdwa v88, v88, v116 dst_sel:DWORD dst_unused:UNUSED_PAD src0_sel:BYTE_3 src1_sel:DWORD
	v_lshlrev_b32_e32 v27, 2, v27
	v_cndmask_b32_e32 v26, 3, v26, vcc_lo
	v_and_b32_e32 v27, 0xfc, v27
	v_and_b32_e32 v89, 3, v26
	v_or_b32_e32 v26, v99, v26
	v_or3_b32 v27, v88, v27, v89
	v_cmp_ne_u32_e32 vcc_lo, 0, v26
	v_lshlrev_b32_e32 v27, 8, v27
	v_cndmask_b32_e32 v99, 0, v27, vcc_lo
.LBB4_2949:                             ;   in Loop: Header=BB4_2910 Depth=3
	s_or_b32 exec_lo, exec_lo, s22
.LBB4_2950:                             ;   in Loop: Header=BB4_2910 Depth=3
	s_or_b32 exec_lo, exec_lo, s18
	v_and_b32_sdwa v89, v12, v119 dst_sel:DWORD dst_unused:UNUSED_PAD src0_sel:WORD_1 src1_sel:DWORD
	s_mov_b32 s17, 0
	s_mov_b32 s18, exec_lo
	v_cmpx_lt_i16_e32 0x7f, v89
	s_xor_b32 s18, exec_lo, s18
	s_cbranch_execz .LBB4_3241
; %bb.2951:                             ;   in Loop: Header=BB4_2910 Depth=3
	s_mov_b32 s17, -1
	s_mov_b32 s22, exec_lo
	v_cmpx_eq_u16_e32 0x80, v89
; %bb.2952:                             ;   in Loop: Header=BB4_2910 Depth=3
	s_xor_b32 s17, exec_lo, -1
; %bb.2953:                             ;   in Loop: Header=BB4_2910 Depth=3
	s_or_b32 exec_lo, exec_lo, s22
	s_and_b32 s17, s17, exec_lo
                                        ; implicit-def: $vgpr89
	s_or_saveexec_b32 s18, s18
	v_mov_b32_e32 v88, 0x7f800001
	s_xor_b32 exec_lo, exec_lo, s18
	s_cbranch_execnz .LBB4_3242
.LBB4_2954:                             ;   in Loop: Header=BB4_2910 Depth=3
	s_or_b32 exec_lo, exec_lo, s18
	s_and_saveexec_b32 s18, s17
	s_cbranch_execz .LBB4_2956
.LBB4_2955:                             ;   in Loop: Header=BB4_2910 Depth=3
	v_bfe_u32 v26, v12, 16, 2
	v_bfe_u32 v89, v12, 18, 5
	v_lshlrev_b32_e32 v90, 8, v12
	v_ffbh_u32_e32 v27, v26
	v_cmp_eq_u32_e32 vcc_lo, 0, v89
	v_min_u32_e32 v27, 32, v27
	v_subrev_nc_u32_e32 v88, 29, v27
	v_sub_nc_u32_e32 v27, 30, v27
	v_lshlrev_b32_sdwa v88, v88, v12 dst_sel:DWORD dst_unused:UNUSED_PAD src0_sel:DWORD src1_sel:WORD_1
	v_cndmask_b32_e32 v27, v89, v27, vcc_lo
	v_and_b32_e32 v88, 3, v88
	v_lshl_add_u32 v27, v27, 23, 0x37800000
	v_cndmask_b32_e32 v26, v26, v88, vcc_lo
	v_and_b32_e32 v88, 0x80000000, v90
	v_lshlrev_b32_e32 v26, 21, v26
	v_or3_b32 v88, v88, v27, v26
.LBB4_2956:                             ;   in Loop: Header=BB4_2910 Depth=3
	s_or_b32 exec_lo, exec_lo, s18
	v_and_b32_sdwa v90, v8, v119 dst_sel:DWORD dst_unused:UNUSED_PAD src0_sel:WORD_1 src1_sel:DWORD
	s_mov_b32 s17, 0
	s_mov_b32 s18, exec_lo
	v_cmpx_lt_i16_e32 0x7f, v90
	s_xor_b32 s18, exec_lo, s18
	s_cbranch_execz .LBB4_3243
; %bb.2957:                             ;   in Loop: Header=BB4_2910 Depth=3
	s_mov_b32 s17, -1
	s_mov_b32 s22, exec_lo
	v_cmpx_eq_u16_e32 0x80, v90
; %bb.2958:                             ;   in Loop: Header=BB4_2910 Depth=3
	s_xor_b32 s17, exec_lo, -1
; %bb.2959:                             ;   in Loop: Header=BB4_2910 Depth=3
	s_or_b32 exec_lo, exec_lo, s22
	s_and_b32 s17, s17, exec_lo
                                        ; implicit-def: $vgpr90
	s_or_saveexec_b32 s18, s18
	v_mov_b32_e32 v89, 0x7f800001
	s_xor_b32 exec_lo, exec_lo, s18
	s_cbranch_execnz .LBB4_3244
.LBB4_2960:                             ;   in Loop: Header=BB4_2910 Depth=3
	s_or_b32 exec_lo, exec_lo, s18
	s_and_saveexec_b32 s18, s17
	s_cbranch_execz .LBB4_2962
.LBB4_2961:                             ;   in Loop: Header=BB4_2910 Depth=3
	v_and_b32_sdwa v26, v8, v40 dst_sel:DWORD dst_unused:UNUSED_PAD src0_sel:WORD_1 src1_sel:DWORD
	v_bfe_u32 v90, v8, 18, 5
	v_lshlrev_b32_sdwa v91, v118, v8 dst_sel:DWORD dst_unused:UNUSED_PAD src0_sel:DWORD src1_sel:WORD_1
	v_ffbh_u32_e32 v27, v26
	v_cmp_eq_u32_e32 vcc_lo, 0, v90
	v_min_u32_e32 v27, 32, v27
	v_subrev_nc_u32_e32 v89, 29, v27
	v_sub_nc_u32_e32 v27, 30, v27
	v_lshlrev_b32_sdwa v89, v89, v8 dst_sel:DWORD dst_unused:UNUSED_PAD src0_sel:DWORD src1_sel:WORD_1
	v_cndmask_b32_e32 v27, v90, v27, vcc_lo
	v_and_b32_e32 v89, 3, v89
	v_lshl_add_u32 v27, v27, 23, 0x37800000
	v_cndmask_b32_e32 v26, v26, v89, vcc_lo
	v_and_b32_e32 v89, 0x80000000, v91
	v_lshlrev_b32_e32 v26, 21, v26
	v_or3_b32 v89, v89, v27, v26
.LBB4_2962:                             ;   in Loop: Header=BB4_2910 Depth=3
	s_or_b32 exec_lo, exec_lo, s18
	v_mul_f32_e32 v89, v88, v89
	v_mov_b32_e32 v88, 0x80
	s_mov_b32 s18, exec_lo
	v_and_b32_e32 v26, 0x7f800000, v89
	v_cmpx_ne_u32_e32 0x7f800000, v26
	s_cbranch_execz .LBB4_2970
; %bb.2963:                             ;   in Loop: Header=BB4_2910 Depth=3
	v_mov_b32_e32 v88, 0
	s_mov_b32 s22, exec_lo
	v_cmpx_ne_u32_e32 0, v89
	s_cbranch_execz .LBB4_2969
; %bb.2964:                             ;   in Loop: Header=BB4_2910 Depth=3
	v_bfe_u32 v26, v89, 23, 8
	v_and_b32_e32 v27, 0x7fffff, v89
	v_sub_nc_u32_e32 v88, 0x70, v26
	v_cmp_gt_u32_e32 vcc_lo, 0x71, v26
	v_or_b32_e32 v90, 0x800000, v27
	v_cndmask_b32_e32 v88, 0, v88, vcc_lo
	v_cmp_eq_u32_e32 vcc_lo, 0, v26
	v_add_nc_u32_e32 v26, 0xffffff91, v26
	v_cndmask_b32_e64 v88, v88, 0x6f, vcc_lo
	v_cndmask_b32_e32 v27, v90, v27, vcc_lo
	v_cndmask_b32_e64 v26, v26, 0xffffff92, vcc_lo
	v_lshl_add_u32 v91, 0x200000, v88, -1
	v_lshrrev_b32_e32 v90, v88, v27
	v_lshlrev_b32_e64 v93, v88, 0x100000
	v_and_b32_e32 v27, v91, v27
	v_bfe_u32 v92, v90, 21, 1
	v_cmp_eq_u32_e64 s17, v27, v93
	v_add_nc_u32_e32 v91, -1, v92
	v_lshrrev_b32_e32 v92, 23, v90
	v_cndmask_b32_e64 v27, 0, v91, s17
	v_add_nc_u32_e32 v91, v88, v26
	v_xor_b32_e32 v92, 1, v92
	s_mov_b32 s17, exec_lo
                                        ; implicit-def: $vgpr88
	v_add_nc_u32_e32 v27, v27, v90
	v_and_b32_e32 v26, 0x1fffff, v27
	v_add_nc_u32_e32 v90, v26, v90
	v_cmpx_ne_u32_e64 v91, v92
	s_xor_b32 s17, exec_lo, s17
; %bb.2965:                             ;   in Loop: Header=BB4_2910 Depth=3
	v_cmp_lt_u32_e32 vcc_lo, 0xffffff, v90
	v_sub_nc_u32_e32 v26, v91, v92
	v_cndmask_b32_e64 v27, 0, 1, vcc_lo
	v_add_co_ci_u32_e64 v88, null, 0, v26, vcc_lo
	v_lshrrev_b32_e32 v90, v27, v90
; %bb.2966:                             ;   in Loop: Header=BB4_2910 Depth=3
	s_andn2_saveexec_b32 s17, s17
; %bb.2967:                             ;   in Loop: Header=BB4_2910 Depth=3
	v_bfe_u32 v88, v90, 23, 1
; %bb.2968:                             ;   in Loop: Header=BB4_2910 Depth=3
	s_or_b32 exec_lo, exec_lo, s17
	v_lshrrev_b32_e32 v26, 21, v90
	v_min_i32_e32 v27, 31, v88
	v_cmp_gt_i32_e32 vcc_lo, 32, v88
	v_and_b32_sdwa v89, v89, v116 dst_sel:DWORD dst_unused:UNUSED_PAD src0_sel:BYTE_3 src1_sel:DWORD
	v_lshlrev_b32_e32 v27, 2, v27
	v_cndmask_b32_e32 v26, 3, v26, vcc_lo
	v_and_b32_e32 v27, 0xfc, v27
	v_and_b32_e32 v90, 3, v26
	v_or_b32_e32 v26, v88, v26
	v_or3_b32 v27, v27, v89, v90
	v_cmp_ne_u32_e32 vcc_lo, 0, v26
	v_cndmask_b32_e32 v88, 0, v27, vcc_lo
.LBB4_2969:                             ;   in Loop: Header=BB4_2910 Depth=3
	s_or_b32 exec_lo, exec_lo, s22
.LBB4_2970:                             ;   in Loop: Header=BB4_2910 Depth=3
	s_or_b32 exec_lo, exec_lo, s18
	v_cmp_gt_i16_sdwa s18, v12, v115 src0_sel:BYTE_3 src1_sel:DWORD
	s_mov_b32 s17, 0
	s_and_saveexec_b32 s22, s18
	s_xor_b32 s18, exec_lo, s22
	s_cbranch_execz .LBB4_3245
; %bb.2971:                             ;   in Loop: Header=BB4_2910 Depth=3
	v_cmp_eq_u16_sdwa s23, v12, v116 src0_sel:BYTE_3 src1_sel:DWORD
	s_mov_b32 s17, -1
	s_and_saveexec_b32 s22, s23
; %bb.2972:                             ;   in Loop: Header=BB4_2910 Depth=3
	s_xor_b32 s17, exec_lo, -1
; %bb.2973:                             ;   in Loop: Header=BB4_2910 Depth=3
	s_or_b32 exec_lo, exec_lo, s22
	s_and_b32 s17, s17, exec_lo
	s_or_saveexec_b32 s18, s18
	v_mov_b32_e32 v89, 0x7f800001
	s_xor_b32 exec_lo, exec_lo, s18
	s_cbranch_execnz .LBB4_3246
.LBB4_2974:                             ;   in Loop: Header=BB4_2910 Depth=3
	s_or_b32 exec_lo, exec_lo, s18
	s_and_saveexec_b32 s18, s17
	s_cbranch_execz .LBB4_2976
.LBB4_2975:                             ;   in Loop: Header=BB4_2910 Depth=3
	v_bfe_u32 v26, v12, 24, 2
	v_bfe_u32 v90, v12, 26, 5
	v_ffbh_u32_e32 v27, v26
	v_cmp_eq_u32_e32 vcc_lo, 0, v90
	v_min_u32_e32 v27, 32, v27
	v_subrev_nc_u32_e32 v89, 29, v27
	v_sub_nc_u32_e32 v27, 30, v27
	v_lshlrev_b32_sdwa v89, v89, v12 dst_sel:DWORD dst_unused:UNUSED_PAD src0_sel:DWORD src1_sel:BYTE_3
	v_cndmask_b32_e32 v27, v90, v27, vcc_lo
	v_and_b32_e32 v12, 0x80000000, v12
	v_and_b32_e32 v89, 3, v89
	v_lshl_add_u32 v27, v27, 23, 0x37800000
	v_cndmask_b32_e32 v26, v26, v89, vcc_lo
	v_lshlrev_b32_e32 v26, 21, v26
	v_or3_b32 v89, v12, v27, v26
.LBB4_2976:                             ;   in Loop: Header=BB4_2910 Depth=3
	s_or_b32 exec_lo, exec_lo, s18
	v_cmp_gt_i16_sdwa s18, v8, v115 src0_sel:BYTE_3 src1_sel:DWORD
	s_mov_b32 s17, 0
	s_and_saveexec_b32 s22, s18
	s_xor_b32 s18, exec_lo, s22
	s_cbranch_execz .LBB4_3247
; %bb.2977:                             ;   in Loop: Header=BB4_2910 Depth=3
	v_cmp_eq_u16_sdwa s23, v8, v116 src0_sel:BYTE_3 src1_sel:DWORD
	s_mov_b32 s17, -1
	s_and_saveexec_b32 s22, s23
; %bb.2978:                             ;   in Loop: Header=BB4_2910 Depth=3
	s_xor_b32 s17, exec_lo, -1
; %bb.2979:                             ;   in Loop: Header=BB4_2910 Depth=3
	s_or_b32 exec_lo, exec_lo, s22
	s_and_b32 s17, s17, exec_lo
	s_or_saveexec_b32 s18, s18
	v_mov_b32_e32 v12, 0x7f800001
	s_xor_b32 exec_lo, exec_lo, s18
	s_cbranch_execnz .LBB4_3248
.LBB4_2980:                             ;   in Loop: Header=BB4_2910 Depth=3
	s_or_b32 exec_lo, exec_lo, s18
	s_and_saveexec_b32 s18, s17
	s_cbranch_execz .LBB4_2982
.LBB4_2981:                             ;   in Loop: Header=BB4_2910 Depth=3
	v_and_b32_sdwa v12, v8, v40 dst_sel:DWORD dst_unused:UNUSED_PAD src0_sel:BYTE_3 src1_sel:DWORD
	v_bfe_u32 v90, v8, 26, 5
	v_ffbh_u32_e32 v26, v12
	v_cmp_eq_u32_e32 vcc_lo, 0, v90
	v_min_u32_e32 v26, 32, v26
	v_subrev_nc_u32_e32 v27, 29, v26
	v_sub_nc_u32_e32 v26, 30, v26
	v_lshlrev_b32_sdwa v27, v27, v8 dst_sel:DWORD dst_unused:UNUSED_PAD src0_sel:DWORD src1_sel:BYTE_3
	v_cndmask_b32_e32 v26, v90, v26, vcc_lo
	v_and_b32_e32 v8, 0x80000000, v8
	v_and_b32_e32 v27, 3, v27
	v_lshl_add_u32 v26, v26, 23, 0x37800000
	v_cndmask_b32_e32 v12, v12, v27, vcc_lo
	v_lshlrev_b32_e32 v12, 21, v12
	v_or3_b32 v12, v8, v26, v12
.LBB4_2982:                             ;   in Loop: Header=BB4_2910 Depth=3
	s_or_b32 exec_lo, exec_lo, s18
	v_mul_f32_e32 v12, v89, v12
	v_and_b32_e32 v8, 0x7f800000, v12
	v_cmp_ne_u32_e32 vcc_lo, 0x7f800000, v8
	v_mov_b32_e32 v8, 0x8000
	s_and_saveexec_b32 s18, vcc_lo
	s_cbranch_execz .LBB4_2990
; %bb.2983:                             ;   in Loop: Header=BB4_2910 Depth=3
	v_mov_b32_e32 v8, 0
	s_mov_b32 s22, exec_lo
	v_cmpx_ne_u32_e32 0, v12
	s_cbranch_execz .LBB4_2989
; %bb.2984:                             ;   in Loop: Header=BB4_2910 Depth=3
	v_bfe_u32 v8, v12, 23, 8
	v_and_b32_e32 v26, 0x7fffff, v12
	v_sub_nc_u32_e32 v27, 0x70, v8
	v_cmp_gt_u32_e32 vcc_lo, 0x71, v8
	v_or_b32_e32 v89, 0x800000, v26
	v_cndmask_b32_e32 v27, 0, v27, vcc_lo
	v_cmp_eq_u32_e32 vcc_lo, 0, v8
	v_add_nc_u32_e32 v8, 0xffffff91, v8
	v_cndmask_b32_e64 v27, v27, 0x6f, vcc_lo
	v_cndmask_b32_e32 v26, v89, v26, vcc_lo
	v_cndmask_b32_e64 v8, v8, 0xffffff92, vcc_lo
	v_lshl_add_u32 v90, 0x200000, v27, -1
	v_lshrrev_b32_e32 v89, v27, v26
	v_lshlrev_b32_e64 v92, v27, 0x100000
	v_and_b32_e32 v26, v90, v26
	v_bfe_u32 v91, v89, 21, 1
	v_cmp_eq_u32_e64 s17, v26, v92
	v_add_nc_u32_e32 v90, -1, v91
	v_lshrrev_b32_e32 v91, 23, v89
	v_cndmask_b32_e64 v26, 0, v90, s17
	v_add_nc_u32_e32 v90, v27, v8
	v_xor_b32_e32 v91, 1, v91
	s_mov_b32 s17, exec_lo
	v_add_nc_u32_e32 v26, v26, v89
	v_and_b32_e32 v8, 0x1fffff, v26
	v_add_nc_u32_e32 v89, v8, v89
                                        ; implicit-def: $vgpr8
	v_cmpx_ne_u32_e64 v90, v91
	s_xor_b32 s17, exec_lo, s17
; %bb.2985:                             ;   in Loop: Header=BB4_2910 Depth=3
	v_cmp_lt_u32_e32 vcc_lo, 0xffffff, v89
	v_sub_nc_u32_e32 v8, v90, v91
	v_cndmask_b32_e64 v26, 0, 1, vcc_lo
	v_add_co_ci_u32_e64 v8, null, 0, v8, vcc_lo
	v_lshrrev_b32_e32 v89, v26, v89
; %bb.2986:                             ;   in Loop: Header=BB4_2910 Depth=3
	s_andn2_saveexec_b32 s17, s17
; %bb.2987:                             ;   in Loop: Header=BB4_2910 Depth=3
	v_bfe_u32 v8, v89, 23, 1
; %bb.2988:                             ;   in Loop: Header=BB4_2910 Depth=3
	s_or_b32 exec_lo, exec_lo, s17
	v_lshrrev_b32_e32 v26, 21, v89
	v_min_i32_e32 v27, 31, v8
	v_cmp_gt_i32_e32 vcc_lo, 32, v8
	v_and_b32_sdwa v12, v12, v116 dst_sel:DWORD dst_unused:UNUSED_PAD src0_sel:BYTE_3 src1_sel:DWORD
	v_lshlrev_b32_e32 v27, 2, v27
	v_cndmask_b32_e32 v26, 3, v26, vcc_lo
	v_and_b32_e32 v27, 0xfc, v27
	v_and_b32_e32 v89, 3, v26
	v_or_b32_e32 v8, v8, v26
	v_or3_b32 v12, v12, v27, v89
	v_cmp_ne_u32_e32 vcc_lo, 0, v8
	v_lshlrev_b32_e32 v12, 8, v12
	v_cndmask_b32_e32 v8, 0, v12, vcc_lo
.LBB4_2989:                             ;   in Loop: Header=BB4_2910 Depth=3
	s_or_b32 exec_lo, exec_lo, s22
.LBB4_2990:                             ;   in Loop: Header=BB4_2910 Depth=3
	s_or_b32 exec_lo, exec_lo, s18
	v_cmp_gt_i16_sdwa s18, v13, v115 src0_sel:BYTE_0 src1_sel:DWORD
	s_mov_b32 s17, 0
	s_and_saveexec_b32 s22, s18
	s_xor_b32 s18, exec_lo, s22
	s_cbranch_execz .LBB4_3249
; %bb.2991:                             ;   in Loop: Header=BB4_2910 Depth=3
	v_cmp_eq_u16_sdwa s23, v13, v116 src0_sel:BYTE_0 src1_sel:DWORD
	s_mov_b32 s17, -1
	s_and_saveexec_b32 s22, s23
; %bb.2992:                             ;   in Loop: Header=BB4_2910 Depth=3
	s_xor_b32 s17, exec_lo, -1
; %bb.2993:                             ;   in Loop: Header=BB4_2910 Depth=3
	s_or_b32 exec_lo, exec_lo, s22
	s_and_b32 s17, s17, exec_lo
	s_or_saveexec_b32 s18, s18
	v_mov_b32_e32 v12, 0x7f800001
	s_xor_b32 exec_lo, exec_lo, s18
	s_cbranch_execnz .LBB4_3250
.LBB4_2994:                             ;   in Loop: Header=BB4_2910 Depth=3
	s_or_b32 exec_lo, exec_lo, s18
	s_and_saveexec_b32 s18, s17
	s_cbranch_execz .LBB4_2996
.LBB4_2995:                             ;   in Loop: Header=BB4_2910 Depth=3
	v_and_b32_e32 v12, 3, v13
	v_bfe_u32 v89, v13, 2, 5
	v_lshlrev_b32_e32 v90, 24, v13
	v_ffbh_u32_e32 v26, v12
	v_cmp_eq_u32_e32 vcc_lo, 0, v89
	v_min_u32_e32 v26, 32, v26
	v_subrev_nc_u32_e32 v27, 29, v26
	v_sub_nc_u32_e32 v26, 30, v26
	v_lshlrev_b32_e32 v27, v27, v13
	v_cndmask_b32_e32 v26, v89, v26, vcc_lo
	v_and_b32_e32 v27, 3, v27
	v_lshl_add_u32 v26, v26, 23, 0x37800000
	v_cndmask_b32_e32 v12, v12, v27, vcc_lo
	v_and_b32_e32 v27, 0x80000000, v90
	v_lshlrev_b32_e32 v12, 21, v12
	v_or3_b32 v12, v27, v26, v12
.LBB4_2996:                             ;   in Loop: Header=BB4_2910 Depth=3
	s_or_b32 exec_lo, exec_lo, s18
	v_cmp_gt_i16_sdwa s18, v9, v115 src0_sel:BYTE_0 src1_sel:DWORD
	s_mov_b32 s17, 0
	s_and_saveexec_b32 s22, s18
	s_xor_b32 s18, exec_lo, s22
	s_cbranch_execz .LBB4_3251
; %bb.2997:                             ;   in Loop: Header=BB4_2910 Depth=3
	v_cmp_eq_u16_sdwa s23, v9, v116 src0_sel:BYTE_0 src1_sel:DWORD
	s_mov_b32 s17, -1
	s_and_saveexec_b32 s22, s23
; %bb.2998:                             ;   in Loop: Header=BB4_2910 Depth=3
	s_xor_b32 s17, exec_lo, -1
; %bb.2999:                             ;   in Loop: Header=BB4_2910 Depth=3
	s_or_b32 exec_lo, exec_lo, s22
	s_and_b32 s17, s17, exec_lo
	s_or_saveexec_b32 s18, s18
	v_mov_b32_e32 v89, 0x7f800001
	s_xor_b32 exec_lo, exec_lo, s18
	s_cbranch_execnz .LBB4_3252
.LBB4_3000:                             ;   in Loop: Header=BB4_2910 Depth=3
	s_or_b32 exec_lo, exec_lo, s18
	s_and_saveexec_b32 s18, s17
	s_cbranch_execz .LBB4_3002
.LBB4_3001:                             ;   in Loop: Header=BB4_2910 Depth=3
	v_and_b32_e32 v26, 3, v9
	v_bfe_u32 v90, v9, 2, 5
	v_lshlrev_b32_e32 v91, 24, v9
	v_ffbh_u32_e32 v27, v26
	v_cmp_eq_u32_e32 vcc_lo, 0, v90
	v_min_u32_e32 v27, 32, v27
	v_subrev_nc_u32_e32 v89, 29, v27
	v_sub_nc_u32_e32 v27, 30, v27
	v_lshlrev_b32_e32 v89, v89, v9
	v_cndmask_b32_e32 v27, v90, v27, vcc_lo
	v_and_b32_e32 v89, 3, v89
	v_lshl_add_u32 v27, v27, 23, 0x37800000
	v_cndmask_b32_e32 v26, v26, v89, vcc_lo
	v_and_b32_e32 v89, 0x80000000, v91
	v_lshlrev_b32_e32 v26, 21, v26
	v_or3_b32 v89, v89, v27, v26
.LBB4_3002:                             ;   in Loop: Header=BB4_2910 Depth=3
	s_or_b32 exec_lo, exec_lo, s18
	v_mul_f32_e32 v89, v12, v89
	v_and_b32_e32 v12, 0x7f800000, v89
	v_cmp_ne_u32_e32 vcc_lo, 0x7f800000, v12
	v_mov_b32_e32 v12, 0x80
	s_and_saveexec_b32 s18, vcc_lo
	s_cbranch_execz .LBB4_3010
; %bb.3003:                             ;   in Loop: Header=BB4_2910 Depth=3
	v_mov_b32_e32 v12, 0
	s_mov_b32 s22, exec_lo
	v_cmpx_ne_u32_e32 0, v89
	s_cbranch_execz .LBB4_3009
; %bb.3004:                             ;   in Loop: Header=BB4_2910 Depth=3
	v_bfe_u32 v12, v89, 23, 8
	v_and_b32_e32 v26, 0x7fffff, v89
	v_sub_nc_u32_e32 v27, 0x70, v12
	v_cmp_gt_u32_e32 vcc_lo, 0x71, v12
	v_or_b32_e32 v90, 0x800000, v26
	v_cndmask_b32_e32 v27, 0, v27, vcc_lo
	v_cmp_eq_u32_e32 vcc_lo, 0, v12
	v_add_nc_u32_e32 v12, 0xffffff91, v12
	v_cndmask_b32_e64 v27, v27, 0x6f, vcc_lo
	v_cndmask_b32_e32 v26, v90, v26, vcc_lo
	v_cndmask_b32_e64 v12, v12, 0xffffff92, vcc_lo
	v_lshl_add_u32 v91, 0x200000, v27, -1
	v_lshrrev_b32_e32 v90, v27, v26
	v_lshlrev_b32_e64 v93, v27, 0x100000
	v_and_b32_e32 v26, v91, v26
	v_bfe_u32 v92, v90, 21, 1
	v_cmp_eq_u32_e64 s17, v26, v93
	v_add_nc_u32_e32 v91, -1, v92
	v_lshrrev_b32_e32 v92, 23, v90
	v_cndmask_b32_e64 v26, 0, v91, s17
	v_add_nc_u32_e32 v91, v27, v12
	v_xor_b32_e32 v92, 1, v92
	s_mov_b32 s17, exec_lo
	v_add_nc_u32_e32 v26, v26, v90
	v_and_b32_e32 v12, 0x1fffff, v26
	v_add_nc_u32_e32 v90, v12, v90
                                        ; implicit-def: $vgpr12
	v_cmpx_ne_u32_e64 v91, v92
	s_xor_b32 s17, exec_lo, s17
; %bb.3005:                             ;   in Loop: Header=BB4_2910 Depth=3
	v_cmp_lt_u32_e32 vcc_lo, 0xffffff, v90
	v_sub_nc_u32_e32 v12, v91, v92
	v_cndmask_b32_e64 v26, 0, 1, vcc_lo
	v_add_co_ci_u32_e64 v12, null, 0, v12, vcc_lo
	v_lshrrev_b32_e32 v90, v26, v90
; %bb.3006:                             ;   in Loop: Header=BB4_2910 Depth=3
	s_andn2_saveexec_b32 s17, s17
; %bb.3007:                             ;   in Loop: Header=BB4_2910 Depth=3
	v_bfe_u32 v12, v90, 23, 1
; %bb.3008:                             ;   in Loop: Header=BB4_2910 Depth=3
	s_or_b32 exec_lo, exec_lo, s17
	v_lshrrev_b32_e32 v26, 21, v90
	v_min_i32_e32 v27, 31, v12
	v_cmp_gt_i32_e32 vcc_lo, 32, v12
	v_and_b32_sdwa v89, v89, v116 dst_sel:DWORD dst_unused:UNUSED_PAD src0_sel:BYTE_3 src1_sel:DWORD
	v_lshlrev_b32_e32 v27, 2, v27
	v_cndmask_b32_e32 v26, 3, v26, vcc_lo
	v_and_b32_e32 v27, 0xfc, v27
	v_and_b32_e32 v90, 3, v26
	v_or_b32_e32 v12, v12, v26
	v_or3_b32 v26, v27, v89, v90
	v_cmp_ne_u32_e32 vcc_lo, 0, v12
	v_cndmask_b32_e32 v12, 0, v26, vcc_lo
.LBB4_3009:                             ;   in Loop: Header=BB4_2910 Depth=3
	s_or_b32 exec_lo, exec_lo, s22
.LBB4_3010:                             ;   in Loop: Header=BB4_2910 Depth=3
	s_or_b32 exec_lo, exec_lo, s18
	v_cmp_gt_i16_sdwa s18, v13, v115 src0_sel:BYTE_1 src1_sel:DWORD
	s_mov_b32 s17, 0
	s_and_saveexec_b32 s22, s18
	s_xor_b32 s18, exec_lo, s22
	s_cbranch_execz .LBB4_3253
; %bb.3011:                             ;   in Loop: Header=BB4_2910 Depth=3
	v_cmp_eq_u16_sdwa s23, v13, v116 src0_sel:BYTE_1 src1_sel:DWORD
	s_mov_b32 s17, -1
	s_and_saveexec_b32 s22, s23
; %bb.3012:                             ;   in Loop: Header=BB4_2910 Depth=3
	s_xor_b32 s17, exec_lo, -1
; %bb.3013:                             ;   in Loop: Header=BB4_2910 Depth=3
	s_or_b32 exec_lo, exec_lo, s22
	s_and_b32 s17, s17, exec_lo
	s_or_saveexec_b32 s18, s18
	v_mov_b32_e32 v89, 0x7f800001
	s_xor_b32 exec_lo, exec_lo, s18
	s_cbranch_execnz .LBB4_3254
.LBB4_3014:                             ;   in Loop: Header=BB4_2910 Depth=3
	s_or_b32 exec_lo, exec_lo, s18
	s_and_saveexec_b32 s18, s17
	s_cbranch_execz .LBB4_3016
.LBB4_3015:                             ;   in Loop: Header=BB4_2910 Depth=3
	v_and_b32_sdwa v26, v117, v13 dst_sel:DWORD dst_unused:UNUSED_PAD src0_sel:DWORD src1_sel:BYTE_1
	v_and_b32_e32 v27, 3, v26
	v_bfe_u32 v91, v26, 2, 5
	v_ffbh_u32_e32 v89, v27
	v_cmp_eq_u32_e32 vcc_lo, 0, v91
	v_min_u32_e32 v89, 32, v89
	v_subrev_nc_u32_e32 v90, 29, v89
	v_sub_nc_u32_e32 v89, 30, v89
	v_lshlrev_b32_e32 v26, v90, v26
	v_lshlrev_b32_sdwa v90, v118, v13 dst_sel:DWORD dst_unused:UNUSED_PAD src0_sel:DWORD src1_sel:BYTE_1
	v_cndmask_b32_e32 v89, v91, v89, vcc_lo
	v_and_b32_e32 v26, 3, v26
	v_lshl_add_u32 v89, v89, 23, 0x37800000
	v_cndmask_b32_e32 v26, v27, v26, vcc_lo
	v_and_b32_e32 v27, 0x80000000, v90
	v_lshlrev_b32_e32 v26, 21, v26
	v_or3_b32 v89, v27, v89, v26
.LBB4_3016:                             ;   in Loop: Header=BB4_2910 Depth=3
	s_or_b32 exec_lo, exec_lo, s18
	v_cmp_gt_i16_sdwa s18, v9, v115 src0_sel:BYTE_1 src1_sel:DWORD
	s_mov_b32 s17, 0
	s_and_saveexec_b32 s22, s18
	s_xor_b32 s18, exec_lo, s22
	s_cbranch_execz .LBB4_3255
; %bb.3017:                             ;   in Loop: Header=BB4_2910 Depth=3
	v_cmp_eq_u16_sdwa s23, v9, v116 src0_sel:BYTE_1 src1_sel:DWORD
	s_mov_b32 s17, -1
	s_and_saveexec_b32 s22, s23
; %bb.3018:                             ;   in Loop: Header=BB4_2910 Depth=3
	s_xor_b32 s17, exec_lo, -1
; %bb.3019:                             ;   in Loop: Header=BB4_2910 Depth=3
	s_or_b32 exec_lo, exec_lo, s22
	s_and_b32 s17, s17, exec_lo
	s_or_saveexec_b32 s18, s18
	v_mov_b32_e32 v90, 0x7f800001
	s_xor_b32 exec_lo, exec_lo, s18
	s_cbranch_execnz .LBB4_3256
.LBB4_3020:                             ;   in Loop: Header=BB4_2910 Depth=3
	s_or_b32 exec_lo, exec_lo, s18
	s_and_saveexec_b32 s18, s17
	s_cbranch_execz .LBB4_3022
.LBB4_3021:                             ;   in Loop: Header=BB4_2910 Depth=3
	v_and_b32_sdwa v26, v117, v9 dst_sel:DWORD dst_unused:UNUSED_PAD src0_sel:DWORD src1_sel:BYTE_1
	v_and_b32_e32 v27, 3, v26
	v_bfe_u32 v92, v26, 2, 5
	v_ffbh_u32_e32 v90, v27
	v_cmp_eq_u32_e32 vcc_lo, 0, v92
	v_min_u32_e32 v90, 32, v90
	v_subrev_nc_u32_e32 v91, 29, v90
	v_sub_nc_u32_e32 v90, 30, v90
	v_lshlrev_b32_e32 v26, v91, v26
	v_lshlrev_b32_sdwa v91, v118, v9 dst_sel:DWORD dst_unused:UNUSED_PAD src0_sel:DWORD src1_sel:BYTE_1
	v_cndmask_b32_e32 v90, v92, v90, vcc_lo
	v_and_b32_e32 v26, 3, v26
	v_lshl_add_u32 v90, v90, 23, 0x37800000
	v_cndmask_b32_e32 v26, v27, v26, vcc_lo
	v_and_b32_e32 v27, 0x80000000, v91
	v_lshlrev_b32_e32 v26, 21, v26
	v_or3_b32 v90, v27, v90, v26
.LBB4_3022:                             ;   in Loop: Header=BB4_2910 Depth=3
	s_or_b32 exec_lo, exec_lo, s18
	v_mul_f32_e32 v90, v89, v90
	v_mov_b32_e32 v89, 0x8000
	s_mov_b32 s18, exec_lo
	v_and_b32_e32 v26, 0x7f800000, v90
	v_cmpx_ne_u32_e32 0x7f800000, v26
	s_cbranch_execz .LBB4_3030
; %bb.3023:                             ;   in Loop: Header=BB4_2910 Depth=3
	v_mov_b32_e32 v89, 0
	s_mov_b32 s22, exec_lo
	v_cmpx_ne_u32_e32 0, v90
	s_cbranch_execz .LBB4_3029
; %bb.3024:                             ;   in Loop: Header=BB4_2910 Depth=3
	v_bfe_u32 v26, v90, 23, 8
	v_and_b32_e32 v27, 0x7fffff, v90
	v_sub_nc_u32_e32 v89, 0x70, v26
	v_cmp_gt_u32_e32 vcc_lo, 0x71, v26
	v_or_b32_e32 v91, 0x800000, v27
	v_cndmask_b32_e32 v89, 0, v89, vcc_lo
	v_cmp_eq_u32_e32 vcc_lo, 0, v26
	v_add_nc_u32_e32 v26, 0xffffff91, v26
	v_cndmask_b32_e64 v89, v89, 0x6f, vcc_lo
	v_cndmask_b32_e32 v27, v91, v27, vcc_lo
	v_cndmask_b32_e64 v26, v26, 0xffffff92, vcc_lo
	v_lshl_add_u32 v92, 0x200000, v89, -1
	v_lshrrev_b32_e32 v91, v89, v27
	v_lshlrev_b32_e64 v94, v89, 0x100000
	v_and_b32_e32 v27, v92, v27
	v_bfe_u32 v93, v91, 21, 1
	v_cmp_eq_u32_e64 s17, v27, v94
	v_add_nc_u32_e32 v92, -1, v93
	v_lshrrev_b32_e32 v93, 23, v91
	v_cndmask_b32_e64 v27, 0, v92, s17
	v_add_nc_u32_e32 v92, v89, v26
	v_xor_b32_e32 v93, 1, v93
	s_mov_b32 s17, exec_lo
                                        ; implicit-def: $vgpr89
	v_add_nc_u32_e32 v27, v27, v91
	v_and_b32_e32 v26, 0x1fffff, v27
	v_add_nc_u32_e32 v91, v26, v91
	v_cmpx_ne_u32_e64 v92, v93
	s_xor_b32 s17, exec_lo, s17
; %bb.3025:                             ;   in Loop: Header=BB4_2910 Depth=3
	v_cmp_lt_u32_e32 vcc_lo, 0xffffff, v91
	v_sub_nc_u32_e32 v26, v92, v93
	v_cndmask_b32_e64 v27, 0, 1, vcc_lo
	v_add_co_ci_u32_e64 v89, null, 0, v26, vcc_lo
	v_lshrrev_b32_e32 v91, v27, v91
; %bb.3026:                             ;   in Loop: Header=BB4_2910 Depth=3
	s_andn2_saveexec_b32 s17, s17
; %bb.3027:                             ;   in Loop: Header=BB4_2910 Depth=3
	v_bfe_u32 v89, v91, 23, 1
; %bb.3028:                             ;   in Loop: Header=BB4_2910 Depth=3
	s_or_b32 exec_lo, exec_lo, s17
	v_lshrrev_b32_e32 v26, 21, v91
	v_min_i32_e32 v27, 31, v89
	v_cmp_gt_i32_e32 vcc_lo, 32, v89
	v_and_b32_sdwa v90, v90, v116 dst_sel:DWORD dst_unused:UNUSED_PAD src0_sel:BYTE_3 src1_sel:DWORD
	v_lshlrev_b32_e32 v27, 2, v27
	v_cndmask_b32_e32 v26, 3, v26, vcc_lo
	v_and_b32_e32 v27, 0xfc, v27
	v_and_b32_e32 v91, 3, v26
	v_or_b32_e32 v26, v89, v26
	v_or3_b32 v27, v90, v27, v91
	v_cmp_ne_u32_e32 vcc_lo, 0, v26
	v_lshlrev_b32_e32 v27, 8, v27
	v_cndmask_b32_e32 v89, 0, v27, vcc_lo
.LBB4_3029:                             ;   in Loop: Header=BB4_2910 Depth=3
	s_or_b32 exec_lo, exec_lo, s22
.LBB4_3030:                             ;   in Loop: Header=BB4_2910 Depth=3
	s_or_b32 exec_lo, exec_lo, s18
	v_and_b32_sdwa v91, v13, v119 dst_sel:DWORD dst_unused:UNUSED_PAD src0_sel:WORD_1 src1_sel:DWORD
	s_mov_b32 s17, 0
	s_mov_b32 s18, exec_lo
	v_cmpx_lt_i16_e32 0x7f, v91
	s_xor_b32 s18, exec_lo, s18
	s_cbranch_execz .LBB4_3257
; %bb.3031:                             ;   in Loop: Header=BB4_2910 Depth=3
	s_mov_b32 s17, -1
	s_mov_b32 s22, exec_lo
	v_cmpx_eq_u16_e32 0x80, v91
; %bb.3032:                             ;   in Loop: Header=BB4_2910 Depth=3
	s_xor_b32 s17, exec_lo, -1
; %bb.3033:                             ;   in Loop: Header=BB4_2910 Depth=3
	s_or_b32 exec_lo, exec_lo, s22
	s_and_b32 s17, s17, exec_lo
                                        ; implicit-def: $vgpr91
	s_or_saveexec_b32 s18, s18
	v_mov_b32_e32 v90, 0x7f800001
	s_xor_b32 exec_lo, exec_lo, s18
	s_cbranch_execnz .LBB4_3258
.LBB4_3034:                             ;   in Loop: Header=BB4_2910 Depth=3
	s_or_b32 exec_lo, exec_lo, s18
	s_and_saveexec_b32 s18, s17
	s_cbranch_execz .LBB4_3036
.LBB4_3035:                             ;   in Loop: Header=BB4_2910 Depth=3
	v_bfe_u32 v26, v13, 16, 2
	v_bfe_u32 v91, v13, 18, 5
	v_lshlrev_b32_e32 v92, 8, v13
	v_ffbh_u32_e32 v27, v26
	v_cmp_eq_u32_e32 vcc_lo, 0, v91
	v_min_u32_e32 v27, 32, v27
	v_subrev_nc_u32_e32 v90, 29, v27
	v_sub_nc_u32_e32 v27, 30, v27
	v_lshlrev_b32_sdwa v90, v90, v13 dst_sel:DWORD dst_unused:UNUSED_PAD src0_sel:DWORD src1_sel:WORD_1
	v_cndmask_b32_e32 v27, v91, v27, vcc_lo
	v_and_b32_e32 v90, 3, v90
	v_lshl_add_u32 v27, v27, 23, 0x37800000
	v_cndmask_b32_e32 v26, v26, v90, vcc_lo
	v_and_b32_e32 v90, 0x80000000, v92
	v_lshlrev_b32_e32 v26, 21, v26
	v_or3_b32 v90, v90, v27, v26
.LBB4_3036:                             ;   in Loop: Header=BB4_2910 Depth=3
	s_or_b32 exec_lo, exec_lo, s18
	v_and_b32_sdwa v92, v9, v119 dst_sel:DWORD dst_unused:UNUSED_PAD src0_sel:WORD_1 src1_sel:DWORD
	s_mov_b32 s17, 0
	s_mov_b32 s18, exec_lo
	v_cmpx_lt_i16_e32 0x7f, v92
	s_xor_b32 s18, exec_lo, s18
	s_cbranch_execz .LBB4_3259
; %bb.3037:                             ;   in Loop: Header=BB4_2910 Depth=3
	s_mov_b32 s17, -1
	s_mov_b32 s22, exec_lo
	v_cmpx_eq_u16_e32 0x80, v92
; %bb.3038:                             ;   in Loop: Header=BB4_2910 Depth=3
	s_xor_b32 s17, exec_lo, -1
; %bb.3039:                             ;   in Loop: Header=BB4_2910 Depth=3
	s_or_b32 exec_lo, exec_lo, s22
	s_and_b32 s17, s17, exec_lo
                                        ; implicit-def: $vgpr92
	s_or_saveexec_b32 s18, s18
	v_mov_b32_e32 v91, 0x7f800001
	s_xor_b32 exec_lo, exec_lo, s18
	s_cbranch_execnz .LBB4_3260
.LBB4_3040:                             ;   in Loop: Header=BB4_2910 Depth=3
	s_or_b32 exec_lo, exec_lo, s18
	s_and_saveexec_b32 s18, s17
	s_cbranch_execz .LBB4_3042
.LBB4_3041:                             ;   in Loop: Header=BB4_2910 Depth=3
	v_and_b32_sdwa v26, v9, v40 dst_sel:DWORD dst_unused:UNUSED_PAD src0_sel:WORD_1 src1_sel:DWORD
	v_bfe_u32 v92, v9, 18, 5
	v_lshlrev_b32_sdwa v93, v118, v9 dst_sel:DWORD dst_unused:UNUSED_PAD src0_sel:DWORD src1_sel:WORD_1
	v_ffbh_u32_e32 v27, v26
	v_cmp_eq_u32_e32 vcc_lo, 0, v92
	v_min_u32_e32 v27, 32, v27
	v_subrev_nc_u32_e32 v91, 29, v27
	v_sub_nc_u32_e32 v27, 30, v27
	v_lshlrev_b32_sdwa v91, v91, v9 dst_sel:DWORD dst_unused:UNUSED_PAD src0_sel:DWORD src1_sel:WORD_1
	v_cndmask_b32_e32 v27, v92, v27, vcc_lo
	v_and_b32_e32 v91, 3, v91
	v_lshl_add_u32 v27, v27, 23, 0x37800000
	v_cndmask_b32_e32 v26, v26, v91, vcc_lo
	v_and_b32_e32 v91, 0x80000000, v93
	v_lshlrev_b32_e32 v26, 21, v26
	v_or3_b32 v91, v91, v27, v26
.LBB4_3042:                             ;   in Loop: Header=BB4_2910 Depth=3
	s_or_b32 exec_lo, exec_lo, s18
	v_mul_f32_e32 v91, v90, v91
	v_mov_b32_e32 v90, 0x80
	s_mov_b32 s18, exec_lo
	v_and_b32_e32 v26, 0x7f800000, v91
	v_cmpx_ne_u32_e32 0x7f800000, v26
	s_cbranch_execz .LBB4_3050
; %bb.3043:                             ;   in Loop: Header=BB4_2910 Depth=3
	v_mov_b32_e32 v90, 0
	s_mov_b32 s22, exec_lo
	v_cmpx_ne_u32_e32 0, v91
	s_cbranch_execz .LBB4_3049
; %bb.3044:                             ;   in Loop: Header=BB4_2910 Depth=3
	v_bfe_u32 v26, v91, 23, 8
	v_and_b32_e32 v27, 0x7fffff, v91
	v_sub_nc_u32_e32 v90, 0x70, v26
	v_cmp_gt_u32_e32 vcc_lo, 0x71, v26
	v_or_b32_e32 v92, 0x800000, v27
	v_cndmask_b32_e32 v90, 0, v90, vcc_lo
	v_cmp_eq_u32_e32 vcc_lo, 0, v26
	v_add_nc_u32_e32 v26, 0xffffff91, v26
	v_cndmask_b32_e64 v90, v90, 0x6f, vcc_lo
	v_cndmask_b32_e32 v27, v92, v27, vcc_lo
	v_cndmask_b32_e64 v26, v26, 0xffffff92, vcc_lo
	v_lshl_add_u32 v93, 0x200000, v90, -1
	v_lshrrev_b32_e32 v92, v90, v27
	v_lshlrev_b32_e64 v95, v90, 0x100000
	v_and_b32_e32 v27, v93, v27
	v_bfe_u32 v94, v92, 21, 1
	v_cmp_eq_u32_e64 s17, v27, v95
	v_add_nc_u32_e32 v93, -1, v94
	v_lshrrev_b32_e32 v94, 23, v92
	v_cndmask_b32_e64 v27, 0, v93, s17
	v_add_nc_u32_e32 v93, v90, v26
	v_xor_b32_e32 v94, 1, v94
	s_mov_b32 s17, exec_lo
                                        ; implicit-def: $vgpr90
	v_add_nc_u32_e32 v27, v27, v92
	v_and_b32_e32 v26, 0x1fffff, v27
	v_add_nc_u32_e32 v92, v26, v92
	v_cmpx_ne_u32_e64 v93, v94
	s_xor_b32 s17, exec_lo, s17
; %bb.3045:                             ;   in Loop: Header=BB4_2910 Depth=3
	v_cmp_lt_u32_e32 vcc_lo, 0xffffff, v92
	v_sub_nc_u32_e32 v26, v93, v94
	v_cndmask_b32_e64 v27, 0, 1, vcc_lo
	v_add_co_ci_u32_e64 v90, null, 0, v26, vcc_lo
	v_lshrrev_b32_e32 v92, v27, v92
; %bb.3046:                             ;   in Loop: Header=BB4_2910 Depth=3
	s_andn2_saveexec_b32 s17, s17
; %bb.3047:                             ;   in Loop: Header=BB4_2910 Depth=3
	v_bfe_u32 v90, v92, 23, 1
; %bb.3048:                             ;   in Loop: Header=BB4_2910 Depth=3
	s_or_b32 exec_lo, exec_lo, s17
	v_lshrrev_b32_e32 v26, 21, v92
	v_min_i32_e32 v27, 31, v90
	v_cmp_gt_i32_e32 vcc_lo, 32, v90
	v_and_b32_sdwa v91, v91, v116 dst_sel:DWORD dst_unused:UNUSED_PAD src0_sel:BYTE_3 src1_sel:DWORD
	v_lshlrev_b32_e32 v27, 2, v27
	v_cndmask_b32_e32 v26, 3, v26, vcc_lo
	v_and_b32_e32 v27, 0xfc, v27
	v_and_b32_e32 v92, 3, v26
	v_or_b32_e32 v26, v90, v26
	v_or3_b32 v27, v27, v91, v92
	v_cmp_ne_u32_e32 vcc_lo, 0, v26
	v_cndmask_b32_e32 v90, 0, v27, vcc_lo
.LBB4_3049:                             ;   in Loop: Header=BB4_2910 Depth=3
	s_or_b32 exec_lo, exec_lo, s22
.LBB4_3050:                             ;   in Loop: Header=BB4_2910 Depth=3
	s_or_b32 exec_lo, exec_lo, s18
	v_cmp_gt_i16_sdwa s18, v13, v115 src0_sel:BYTE_3 src1_sel:DWORD
	s_mov_b32 s17, 0
	s_and_saveexec_b32 s22, s18
	s_xor_b32 s18, exec_lo, s22
	s_cbranch_execz .LBB4_3261
; %bb.3051:                             ;   in Loop: Header=BB4_2910 Depth=3
	v_cmp_eq_u16_sdwa s23, v13, v116 src0_sel:BYTE_3 src1_sel:DWORD
	s_mov_b32 s17, -1
	s_and_saveexec_b32 s22, s23
; %bb.3052:                             ;   in Loop: Header=BB4_2910 Depth=3
	s_xor_b32 s17, exec_lo, -1
; %bb.3053:                             ;   in Loop: Header=BB4_2910 Depth=3
	s_or_b32 exec_lo, exec_lo, s22
	s_and_b32 s17, s17, exec_lo
	s_or_saveexec_b32 s18, s18
	v_mov_b32_e32 v91, 0x7f800001
	s_xor_b32 exec_lo, exec_lo, s18
	s_cbranch_execnz .LBB4_3262
.LBB4_3054:                             ;   in Loop: Header=BB4_2910 Depth=3
	s_or_b32 exec_lo, exec_lo, s18
	s_and_saveexec_b32 s18, s17
	s_cbranch_execz .LBB4_3056
.LBB4_3055:                             ;   in Loop: Header=BB4_2910 Depth=3
	v_bfe_u32 v26, v13, 24, 2
	v_bfe_u32 v92, v13, 26, 5
	v_ffbh_u32_e32 v27, v26
	v_cmp_eq_u32_e32 vcc_lo, 0, v92
	v_min_u32_e32 v27, 32, v27
	v_subrev_nc_u32_e32 v91, 29, v27
	v_sub_nc_u32_e32 v27, 30, v27
	v_lshlrev_b32_sdwa v91, v91, v13 dst_sel:DWORD dst_unused:UNUSED_PAD src0_sel:DWORD src1_sel:BYTE_3
	v_cndmask_b32_e32 v27, v92, v27, vcc_lo
	v_and_b32_e32 v13, 0x80000000, v13
	v_and_b32_e32 v91, 3, v91
	v_lshl_add_u32 v27, v27, 23, 0x37800000
	v_cndmask_b32_e32 v26, v26, v91, vcc_lo
	v_lshlrev_b32_e32 v26, 21, v26
	v_or3_b32 v91, v13, v27, v26
.LBB4_3056:                             ;   in Loop: Header=BB4_2910 Depth=3
	s_or_b32 exec_lo, exec_lo, s18
	v_cmp_gt_i16_sdwa s18, v9, v115 src0_sel:BYTE_3 src1_sel:DWORD
	s_mov_b32 s17, 0
	s_and_saveexec_b32 s22, s18
	s_xor_b32 s18, exec_lo, s22
	s_cbranch_execz .LBB4_3263
; %bb.3057:                             ;   in Loop: Header=BB4_2910 Depth=3
	v_cmp_eq_u16_sdwa s23, v9, v116 src0_sel:BYTE_3 src1_sel:DWORD
	s_mov_b32 s17, -1
	s_and_saveexec_b32 s22, s23
; %bb.3058:                             ;   in Loop: Header=BB4_2910 Depth=3
	s_xor_b32 s17, exec_lo, -1
; %bb.3059:                             ;   in Loop: Header=BB4_2910 Depth=3
	s_or_b32 exec_lo, exec_lo, s22
	s_and_b32 s17, s17, exec_lo
	s_or_saveexec_b32 s18, s18
	v_mov_b32_e32 v13, 0x7f800001
	s_xor_b32 exec_lo, exec_lo, s18
	s_cbranch_execnz .LBB4_3264
.LBB4_3060:                             ;   in Loop: Header=BB4_2910 Depth=3
	s_or_b32 exec_lo, exec_lo, s18
	s_and_saveexec_b32 s18, s17
	s_cbranch_execz .LBB4_3062
.LBB4_3061:                             ;   in Loop: Header=BB4_2910 Depth=3
	v_and_b32_sdwa v13, v9, v40 dst_sel:DWORD dst_unused:UNUSED_PAD src0_sel:BYTE_3 src1_sel:DWORD
	v_bfe_u32 v92, v9, 26, 5
	v_ffbh_u32_e32 v26, v13
	v_cmp_eq_u32_e32 vcc_lo, 0, v92
	v_min_u32_e32 v26, 32, v26
	v_subrev_nc_u32_e32 v27, 29, v26
	v_sub_nc_u32_e32 v26, 30, v26
	v_lshlrev_b32_sdwa v27, v27, v9 dst_sel:DWORD dst_unused:UNUSED_PAD src0_sel:DWORD src1_sel:BYTE_3
	v_cndmask_b32_e32 v26, v92, v26, vcc_lo
	v_and_b32_e32 v9, 0x80000000, v9
	v_and_b32_e32 v27, 3, v27
	v_lshl_add_u32 v26, v26, 23, 0x37800000
	v_cndmask_b32_e32 v13, v13, v27, vcc_lo
	v_lshlrev_b32_e32 v13, 21, v13
	v_or3_b32 v13, v9, v26, v13
.LBB4_3062:                             ;   in Loop: Header=BB4_2910 Depth=3
	s_or_b32 exec_lo, exec_lo, s18
	v_mul_f32_e32 v13, v91, v13
	v_and_b32_e32 v9, 0x7f800000, v13
	v_cmp_ne_u32_e32 vcc_lo, 0x7f800000, v9
	v_mov_b32_e32 v9, 0x8000
	s_and_saveexec_b32 s18, vcc_lo
	s_cbranch_execz .LBB4_3070
; %bb.3063:                             ;   in Loop: Header=BB4_2910 Depth=3
	v_mov_b32_e32 v9, 0
	s_mov_b32 s22, exec_lo
	v_cmpx_ne_u32_e32 0, v13
	s_cbranch_execz .LBB4_3069
; %bb.3064:                             ;   in Loop: Header=BB4_2910 Depth=3
	v_bfe_u32 v9, v13, 23, 8
	v_and_b32_e32 v26, 0x7fffff, v13
	v_sub_nc_u32_e32 v27, 0x70, v9
	v_cmp_gt_u32_e32 vcc_lo, 0x71, v9
	v_or_b32_e32 v91, 0x800000, v26
	v_cndmask_b32_e32 v27, 0, v27, vcc_lo
	v_cmp_eq_u32_e32 vcc_lo, 0, v9
	v_add_nc_u32_e32 v9, 0xffffff91, v9
	v_cndmask_b32_e64 v27, v27, 0x6f, vcc_lo
	v_cndmask_b32_e32 v26, v91, v26, vcc_lo
	v_cndmask_b32_e64 v9, v9, 0xffffff92, vcc_lo
	v_lshl_add_u32 v92, 0x200000, v27, -1
	v_lshrrev_b32_e32 v91, v27, v26
	v_lshlrev_b32_e64 v94, v27, 0x100000
	v_and_b32_e32 v26, v92, v26
	v_bfe_u32 v93, v91, 21, 1
	v_cmp_eq_u32_e64 s17, v26, v94
	v_add_nc_u32_e32 v92, -1, v93
	v_lshrrev_b32_e32 v93, 23, v91
	v_cndmask_b32_e64 v26, 0, v92, s17
	v_add_nc_u32_e32 v92, v27, v9
	v_xor_b32_e32 v93, 1, v93
	s_mov_b32 s17, exec_lo
	v_add_nc_u32_e32 v26, v26, v91
	v_and_b32_e32 v9, 0x1fffff, v26
	v_add_nc_u32_e32 v91, v9, v91
                                        ; implicit-def: $vgpr9
	v_cmpx_ne_u32_e64 v92, v93
	s_xor_b32 s17, exec_lo, s17
; %bb.3065:                             ;   in Loop: Header=BB4_2910 Depth=3
	v_cmp_lt_u32_e32 vcc_lo, 0xffffff, v91
	v_sub_nc_u32_e32 v9, v92, v93
	v_cndmask_b32_e64 v26, 0, 1, vcc_lo
	v_add_co_ci_u32_e64 v9, null, 0, v9, vcc_lo
	v_lshrrev_b32_e32 v91, v26, v91
; %bb.3066:                             ;   in Loop: Header=BB4_2910 Depth=3
	s_andn2_saveexec_b32 s17, s17
; %bb.3067:                             ;   in Loop: Header=BB4_2910 Depth=3
	v_bfe_u32 v9, v91, 23, 1
; %bb.3068:                             ;   in Loop: Header=BB4_2910 Depth=3
	s_or_b32 exec_lo, exec_lo, s17
	v_lshrrev_b32_e32 v26, 21, v91
	v_min_i32_e32 v27, 31, v9
	v_cmp_gt_i32_e32 vcc_lo, 32, v9
	v_and_b32_sdwa v13, v13, v116 dst_sel:DWORD dst_unused:UNUSED_PAD src0_sel:BYTE_3 src1_sel:DWORD
	v_lshlrev_b32_e32 v27, 2, v27
	v_cndmask_b32_e32 v26, 3, v26, vcc_lo
	v_and_b32_e32 v27, 0xfc, v27
	v_and_b32_e32 v91, 3, v26
	v_or_b32_e32 v9, v9, v26
	v_or3_b32 v13, v13, v27, v91
	v_cmp_ne_u32_e32 vcc_lo, 0, v9
	v_lshlrev_b32_e32 v13, 8, v13
	v_cndmask_b32_e32 v9, 0, v13, vcc_lo
.LBB4_3069:                             ;   in Loop: Header=BB4_2910 Depth=3
	s_or_b32 exec_lo, exec_lo, s22
.LBB4_3070:                             ;   in Loop: Header=BB4_2910 Depth=3
	s_or_b32 exec_lo, exec_lo, s18
	v_cmp_gt_i16_sdwa s18, v14, v115 src0_sel:BYTE_0 src1_sel:DWORD
	s_mov_b32 s17, 0
	s_and_saveexec_b32 s22, s18
	s_xor_b32 s18, exec_lo, s22
	s_cbranch_execz .LBB4_3265
; %bb.3071:                             ;   in Loop: Header=BB4_2910 Depth=3
	v_cmp_eq_u16_sdwa s23, v14, v116 src0_sel:BYTE_0 src1_sel:DWORD
	s_mov_b32 s17, -1
	s_and_saveexec_b32 s22, s23
; %bb.3072:                             ;   in Loop: Header=BB4_2910 Depth=3
	s_xor_b32 s17, exec_lo, -1
; %bb.3073:                             ;   in Loop: Header=BB4_2910 Depth=3
	s_or_b32 exec_lo, exec_lo, s22
	s_and_b32 s17, s17, exec_lo
	s_or_saveexec_b32 s18, s18
	v_mov_b32_e32 v13, 0x7f800001
	s_xor_b32 exec_lo, exec_lo, s18
	s_cbranch_execnz .LBB4_3266
.LBB4_3074:                             ;   in Loop: Header=BB4_2910 Depth=3
	s_or_b32 exec_lo, exec_lo, s18
	s_and_saveexec_b32 s18, s17
	s_cbranch_execz .LBB4_3076
.LBB4_3075:                             ;   in Loop: Header=BB4_2910 Depth=3
	v_and_b32_e32 v13, 3, v14
	v_bfe_u32 v91, v14, 2, 5
	v_lshlrev_b32_e32 v92, 24, v14
	v_ffbh_u32_e32 v26, v13
	v_cmp_eq_u32_e32 vcc_lo, 0, v91
	v_min_u32_e32 v26, 32, v26
	v_subrev_nc_u32_e32 v27, 29, v26
	v_sub_nc_u32_e32 v26, 30, v26
	v_lshlrev_b32_e32 v27, v27, v14
	v_cndmask_b32_e32 v26, v91, v26, vcc_lo
	v_and_b32_e32 v27, 3, v27
	v_lshl_add_u32 v26, v26, 23, 0x37800000
	v_cndmask_b32_e32 v13, v13, v27, vcc_lo
	v_and_b32_e32 v27, 0x80000000, v92
	v_lshlrev_b32_e32 v13, 21, v13
	v_or3_b32 v13, v27, v26, v13
.LBB4_3076:                             ;   in Loop: Header=BB4_2910 Depth=3
	s_or_b32 exec_lo, exec_lo, s18
	v_cmp_gt_i16_sdwa s18, v10, v115 src0_sel:BYTE_0 src1_sel:DWORD
	s_mov_b32 s17, 0
	s_and_saveexec_b32 s22, s18
	s_xor_b32 s18, exec_lo, s22
	s_cbranch_execz .LBB4_3267
; %bb.3077:                             ;   in Loop: Header=BB4_2910 Depth=3
	v_cmp_eq_u16_sdwa s23, v10, v116 src0_sel:BYTE_0 src1_sel:DWORD
	s_mov_b32 s17, -1
	s_and_saveexec_b32 s22, s23
; %bb.3078:                             ;   in Loop: Header=BB4_2910 Depth=3
	s_xor_b32 s17, exec_lo, -1
; %bb.3079:                             ;   in Loop: Header=BB4_2910 Depth=3
	s_or_b32 exec_lo, exec_lo, s22
	s_and_b32 s17, s17, exec_lo
	s_or_saveexec_b32 s18, s18
	v_mov_b32_e32 v91, 0x7f800001
	s_xor_b32 exec_lo, exec_lo, s18
	s_cbranch_execnz .LBB4_3268
.LBB4_3080:                             ;   in Loop: Header=BB4_2910 Depth=3
	s_or_b32 exec_lo, exec_lo, s18
	s_and_saveexec_b32 s18, s17
	s_cbranch_execz .LBB4_3082
.LBB4_3081:                             ;   in Loop: Header=BB4_2910 Depth=3
	v_and_b32_e32 v26, 3, v10
	v_bfe_u32 v92, v10, 2, 5
	v_lshlrev_b32_e32 v93, 24, v10
	v_ffbh_u32_e32 v27, v26
	v_cmp_eq_u32_e32 vcc_lo, 0, v92
	v_min_u32_e32 v27, 32, v27
	v_subrev_nc_u32_e32 v91, 29, v27
	v_sub_nc_u32_e32 v27, 30, v27
	v_lshlrev_b32_e32 v91, v91, v10
	v_cndmask_b32_e32 v27, v92, v27, vcc_lo
	v_and_b32_e32 v91, 3, v91
	v_lshl_add_u32 v27, v27, 23, 0x37800000
	v_cndmask_b32_e32 v26, v26, v91, vcc_lo
	v_and_b32_e32 v91, 0x80000000, v93
	v_lshlrev_b32_e32 v26, 21, v26
	v_or3_b32 v91, v91, v27, v26
.LBB4_3082:                             ;   in Loop: Header=BB4_2910 Depth=3
	s_or_b32 exec_lo, exec_lo, s18
	v_mul_f32_e32 v91, v13, v91
	v_and_b32_e32 v13, 0x7f800000, v91
	v_cmp_ne_u32_e32 vcc_lo, 0x7f800000, v13
	v_mov_b32_e32 v13, 0x80
	s_and_saveexec_b32 s18, vcc_lo
	s_cbranch_execz .LBB4_3090
; %bb.3083:                             ;   in Loop: Header=BB4_2910 Depth=3
	v_mov_b32_e32 v13, 0
	s_mov_b32 s22, exec_lo
	v_cmpx_ne_u32_e32 0, v91
	s_cbranch_execz .LBB4_3089
; %bb.3084:                             ;   in Loop: Header=BB4_2910 Depth=3
	v_bfe_u32 v13, v91, 23, 8
	v_and_b32_e32 v26, 0x7fffff, v91
	v_sub_nc_u32_e32 v27, 0x70, v13
	v_cmp_gt_u32_e32 vcc_lo, 0x71, v13
	v_or_b32_e32 v92, 0x800000, v26
	v_cndmask_b32_e32 v27, 0, v27, vcc_lo
	v_cmp_eq_u32_e32 vcc_lo, 0, v13
	v_add_nc_u32_e32 v13, 0xffffff91, v13
	v_cndmask_b32_e64 v27, v27, 0x6f, vcc_lo
	v_cndmask_b32_e32 v26, v92, v26, vcc_lo
	v_cndmask_b32_e64 v13, v13, 0xffffff92, vcc_lo
	v_lshl_add_u32 v93, 0x200000, v27, -1
	v_lshrrev_b32_e32 v92, v27, v26
	v_lshlrev_b32_e64 v95, v27, 0x100000
	v_and_b32_e32 v26, v93, v26
	v_bfe_u32 v94, v92, 21, 1
	v_cmp_eq_u32_e64 s17, v26, v95
	v_add_nc_u32_e32 v93, -1, v94
	v_lshrrev_b32_e32 v94, 23, v92
	v_cndmask_b32_e64 v26, 0, v93, s17
	v_add_nc_u32_e32 v93, v27, v13
	v_xor_b32_e32 v94, 1, v94
	s_mov_b32 s17, exec_lo
	v_add_nc_u32_e32 v26, v26, v92
	v_and_b32_e32 v13, 0x1fffff, v26
	v_add_nc_u32_e32 v92, v13, v92
                                        ; implicit-def: $vgpr13
	v_cmpx_ne_u32_e64 v93, v94
	s_xor_b32 s17, exec_lo, s17
; %bb.3085:                             ;   in Loop: Header=BB4_2910 Depth=3
	v_cmp_lt_u32_e32 vcc_lo, 0xffffff, v92
	v_sub_nc_u32_e32 v13, v93, v94
	v_cndmask_b32_e64 v26, 0, 1, vcc_lo
	v_add_co_ci_u32_e64 v13, null, 0, v13, vcc_lo
	v_lshrrev_b32_e32 v92, v26, v92
; %bb.3086:                             ;   in Loop: Header=BB4_2910 Depth=3
	s_andn2_saveexec_b32 s17, s17
; %bb.3087:                             ;   in Loop: Header=BB4_2910 Depth=3
	v_bfe_u32 v13, v92, 23, 1
; %bb.3088:                             ;   in Loop: Header=BB4_2910 Depth=3
	s_or_b32 exec_lo, exec_lo, s17
	v_lshrrev_b32_e32 v26, 21, v92
	v_min_i32_e32 v27, 31, v13
	v_cmp_gt_i32_e32 vcc_lo, 32, v13
	v_and_b32_sdwa v91, v91, v116 dst_sel:DWORD dst_unused:UNUSED_PAD src0_sel:BYTE_3 src1_sel:DWORD
	v_lshlrev_b32_e32 v27, 2, v27
	v_cndmask_b32_e32 v26, 3, v26, vcc_lo
	v_and_b32_e32 v27, 0xfc, v27
	v_and_b32_e32 v92, 3, v26
	v_or_b32_e32 v13, v13, v26
	v_or3_b32 v26, v27, v91, v92
	v_cmp_ne_u32_e32 vcc_lo, 0, v13
	v_cndmask_b32_e32 v13, 0, v26, vcc_lo
.LBB4_3089:                             ;   in Loop: Header=BB4_2910 Depth=3
	s_or_b32 exec_lo, exec_lo, s22
.LBB4_3090:                             ;   in Loop: Header=BB4_2910 Depth=3
	s_or_b32 exec_lo, exec_lo, s18
	v_cmp_gt_i16_sdwa s18, v14, v115 src0_sel:BYTE_1 src1_sel:DWORD
	s_mov_b32 s17, 0
	s_and_saveexec_b32 s22, s18
	s_xor_b32 s18, exec_lo, s22
	s_cbranch_execz .LBB4_3269
; %bb.3091:                             ;   in Loop: Header=BB4_2910 Depth=3
	v_cmp_eq_u16_sdwa s23, v14, v116 src0_sel:BYTE_1 src1_sel:DWORD
	s_mov_b32 s17, -1
	s_and_saveexec_b32 s22, s23
; %bb.3092:                             ;   in Loop: Header=BB4_2910 Depth=3
	s_xor_b32 s17, exec_lo, -1
; %bb.3093:                             ;   in Loop: Header=BB4_2910 Depth=3
	s_or_b32 exec_lo, exec_lo, s22
	s_and_b32 s17, s17, exec_lo
	s_or_saveexec_b32 s18, s18
	v_mov_b32_e32 v91, 0x7f800001
	s_xor_b32 exec_lo, exec_lo, s18
	s_cbranch_execnz .LBB4_3270
.LBB4_3094:                             ;   in Loop: Header=BB4_2910 Depth=3
	s_or_b32 exec_lo, exec_lo, s18
	s_and_saveexec_b32 s18, s17
	s_cbranch_execz .LBB4_3096
.LBB4_3095:                             ;   in Loop: Header=BB4_2910 Depth=3
	v_and_b32_sdwa v26, v117, v14 dst_sel:DWORD dst_unused:UNUSED_PAD src0_sel:DWORD src1_sel:BYTE_1
	v_and_b32_e32 v27, 3, v26
	v_bfe_u32 v93, v26, 2, 5
	v_ffbh_u32_e32 v91, v27
	v_cmp_eq_u32_e32 vcc_lo, 0, v93
	v_min_u32_e32 v91, 32, v91
	v_subrev_nc_u32_e32 v92, 29, v91
	v_sub_nc_u32_e32 v91, 30, v91
	v_lshlrev_b32_e32 v26, v92, v26
	v_lshlrev_b32_sdwa v92, v118, v14 dst_sel:DWORD dst_unused:UNUSED_PAD src0_sel:DWORD src1_sel:BYTE_1
	v_cndmask_b32_e32 v91, v93, v91, vcc_lo
	v_and_b32_e32 v26, 3, v26
	v_lshl_add_u32 v91, v91, 23, 0x37800000
	v_cndmask_b32_e32 v26, v27, v26, vcc_lo
	v_and_b32_e32 v27, 0x80000000, v92
	v_lshlrev_b32_e32 v26, 21, v26
	v_or3_b32 v91, v27, v91, v26
.LBB4_3096:                             ;   in Loop: Header=BB4_2910 Depth=3
	s_or_b32 exec_lo, exec_lo, s18
	v_cmp_gt_i16_sdwa s18, v10, v115 src0_sel:BYTE_1 src1_sel:DWORD
	s_mov_b32 s17, 0
	s_and_saveexec_b32 s22, s18
	s_xor_b32 s18, exec_lo, s22
	s_cbranch_execz .LBB4_3271
; %bb.3097:                             ;   in Loop: Header=BB4_2910 Depth=3
	v_cmp_eq_u16_sdwa s23, v10, v116 src0_sel:BYTE_1 src1_sel:DWORD
	s_mov_b32 s17, -1
	s_and_saveexec_b32 s22, s23
; %bb.3098:                             ;   in Loop: Header=BB4_2910 Depth=3
	s_xor_b32 s17, exec_lo, -1
; %bb.3099:                             ;   in Loop: Header=BB4_2910 Depth=3
	s_or_b32 exec_lo, exec_lo, s22
	s_and_b32 s17, s17, exec_lo
	s_or_saveexec_b32 s18, s18
	v_mov_b32_e32 v92, 0x7f800001
	s_xor_b32 exec_lo, exec_lo, s18
	s_cbranch_execnz .LBB4_3272
.LBB4_3100:                             ;   in Loop: Header=BB4_2910 Depth=3
	s_or_b32 exec_lo, exec_lo, s18
	s_and_saveexec_b32 s18, s17
	s_cbranch_execz .LBB4_3102
.LBB4_3101:                             ;   in Loop: Header=BB4_2910 Depth=3
	v_and_b32_sdwa v26, v117, v10 dst_sel:DWORD dst_unused:UNUSED_PAD src0_sel:DWORD src1_sel:BYTE_1
	v_and_b32_e32 v27, 3, v26
	v_bfe_u32 v94, v26, 2, 5
	v_ffbh_u32_e32 v92, v27
	v_cmp_eq_u32_e32 vcc_lo, 0, v94
	v_min_u32_e32 v92, 32, v92
	v_subrev_nc_u32_e32 v93, 29, v92
	v_sub_nc_u32_e32 v92, 30, v92
	v_lshlrev_b32_e32 v26, v93, v26
	v_lshlrev_b32_sdwa v93, v118, v10 dst_sel:DWORD dst_unused:UNUSED_PAD src0_sel:DWORD src1_sel:BYTE_1
	v_cndmask_b32_e32 v92, v94, v92, vcc_lo
	v_and_b32_e32 v26, 3, v26
	v_lshl_add_u32 v92, v92, 23, 0x37800000
	v_cndmask_b32_e32 v26, v27, v26, vcc_lo
	v_and_b32_e32 v27, 0x80000000, v93
	v_lshlrev_b32_e32 v26, 21, v26
	v_or3_b32 v92, v27, v92, v26
.LBB4_3102:                             ;   in Loop: Header=BB4_2910 Depth=3
	s_or_b32 exec_lo, exec_lo, s18
	v_mul_f32_e32 v92, v91, v92
	v_mov_b32_e32 v91, 0x8000
	s_mov_b32 s18, exec_lo
	v_and_b32_e32 v26, 0x7f800000, v92
	v_cmpx_ne_u32_e32 0x7f800000, v26
	s_cbranch_execz .LBB4_3110
; %bb.3103:                             ;   in Loop: Header=BB4_2910 Depth=3
	v_mov_b32_e32 v91, 0
	s_mov_b32 s22, exec_lo
	v_cmpx_ne_u32_e32 0, v92
	s_cbranch_execz .LBB4_3109
; %bb.3104:                             ;   in Loop: Header=BB4_2910 Depth=3
	v_bfe_u32 v26, v92, 23, 8
	v_and_b32_e32 v27, 0x7fffff, v92
	v_sub_nc_u32_e32 v91, 0x70, v26
	v_cmp_gt_u32_e32 vcc_lo, 0x71, v26
	v_or_b32_e32 v93, 0x800000, v27
	v_cndmask_b32_e32 v91, 0, v91, vcc_lo
	v_cmp_eq_u32_e32 vcc_lo, 0, v26
	v_add_nc_u32_e32 v26, 0xffffff91, v26
	v_cndmask_b32_e64 v91, v91, 0x6f, vcc_lo
	v_cndmask_b32_e32 v27, v93, v27, vcc_lo
	v_cndmask_b32_e64 v26, v26, 0xffffff92, vcc_lo
	v_lshl_add_u32 v94, 0x200000, v91, -1
	v_lshrrev_b32_e32 v93, v91, v27
	v_lshlrev_b32_e64 v104, v91, 0x100000
	v_and_b32_e32 v27, v94, v27
	v_bfe_u32 v95, v93, 21, 1
	v_cmp_eq_u32_e64 s17, v27, v104
	v_add_nc_u32_e32 v94, -1, v95
	v_lshrrev_b32_e32 v95, 23, v93
	v_cndmask_b32_e64 v27, 0, v94, s17
	v_add_nc_u32_e32 v94, v91, v26
	v_xor_b32_e32 v95, 1, v95
	s_mov_b32 s17, exec_lo
                                        ; implicit-def: $vgpr91
	v_add_nc_u32_e32 v27, v27, v93
	v_and_b32_e32 v26, 0x1fffff, v27
	v_add_nc_u32_e32 v93, v26, v93
	v_cmpx_ne_u32_e64 v94, v95
	s_xor_b32 s17, exec_lo, s17
; %bb.3105:                             ;   in Loop: Header=BB4_2910 Depth=3
	v_cmp_lt_u32_e32 vcc_lo, 0xffffff, v93
	v_sub_nc_u32_e32 v26, v94, v95
	v_cndmask_b32_e64 v27, 0, 1, vcc_lo
	v_add_co_ci_u32_e64 v91, null, 0, v26, vcc_lo
	v_lshrrev_b32_e32 v93, v27, v93
; %bb.3106:                             ;   in Loop: Header=BB4_2910 Depth=3
	s_andn2_saveexec_b32 s17, s17
; %bb.3107:                             ;   in Loop: Header=BB4_2910 Depth=3
	v_bfe_u32 v91, v93, 23, 1
; %bb.3108:                             ;   in Loop: Header=BB4_2910 Depth=3
	s_or_b32 exec_lo, exec_lo, s17
	v_lshrrev_b32_e32 v26, 21, v93
	v_min_i32_e32 v27, 31, v91
	v_cmp_gt_i32_e32 vcc_lo, 32, v91
	v_and_b32_sdwa v92, v92, v116 dst_sel:DWORD dst_unused:UNUSED_PAD src0_sel:BYTE_3 src1_sel:DWORD
	v_lshlrev_b32_e32 v27, 2, v27
	v_cndmask_b32_e32 v26, 3, v26, vcc_lo
	v_and_b32_e32 v27, 0xfc, v27
	v_and_b32_e32 v93, 3, v26
	v_or_b32_e32 v26, v91, v26
	v_or3_b32 v27, v92, v27, v93
	v_cmp_ne_u32_e32 vcc_lo, 0, v26
	v_lshlrev_b32_e32 v27, 8, v27
	v_cndmask_b32_e32 v91, 0, v27, vcc_lo
.LBB4_3109:                             ;   in Loop: Header=BB4_2910 Depth=3
	s_or_b32 exec_lo, exec_lo, s22
.LBB4_3110:                             ;   in Loop: Header=BB4_2910 Depth=3
	s_or_b32 exec_lo, exec_lo, s18
	v_and_b32_sdwa v93, v14, v119 dst_sel:DWORD dst_unused:UNUSED_PAD src0_sel:WORD_1 src1_sel:DWORD
	s_mov_b32 s17, 0
	s_mov_b32 s18, exec_lo
	v_cmpx_lt_i16_e32 0x7f, v93
	s_xor_b32 s18, exec_lo, s18
	s_cbranch_execz .LBB4_3273
; %bb.3111:                             ;   in Loop: Header=BB4_2910 Depth=3
	s_mov_b32 s17, -1
	s_mov_b32 s22, exec_lo
	v_cmpx_eq_u16_e32 0x80, v93
; %bb.3112:                             ;   in Loop: Header=BB4_2910 Depth=3
	s_xor_b32 s17, exec_lo, -1
; %bb.3113:                             ;   in Loop: Header=BB4_2910 Depth=3
	s_or_b32 exec_lo, exec_lo, s22
	s_and_b32 s17, s17, exec_lo
                                        ; implicit-def: $vgpr93
	s_or_saveexec_b32 s18, s18
	v_mov_b32_e32 v92, 0x7f800001
	s_xor_b32 exec_lo, exec_lo, s18
	s_cbranch_execnz .LBB4_3274
.LBB4_3114:                             ;   in Loop: Header=BB4_2910 Depth=3
	s_or_b32 exec_lo, exec_lo, s18
	s_and_saveexec_b32 s18, s17
	s_cbranch_execz .LBB4_3116
.LBB4_3115:                             ;   in Loop: Header=BB4_2910 Depth=3
	v_bfe_u32 v26, v14, 16, 2
	v_bfe_u32 v93, v14, 18, 5
	v_lshlrev_b32_e32 v94, 8, v14
	v_ffbh_u32_e32 v27, v26
	v_cmp_eq_u32_e32 vcc_lo, 0, v93
	v_min_u32_e32 v27, 32, v27
	v_subrev_nc_u32_e32 v92, 29, v27
	v_sub_nc_u32_e32 v27, 30, v27
	v_lshlrev_b32_sdwa v92, v92, v14 dst_sel:DWORD dst_unused:UNUSED_PAD src0_sel:DWORD src1_sel:WORD_1
	v_cndmask_b32_e32 v27, v93, v27, vcc_lo
	v_and_b32_e32 v92, 3, v92
	v_lshl_add_u32 v27, v27, 23, 0x37800000
	v_cndmask_b32_e32 v26, v26, v92, vcc_lo
	v_and_b32_e32 v92, 0x80000000, v94
	v_lshlrev_b32_e32 v26, 21, v26
	v_or3_b32 v92, v92, v27, v26
.LBB4_3116:                             ;   in Loop: Header=BB4_2910 Depth=3
	s_or_b32 exec_lo, exec_lo, s18
	v_and_b32_sdwa v94, v10, v119 dst_sel:DWORD dst_unused:UNUSED_PAD src0_sel:WORD_1 src1_sel:DWORD
	s_mov_b32 s17, 0
	s_mov_b32 s18, exec_lo
	v_cmpx_lt_i16_e32 0x7f, v94
	s_xor_b32 s18, exec_lo, s18
	s_cbranch_execz .LBB4_3275
; %bb.3117:                             ;   in Loop: Header=BB4_2910 Depth=3
	s_mov_b32 s17, -1
	s_mov_b32 s22, exec_lo
	v_cmpx_eq_u16_e32 0x80, v94
; %bb.3118:                             ;   in Loop: Header=BB4_2910 Depth=3
	s_xor_b32 s17, exec_lo, -1
; %bb.3119:                             ;   in Loop: Header=BB4_2910 Depth=3
	s_or_b32 exec_lo, exec_lo, s22
	s_and_b32 s17, s17, exec_lo
                                        ; implicit-def: $vgpr94
	s_or_saveexec_b32 s18, s18
	v_mov_b32_e32 v93, 0x7f800001
	s_xor_b32 exec_lo, exec_lo, s18
	s_cbranch_execnz .LBB4_3276
.LBB4_3120:                             ;   in Loop: Header=BB4_2910 Depth=3
	s_or_b32 exec_lo, exec_lo, s18
	s_and_saveexec_b32 s18, s17
	s_cbranch_execz .LBB4_3122
.LBB4_3121:                             ;   in Loop: Header=BB4_2910 Depth=3
	v_and_b32_sdwa v26, v10, v40 dst_sel:DWORD dst_unused:UNUSED_PAD src0_sel:WORD_1 src1_sel:DWORD
	v_bfe_u32 v94, v10, 18, 5
	v_lshlrev_b32_sdwa v95, v118, v10 dst_sel:DWORD dst_unused:UNUSED_PAD src0_sel:DWORD src1_sel:WORD_1
	v_ffbh_u32_e32 v27, v26
	v_cmp_eq_u32_e32 vcc_lo, 0, v94
	v_min_u32_e32 v27, 32, v27
	v_subrev_nc_u32_e32 v93, 29, v27
	v_sub_nc_u32_e32 v27, 30, v27
	v_lshlrev_b32_sdwa v93, v93, v10 dst_sel:DWORD dst_unused:UNUSED_PAD src0_sel:DWORD src1_sel:WORD_1
	v_cndmask_b32_e32 v27, v94, v27, vcc_lo
	v_and_b32_e32 v93, 3, v93
	v_lshl_add_u32 v27, v27, 23, 0x37800000
	v_cndmask_b32_e32 v26, v26, v93, vcc_lo
	v_and_b32_e32 v93, 0x80000000, v95
	v_lshlrev_b32_e32 v26, 21, v26
	v_or3_b32 v93, v93, v27, v26
.LBB4_3122:                             ;   in Loop: Header=BB4_2910 Depth=3
	s_or_b32 exec_lo, exec_lo, s18
	v_mul_f32_e32 v93, v92, v93
	v_mov_b32_e32 v92, 0x80
	s_mov_b32 s18, exec_lo
	v_and_b32_e32 v26, 0x7f800000, v93
	v_cmpx_ne_u32_e32 0x7f800000, v26
	s_cbranch_execz .LBB4_3130
; %bb.3123:                             ;   in Loop: Header=BB4_2910 Depth=3
	v_mov_b32_e32 v92, 0
	s_mov_b32 s22, exec_lo
	v_cmpx_ne_u32_e32 0, v93
	s_cbranch_execz .LBB4_3129
; %bb.3124:                             ;   in Loop: Header=BB4_2910 Depth=3
	v_bfe_u32 v26, v93, 23, 8
	v_and_b32_e32 v27, 0x7fffff, v93
	v_sub_nc_u32_e32 v92, 0x70, v26
	v_cmp_gt_u32_e32 vcc_lo, 0x71, v26
	v_or_b32_e32 v94, 0x800000, v27
	v_cndmask_b32_e32 v92, 0, v92, vcc_lo
	v_cmp_eq_u32_e32 vcc_lo, 0, v26
	v_add_nc_u32_e32 v26, 0xffffff91, v26
	v_cndmask_b32_e64 v92, v92, 0x6f, vcc_lo
	v_cndmask_b32_e32 v27, v94, v27, vcc_lo
	v_cndmask_b32_e64 v26, v26, 0xffffff92, vcc_lo
	v_lshl_add_u32 v95, 0x200000, v92, -1
	v_lshrrev_b32_e32 v94, v92, v27
	v_lshlrev_b32_e64 v105, v92, 0x100000
	v_and_b32_e32 v27, v95, v27
	v_bfe_u32 v104, v94, 21, 1
	v_cmp_eq_u32_e64 s17, v27, v105
	v_add_nc_u32_e32 v95, -1, v104
	v_lshrrev_b32_e32 v104, 23, v94
	v_cndmask_b32_e64 v27, 0, v95, s17
	v_add_nc_u32_e32 v95, v92, v26
	v_xor_b32_e32 v104, 1, v104
	s_mov_b32 s17, exec_lo
                                        ; implicit-def: $vgpr92
	v_add_nc_u32_e32 v27, v27, v94
	v_and_b32_e32 v26, 0x1fffff, v27
	v_add_nc_u32_e32 v94, v26, v94
	v_cmpx_ne_u32_e64 v95, v104
	s_xor_b32 s17, exec_lo, s17
; %bb.3125:                             ;   in Loop: Header=BB4_2910 Depth=3
	v_cmp_lt_u32_e32 vcc_lo, 0xffffff, v94
	v_sub_nc_u32_e32 v26, v95, v104
	v_cndmask_b32_e64 v27, 0, 1, vcc_lo
	v_add_co_ci_u32_e64 v92, null, 0, v26, vcc_lo
	v_lshrrev_b32_e32 v94, v27, v94
; %bb.3126:                             ;   in Loop: Header=BB4_2910 Depth=3
	s_andn2_saveexec_b32 s17, s17
; %bb.3127:                             ;   in Loop: Header=BB4_2910 Depth=3
	v_bfe_u32 v92, v94, 23, 1
; %bb.3128:                             ;   in Loop: Header=BB4_2910 Depth=3
	s_or_b32 exec_lo, exec_lo, s17
	v_lshrrev_b32_e32 v26, 21, v94
	v_min_i32_e32 v27, 31, v92
	v_cmp_gt_i32_e32 vcc_lo, 32, v92
	v_and_b32_sdwa v93, v93, v116 dst_sel:DWORD dst_unused:UNUSED_PAD src0_sel:BYTE_3 src1_sel:DWORD
	v_lshlrev_b32_e32 v27, 2, v27
	v_cndmask_b32_e32 v26, 3, v26, vcc_lo
	v_and_b32_e32 v27, 0xfc, v27
	v_and_b32_e32 v94, 3, v26
	v_or_b32_e32 v26, v92, v26
	v_or3_b32 v27, v27, v93, v94
	v_cmp_ne_u32_e32 vcc_lo, 0, v26
	v_cndmask_b32_e32 v92, 0, v27, vcc_lo
.LBB4_3129:                             ;   in Loop: Header=BB4_2910 Depth=3
	s_or_b32 exec_lo, exec_lo, s22
.LBB4_3130:                             ;   in Loop: Header=BB4_2910 Depth=3
	s_or_b32 exec_lo, exec_lo, s18
	v_cmp_gt_i16_sdwa s18, v14, v115 src0_sel:BYTE_3 src1_sel:DWORD
	s_mov_b32 s17, 0
	s_and_saveexec_b32 s22, s18
	s_xor_b32 s18, exec_lo, s22
	s_cbranch_execz .LBB4_3277
; %bb.3131:                             ;   in Loop: Header=BB4_2910 Depth=3
	v_cmp_eq_u16_sdwa s23, v14, v116 src0_sel:BYTE_3 src1_sel:DWORD
	s_mov_b32 s17, -1
	s_and_saveexec_b32 s22, s23
; %bb.3132:                             ;   in Loop: Header=BB4_2910 Depth=3
	s_xor_b32 s17, exec_lo, -1
; %bb.3133:                             ;   in Loop: Header=BB4_2910 Depth=3
	s_or_b32 exec_lo, exec_lo, s22
	s_and_b32 s17, s17, exec_lo
	s_or_saveexec_b32 s18, s18
	v_mov_b32_e32 v93, 0x7f800001
	s_xor_b32 exec_lo, exec_lo, s18
	s_cbranch_execnz .LBB4_3278
.LBB4_3134:                             ;   in Loop: Header=BB4_2910 Depth=3
	s_or_b32 exec_lo, exec_lo, s18
	s_and_saveexec_b32 s18, s17
	s_cbranch_execz .LBB4_3136
.LBB4_3135:                             ;   in Loop: Header=BB4_2910 Depth=3
	v_bfe_u32 v26, v14, 24, 2
	v_bfe_u32 v94, v14, 26, 5
	v_ffbh_u32_e32 v27, v26
	v_cmp_eq_u32_e32 vcc_lo, 0, v94
	v_min_u32_e32 v27, 32, v27
	v_subrev_nc_u32_e32 v93, 29, v27
	v_sub_nc_u32_e32 v27, 30, v27
	v_lshlrev_b32_sdwa v93, v93, v14 dst_sel:DWORD dst_unused:UNUSED_PAD src0_sel:DWORD src1_sel:BYTE_3
	v_cndmask_b32_e32 v27, v94, v27, vcc_lo
	v_and_b32_e32 v14, 0x80000000, v14
	v_and_b32_e32 v93, 3, v93
	v_lshl_add_u32 v27, v27, 23, 0x37800000
	v_cndmask_b32_e32 v26, v26, v93, vcc_lo
	v_lshlrev_b32_e32 v26, 21, v26
	v_or3_b32 v93, v14, v27, v26
.LBB4_3136:                             ;   in Loop: Header=BB4_2910 Depth=3
	s_or_b32 exec_lo, exec_lo, s18
	v_cmp_gt_i16_sdwa s18, v10, v115 src0_sel:BYTE_3 src1_sel:DWORD
	s_mov_b32 s17, 0
	s_and_saveexec_b32 s22, s18
	s_xor_b32 s18, exec_lo, s22
	s_cbranch_execz .LBB4_3279
; %bb.3137:                             ;   in Loop: Header=BB4_2910 Depth=3
	v_cmp_eq_u16_sdwa s23, v10, v116 src0_sel:BYTE_3 src1_sel:DWORD
	s_mov_b32 s17, -1
	s_and_saveexec_b32 s22, s23
; %bb.3138:                             ;   in Loop: Header=BB4_2910 Depth=3
	s_xor_b32 s17, exec_lo, -1
; %bb.3139:                             ;   in Loop: Header=BB4_2910 Depth=3
	s_or_b32 exec_lo, exec_lo, s22
	s_and_b32 s17, s17, exec_lo
	s_or_saveexec_b32 s18, s18
	v_mov_b32_e32 v14, 0x7f800001
	s_xor_b32 exec_lo, exec_lo, s18
	s_cbranch_execnz .LBB4_3280
.LBB4_3140:                             ;   in Loop: Header=BB4_2910 Depth=3
	s_or_b32 exec_lo, exec_lo, s18
	s_and_saveexec_b32 s18, s17
	s_cbranch_execz .LBB4_3142
.LBB4_3141:                             ;   in Loop: Header=BB4_2910 Depth=3
	v_and_b32_sdwa v14, v10, v40 dst_sel:DWORD dst_unused:UNUSED_PAD src0_sel:BYTE_3 src1_sel:DWORD
	v_bfe_u32 v94, v10, 26, 5
	v_ffbh_u32_e32 v26, v14
	v_cmp_eq_u32_e32 vcc_lo, 0, v94
	v_min_u32_e32 v26, 32, v26
	v_subrev_nc_u32_e32 v27, 29, v26
	v_sub_nc_u32_e32 v26, 30, v26
	v_lshlrev_b32_sdwa v27, v27, v10 dst_sel:DWORD dst_unused:UNUSED_PAD src0_sel:DWORD src1_sel:BYTE_3
	v_cndmask_b32_e32 v26, v94, v26, vcc_lo
	v_and_b32_e32 v10, 0x80000000, v10
	v_and_b32_e32 v27, 3, v27
	v_lshl_add_u32 v26, v26, 23, 0x37800000
	v_cndmask_b32_e32 v14, v14, v27, vcc_lo
	v_lshlrev_b32_e32 v14, 21, v14
	v_or3_b32 v14, v10, v26, v14
.LBB4_3142:                             ;   in Loop: Header=BB4_2910 Depth=3
	s_or_b32 exec_lo, exec_lo, s18
	v_mul_f32_e32 v14, v93, v14
	v_and_b32_e32 v10, 0x7f800000, v14
	v_cmp_ne_u32_e32 vcc_lo, 0x7f800000, v10
	v_mov_b32_e32 v10, 0x8000
	s_and_saveexec_b32 s18, vcc_lo
	s_cbranch_execz .LBB4_3150
; %bb.3143:                             ;   in Loop: Header=BB4_2910 Depth=3
	v_mov_b32_e32 v10, 0
	s_mov_b32 s22, exec_lo
	v_cmpx_ne_u32_e32 0, v14
	s_cbranch_execz .LBB4_3149
; %bb.3144:                             ;   in Loop: Header=BB4_2910 Depth=3
	v_bfe_u32 v10, v14, 23, 8
	v_and_b32_e32 v26, 0x7fffff, v14
	v_sub_nc_u32_e32 v27, 0x70, v10
	v_cmp_gt_u32_e32 vcc_lo, 0x71, v10
	v_or_b32_e32 v93, 0x800000, v26
	v_cndmask_b32_e32 v27, 0, v27, vcc_lo
	v_cmp_eq_u32_e32 vcc_lo, 0, v10
	v_add_nc_u32_e32 v10, 0xffffff91, v10
	v_cndmask_b32_e64 v27, v27, 0x6f, vcc_lo
	v_cndmask_b32_e32 v26, v93, v26, vcc_lo
	v_cndmask_b32_e64 v10, v10, 0xffffff92, vcc_lo
	v_lshl_add_u32 v94, 0x200000, v27, -1
	v_lshrrev_b32_e32 v93, v27, v26
	v_lshlrev_b32_e64 v104, v27, 0x100000
	v_and_b32_e32 v26, v94, v26
	v_bfe_u32 v95, v93, 21, 1
	v_cmp_eq_u32_e64 s17, v26, v104
	v_add_nc_u32_e32 v94, -1, v95
	v_lshrrev_b32_e32 v95, 23, v93
	v_cndmask_b32_e64 v26, 0, v94, s17
	v_add_nc_u32_e32 v94, v27, v10
	v_xor_b32_e32 v95, 1, v95
	s_mov_b32 s17, exec_lo
	v_add_nc_u32_e32 v26, v26, v93
	v_and_b32_e32 v10, 0x1fffff, v26
	v_add_nc_u32_e32 v93, v10, v93
                                        ; implicit-def: $vgpr10
	v_cmpx_ne_u32_e64 v94, v95
	s_xor_b32 s17, exec_lo, s17
; %bb.3145:                             ;   in Loop: Header=BB4_2910 Depth=3
	v_cmp_lt_u32_e32 vcc_lo, 0xffffff, v93
	v_sub_nc_u32_e32 v10, v94, v95
	v_cndmask_b32_e64 v26, 0, 1, vcc_lo
	v_add_co_ci_u32_e64 v10, null, 0, v10, vcc_lo
	v_lshrrev_b32_e32 v93, v26, v93
; %bb.3146:                             ;   in Loop: Header=BB4_2910 Depth=3
	s_andn2_saveexec_b32 s17, s17
; %bb.3147:                             ;   in Loop: Header=BB4_2910 Depth=3
	v_bfe_u32 v10, v93, 23, 1
; %bb.3148:                             ;   in Loop: Header=BB4_2910 Depth=3
	s_or_b32 exec_lo, exec_lo, s17
	v_lshrrev_b32_e32 v26, 21, v93
	v_min_i32_e32 v27, 31, v10
	v_cmp_gt_i32_e32 vcc_lo, 32, v10
	v_and_b32_sdwa v14, v14, v116 dst_sel:DWORD dst_unused:UNUSED_PAD src0_sel:BYTE_3 src1_sel:DWORD
	v_lshlrev_b32_e32 v27, 2, v27
	v_cndmask_b32_e32 v26, 3, v26, vcc_lo
	v_and_b32_e32 v27, 0xfc, v27
	v_and_b32_e32 v93, 3, v26
	v_or_b32_e32 v10, v10, v26
	v_or3_b32 v14, v14, v27, v93
	v_cmp_ne_u32_e32 vcc_lo, 0, v10
	v_lshlrev_b32_e32 v14, 8, v14
	v_cndmask_b32_e32 v10, 0, v14, vcc_lo
.LBB4_3149:                             ;   in Loop: Header=BB4_2910 Depth=3
	s_or_b32 exec_lo, exec_lo, s22
.LBB4_3150:                             ;   in Loop: Header=BB4_2910 Depth=3
	s_or_b32 exec_lo, exec_lo, s18
	v_cmp_gt_i16_sdwa s18, v15, v115 src0_sel:BYTE_0 src1_sel:DWORD
	s_mov_b32 s17, 0
	s_and_saveexec_b32 s22, s18
	s_xor_b32 s18, exec_lo, s22
	s_cbranch_execz .LBB4_3281
; %bb.3151:                             ;   in Loop: Header=BB4_2910 Depth=3
	v_cmp_eq_u16_sdwa s23, v15, v116 src0_sel:BYTE_0 src1_sel:DWORD
	s_mov_b32 s17, -1
	s_and_saveexec_b32 s22, s23
; %bb.3152:                             ;   in Loop: Header=BB4_2910 Depth=3
	s_xor_b32 s17, exec_lo, -1
; %bb.3153:                             ;   in Loop: Header=BB4_2910 Depth=3
	s_or_b32 exec_lo, exec_lo, s22
	s_and_b32 s17, s17, exec_lo
	s_or_saveexec_b32 s18, s18
	v_mov_b32_e32 v14, 0x7f800001
	s_xor_b32 exec_lo, exec_lo, s18
	s_cbranch_execnz .LBB4_3282
.LBB4_3154:                             ;   in Loop: Header=BB4_2910 Depth=3
	s_or_b32 exec_lo, exec_lo, s18
	s_and_saveexec_b32 s18, s17
	s_cbranch_execz .LBB4_3156
.LBB4_3155:                             ;   in Loop: Header=BB4_2910 Depth=3
	v_and_b32_e32 v14, 3, v15
	v_bfe_u32 v93, v15, 2, 5
	v_lshlrev_b32_e32 v94, 24, v15
	v_ffbh_u32_e32 v26, v14
	v_cmp_eq_u32_e32 vcc_lo, 0, v93
	v_min_u32_e32 v26, 32, v26
	v_subrev_nc_u32_e32 v27, 29, v26
	v_sub_nc_u32_e32 v26, 30, v26
	v_lshlrev_b32_e32 v27, v27, v15
	v_cndmask_b32_e32 v26, v93, v26, vcc_lo
	v_and_b32_e32 v27, 3, v27
	v_lshl_add_u32 v26, v26, 23, 0x37800000
	v_cndmask_b32_e32 v14, v14, v27, vcc_lo
	v_and_b32_e32 v27, 0x80000000, v94
	v_lshlrev_b32_e32 v14, 21, v14
	v_or3_b32 v14, v27, v26, v14
.LBB4_3156:                             ;   in Loop: Header=BB4_2910 Depth=3
	s_or_b32 exec_lo, exec_lo, s18
	v_cmp_gt_i16_sdwa s18, v11, v115 src0_sel:BYTE_0 src1_sel:DWORD
	s_mov_b32 s17, 0
	s_and_saveexec_b32 s22, s18
	s_xor_b32 s18, exec_lo, s22
	s_cbranch_execz .LBB4_3283
; %bb.3157:                             ;   in Loop: Header=BB4_2910 Depth=3
	v_cmp_eq_u16_sdwa s23, v11, v116 src0_sel:BYTE_0 src1_sel:DWORD
	s_mov_b32 s17, -1
	s_and_saveexec_b32 s22, s23
; %bb.3158:                             ;   in Loop: Header=BB4_2910 Depth=3
	s_xor_b32 s17, exec_lo, -1
; %bb.3159:                             ;   in Loop: Header=BB4_2910 Depth=3
	s_or_b32 exec_lo, exec_lo, s22
	s_and_b32 s17, s17, exec_lo
	s_or_saveexec_b32 s18, s18
	v_mov_b32_e32 v93, 0x7f800001
	s_xor_b32 exec_lo, exec_lo, s18
	s_cbranch_execnz .LBB4_3284
.LBB4_3160:                             ;   in Loop: Header=BB4_2910 Depth=3
	s_or_b32 exec_lo, exec_lo, s18
	s_and_saveexec_b32 s18, s17
	s_cbranch_execz .LBB4_3162
.LBB4_3161:                             ;   in Loop: Header=BB4_2910 Depth=3
	v_and_b32_e32 v26, 3, v11
	v_bfe_u32 v94, v11, 2, 5
	v_lshlrev_b32_e32 v95, 24, v11
	v_ffbh_u32_e32 v27, v26
	v_cmp_eq_u32_e32 vcc_lo, 0, v94
	v_min_u32_e32 v27, 32, v27
	v_subrev_nc_u32_e32 v93, 29, v27
	v_sub_nc_u32_e32 v27, 30, v27
	v_lshlrev_b32_e32 v93, v93, v11
	v_cndmask_b32_e32 v27, v94, v27, vcc_lo
	v_and_b32_e32 v93, 3, v93
	v_lshl_add_u32 v27, v27, 23, 0x37800000
	v_cndmask_b32_e32 v26, v26, v93, vcc_lo
	v_and_b32_e32 v93, 0x80000000, v95
	v_lshlrev_b32_e32 v26, 21, v26
	v_or3_b32 v93, v93, v27, v26
.LBB4_3162:                             ;   in Loop: Header=BB4_2910 Depth=3
	s_or_b32 exec_lo, exec_lo, s18
	v_mul_f32_e32 v93, v14, v93
	v_and_b32_e32 v14, 0x7f800000, v93
	v_cmp_ne_u32_e32 vcc_lo, 0x7f800000, v14
	v_mov_b32_e32 v14, 0x80
	s_and_saveexec_b32 s18, vcc_lo
	s_cbranch_execz .LBB4_3170
; %bb.3163:                             ;   in Loop: Header=BB4_2910 Depth=3
	v_mov_b32_e32 v14, 0
	s_mov_b32 s22, exec_lo
	v_cmpx_ne_u32_e32 0, v93
	s_cbranch_execz .LBB4_3169
; %bb.3164:                             ;   in Loop: Header=BB4_2910 Depth=3
	v_bfe_u32 v14, v93, 23, 8
	v_and_b32_e32 v26, 0x7fffff, v93
	v_sub_nc_u32_e32 v27, 0x70, v14
	v_cmp_gt_u32_e32 vcc_lo, 0x71, v14
	v_or_b32_e32 v94, 0x800000, v26
	v_cndmask_b32_e32 v27, 0, v27, vcc_lo
	v_cmp_eq_u32_e32 vcc_lo, 0, v14
	v_add_nc_u32_e32 v14, 0xffffff91, v14
	v_cndmask_b32_e64 v27, v27, 0x6f, vcc_lo
	v_cndmask_b32_e32 v26, v94, v26, vcc_lo
	v_cndmask_b32_e64 v14, v14, 0xffffff92, vcc_lo
	v_lshl_add_u32 v95, 0x200000, v27, -1
	v_lshrrev_b32_e32 v94, v27, v26
	v_lshlrev_b32_e64 v105, v27, 0x100000
	v_and_b32_e32 v26, v95, v26
	v_bfe_u32 v104, v94, 21, 1
	v_cmp_eq_u32_e64 s17, v26, v105
	v_add_nc_u32_e32 v95, -1, v104
	v_lshrrev_b32_e32 v104, 23, v94
	v_cndmask_b32_e64 v26, 0, v95, s17
	v_add_nc_u32_e32 v95, v27, v14
	v_xor_b32_e32 v104, 1, v104
	s_mov_b32 s17, exec_lo
	v_add_nc_u32_e32 v26, v26, v94
	v_and_b32_e32 v14, 0x1fffff, v26
	v_add_nc_u32_e32 v94, v14, v94
                                        ; implicit-def: $vgpr14
	v_cmpx_ne_u32_e64 v95, v104
	s_xor_b32 s17, exec_lo, s17
; %bb.3165:                             ;   in Loop: Header=BB4_2910 Depth=3
	v_cmp_lt_u32_e32 vcc_lo, 0xffffff, v94
	v_sub_nc_u32_e32 v14, v95, v104
	v_cndmask_b32_e64 v26, 0, 1, vcc_lo
	v_add_co_ci_u32_e64 v14, null, 0, v14, vcc_lo
	v_lshrrev_b32_e32 v94, v26, v94
; %bb.3166:                             ;   in Loop: Header=BB4_2910 Depth=3
	s_andn2_saveexec_b32 s17, s17
; %bb.3167:                             ;   in Loop: Header=BB4_2910 Depth=3
	v_bfe_u32 v14, v94, 23, 1
; %bb.3168:                             ;   in Loop: Header=BB4_2910 Depth=3
	s_or_b32 exec_lo, exec_lo, s17
	v_lshrrev_b32_e32 v26, 21, v94
	v_min_i32_e32 v27, 31, v14
	v_cmp_gt_i32_e32 vcc_lo, 32, v14
	v_and_b32_sdwa v93, v93, v116 dst_sel:DWORD dst_unused:UNUSED_PAD src0_sel:BYTE_3 src1_sel:DWORD
	v_lshlrev_b32_e32 v27, 2, v27
	v_cndmask_b32_e32 v26, 3, v26, vcc_lo
	v_and_b32_e32 v27, 0xfc, v27
	v_and_b32_e32 v94, 3, v26
	v_or_b32_e32 v14, v14, v26
	v_or3_b32 v26, v27, v93, v94
	v_cmp_ne_u32_e32 vcc_lo, 0, v14
	v_cndmask_b32_e32 v14, 0, v26, vcc_lo
.LBB4_3169:                             ;   in Loop: Header=BB4_2910 Depth=3
	s_or_b32 exec_lo, exec_lo, s22
.LBB4_3170:                             ;   in Loop: Header=BB4_2910 Depth=3
	s_or_b32 exec_lo, exec_lo, s18
	v_cmp_gt_i16_sdwa s18, v15, v115 src0_sel:BYTE_1 src1_sel:DWORD
	s_mov_b32 s17, 0
	s_and_saveexec_b32 s22, s18
	s_xor_b32 s18, exec_lo, s22
	s_cbranch_execz .LBB4_3285
; %bb.3171:                             ;   in Loop: Header=BB4_2910 Depth=3
	v_cmp_eq_u16_sdwa s23, v15, v116 src0_sel:BYTE_1 src1_sel:DWORD
	s_mov_b32 s17, -1
	s_and_saveexec_b32 s22, s23
; %bb.3172:                             ;   in Loop: Header=BB4_2910 Depth=3
	s_xor_b32 s17, exec_lo, -1
; %bb.3173:                             ;   in Loop: Header=BB4_2910 Depth=3
	s_or_b32 exec_lo, exec_lo, s22
	s_and_b32 s17, s17, exec_lo
	s_or_saveexec_b32 s18, s18
	v_mov_b32_e32 v93, 0x7f800001
	s_xor_b32 exec_lo, exec_lo, s18
	s_cbranch_execnz .LBB4_3286
.LBB4_3174:                             ;   in Loop: Header=BB4_2910 Depth=3
	s_or_b32 exec_lo, exec_lo, s18
	s_and_saveexec_b32 s18, s17
	s_cbranch_execz .LBB4_3176
.LBB4_3175:                             ;   in Loop: Header=BB4_2910 Depth=3
	v_and_b32_sdwa v26, v117, v15 dst_sel:DWORD dst_unused:UNUSED_PAD src0_sel:DWORD src1_sel:BYTE_1
	v_and_b32_e32 v27, 3, v26
	v_bfe_u32 v95, v26, 2, 5
	v_ffbh_u32_e32 v93, v27
	v_cmp_eq_u32_e32 vcc_lo, 0, v95
	v_min_u32_e32 v93, 32, v93
	v_subrev_nc_u32_e32 v94, 29, v93
	v_sub_nc_u32_e32 v93, 30, v93
	v_lshlrev_b32_e32 v26, v94, v26
	v_lshlrev_b32_sdwa v94, v118, v15 dst_sel:DWORD dst_unused:UNUSED_PAD src0_sel:DWORD src1_sel:BYTE_1
	v_cndmask_b32_e32 v93, v95, v93, vcc_lo
	v_and_b32_e32 v26, 3, v26
	v_lshl_add_u32 v93, v93, 23, 0x37800000
	v_cndmask_b32_e32 v26, v27, v26, vcc_lo
	v_and_b32_e32 v27, 0x80000000, v94
	v_lshlrev_b32_e32 v26, 21, v26
	v_or3_b32 v93, v27, v93, v26
.LBB4_3176:                             ;   in Loop: Header=BB4_2910 Depth=3
	s_or_b32 exec_lo, exec_lo, s18
	v_cmp_gt_i16_sdwa s18, v11, v115 src0_sel:BYTE_1 src1_sel:DWORD
	s_mov_b32 s17, 0
	s_and_saveexec_b32 s22, s18
	s_xor_b32 s18, exec_lo, s22
	s_cbranch_execz .LBB4_3287
; %bb.3177:                             ;   in Loop: Header=BB4_2910 Depth=3
	v_cmp_eq_u16_sdwa s23, v11, v116 src0_sel:BYTE_1 src1_sel:DWORD
	s_mov_b32 s17, -1
	s_and_saveexec_b32 s22, s23
; %bb.3178:                             ;   in Loop: Header=BB4_2910 Depth=3
	s_xor_b32 s17, exec_lo, -1
; %bb.3179:                             ;   in Loop: Header=BB4_2910 Depth=3
	s_or_b32 exec_lo, exec_lo, s22
	s_and_b32 s17, s17, exec_lo
	s_or_saveexec_b32 s18, s18
	v_mov_b32_e32 v94, 0x7f800001
	s_xor_b32 exec_lo, exec_lo, s18
	s_cbranch_execnz .LBB4_3288
.LBB4_3180:                             ;   in Loop: Header=BB4_2910 Depth=3
	s_or_b32 exec_lo, exec_lo, s18
	s_and_saveexec_b32 s18, s17
	s_cbranch_execz .LBB4_3182
.LBB4_3181:                             ;   in Loop: Header=BB4_2910 Depth=3
	v_and_b32_sdwa v26, v117, v11 dst_sel:DWORD dst_unused:UNUSED_PAD src0_sel:DWORD src1_sel:BYTE_1
	v_and_b32_e32 v27, 3, v26
	v_bfe_u32 v104, v26, 2, 5
	v_ffbh_u32_e32 v94, v27
	v_cmp_eq_u32_e32 vcc_lo, 0, v104
	v_min_u32_e32 v94, 32, v94
	v_subrev_nc_u32_e32 v95, 29, v94
	v_sub_nc_u32_e32 v94, 30, v94
	v_lshlrev_b32_e32 v26, v95, v26
	v_lshlrev_b32_sdwa v95, v118, v11 dst_sel:DWORD dst_unused:UNUSED_PAD src0_sel:DWORD src1_sel:BYTE_1
	v_cndmask_b32_e32 v94, v104, v94, vcc_lo
	v_and_b32_e32 v26, 3, v26
	v_lshl_add_u32 v94, v94, 23, 0x37800000
	v_cndmask_b32_e32 v26, v27, v26, vcc_lo
	v_and_b32_e32 v27, 0x80000000, v95
	v_lshlrev_b32_e32 v26, 21, v26
	v_or3_b32 v94, v27, v94, v26
.LBB4_3182:                             ;   in Loop: Header=BB4_2910 Depth=3
	s_or_b32 exec_lo, exec_lo, s18
	v_mul_f32_e32 v94, v93, v94
	v_mov_b32_e32 v93, 0x8000
	s_mov_b32 s18, exec_lo
	v_and_b32_e32 v26, 0x7f800000, v94
	v_cmpx_ne_u32_e32 0x7f800000, v26
	s_cbranch_execz .LBB4_3190
; %bb.3183:                             ;   in Loop: Header=BB4_2910 Depth=3
	v_mov_b32_e32 v93, 0
	s_mov_b32 s22, exec_lo
	v_cmpx_ne_u32_e32 0, v94
	s_cbranch_execz .LBB4_3189
; %bb.3184:                             ;   in Loop: Header=BB4_2910 Depth=3
	v_bfe_u32 v26, v94, 23, 8
	v_and_b32_e32 v27, 0x7fffff, v94
	v_sub_nc_u32_e32 v93, 0x70, v26
	v_cmp_gt_u32_e32 vcc_lo, 0x71, v26
	v_or_b32_e32 v95, 0x800000, v27
	v_cndmask_b32_e32 v93, 0, v93, vcc_lo
	v_cmp_eq_u32_e32 vcc_lo, 0, v26
	v_add_nc_u32_e32 v26, 0xffffff91, v26
	v_cndmask_b32_e64 v93, v93, 0x6f, vcc_lo
	v_cndmask_b32_e32 v27, v95, v27, vcc_lo
	v_cndmask_b32_e64 v26, v26, 0xffffff92, vcc_lo
	v_lshl_add_u32 v104, 0x200000, v93, -1
	v_lshrrev_b32_e32 v95, v93, v27
	v_lshlrev_b32_e64 v106, v93, 0x100000
	v_and_b32_e32 v27, v104, v27
	v_bfe_u32 v105, v95, 21, 1
	v_cmp_eq_u32_e64 s17, v27, v106
	v_add_nc_u32_e32 v104, -1, v105
	v_lshrrev_b32_e32 v105, 23, v95
	v_cndmask_b32_e64 v27, 0, v104, s17
	v_add_nc_u32_e32 v104, v93, v26
	v_xor_b32_e32 v105, 1, v105
	s_mov_b32 s17, exec_lo
                                        ; implicit-def: $vgpr93
	v_add_nc_u32_e32 v27, v27, v95
	v_and_b32_e32 v26, 0x1fffff, v27
	v_add_nc_u32_e32 v95, v26, v95
	v_cmpx_ne_u32_e64 v104, v105
	s_xor_b32 s17, exec_lo, s17
; %bb.3185:                             ;   in Loop: Header=BB4_2910 Depth=3
	v_cmp_lt_u32_e32 vcc_lo, 0xffffff, v95
	v_sub_nc_u32_e32 v26, v104, v105
	v_cndmask_b32_e64 v27, 0, 1, vcc_lo
	v_add_co_ci_u32_e64 v93, null, 0, v26, vcc_lo
	v_lshrrev_b32_e32 v95, v27, v95
; %bb.3186:                             ;   in Loop: Header=BB4_2910 Depth=3
	s_andn2_saveexec_b32 s17, s17
; %bb.3187:                             ;   in Loop: Header=BB4_2910 Depth=3
	v_bfe_u32 v93, v95, 23, 1
; %bb.3188:                             ;   in Loop: Header=BB4_2910 Depth=3
	s_or_b32 exec_lo, exec_lo, s17
	v_lshrrev_b32_e32 v26, 21, v95
	v_min_i32_e32 v27, 31, v93
	v_cmp_gt_i32_e32 vcc_lo, 32, v93
	v_and_b32_sdwa v94, v94, v116 dst_sel:DWORD dst_unused:UNUSED_PAD src0_sel:BYTE_3 src1_sel:DWORD
	v_lshlrev_b32_e32 v27, 2, v27
	v_cndmask_b32_e32 v26, 3, v26, vcc_lo
	v_and_b32_e32 v27, 0xfc, v27
	v_and_b32_e32 v95, 3, v26
	v_or_b32_e32 v26, v93, v26
	v_or3_b32 v27, v94, v27, v95
	v_cmp_ne_u32_e32 vcc_lo, 0, v26
	v_lshlrev_b32_e32 v27, 8, v27
	v_cndmask_b32_e32 v93, 0, v27, vcc_lo
.LBB4_3189:                             ;   in Loop: Header=BB4_2910 Depth=3
	s_or_b32 exec_lo, exec_lo, s22
.LBB4_3190:                             ;   in Loop: Header=BB4_2910 Depth=3
	s_or_b32 exec_lo, exec_lo, s18
	v_and_b32_sdwa v95, v15, v119 dst_sel:DWORD dst_unused:UNUSED_PAD src0_sel:WORD_1 src1_sel:DWORD
	s_mov_b32 s17, 0
	s_mov_b32 s18, exec_lo
	v_cmpx_lt_i16_e32 0x7f, v95
	s_xor_b32 s18, exec_lo, s18
	s_cbranch_execz .LBB4_3289
; %bb.3191:                             ;   in Loop: Header=BB4_2910 Depth=3
	s_mov_b32 s17, -1
	s_mov_b32 s22, exec_lo
	v_cmpx_eq_u16_e32 0x80, v95
; %bb.3192:                             ;   in Loop: Header=BB4_2910 Depth=3
	s_xor_b32 s17, exec_lo, -1
; %bb.3193:                             ;   in Loop: Header=BB4_2910 Depth=3
	s_or_b32 exec_lo, exec_lo, s22
	s_and_b32 s17, s17, exec_lo
                                        ; implicit-def: $vgpr95
	s_or_saveexec_b32 s18, s18
	v_mov_b32_e32 v94, 0x7f800001
	s_xor_b32 exec_lo, exec_lo, s18
	s_cbranch_execnz .LBB4_3290
.LBB4_3194:                             ;   in Loop: Header=BB4_2910 Depth=3
	s_or_b32 exec_lo, exec_lo, s18
	s_and_saveexec_b32 s18, s17
	s_cbranch_execz .LBB4_3196
.LBB4_3195:                             ;   in Loop: Header=BB4_2910 Depth=3
	v_bfe_u32 v26, v15, 16, 2
	v_bfe_u32 v95, v15, 18, 5
	v_lshlrev_b32_e32 v104, 8, v15
	v_ffbh_u32_e32 v27, v26
	v_cmp_eq_u32_e32 vcc_lo, 0, v95
	v_min_u32_e32 v27, 32, v27
	v_subrev_nc_u32_e32 v94, 29, v27
	v_sub_nc_u32_e32 v27, 30, v27
	v_lshlrev_b32_sdwa v94, v94, v15 dst_sel:DWORD dst_unused:UNUSED_PAD src0_sel:DWORD src1_sel:WORD_1
	v_cndmask_b32_e32 v27, v95, v27, vcc_lo
	v_and_b32_e32 v94, 3, v94
	v_lshl_add_u32 v27, v27, 23, 0x37800000
	v_cndmask_b32_e32 v26, v26, v94, vcc_lo
	v_and_b32_e32 v94, 0x80000000, v104
	v_lshlrev_b32_e32 v26, 21, v26
	v_or3_b32 v94, v94, v27, v26
.LBB4_3196:                             ;   in Loop: Header=BB4_2910 Depth=3
	s_or_b32 exec_lo, exec_lo, s18
	v_and_b32_sdwa v104, v11, v119 dst_sel:DWORD dst_unused:UNUSED_PAD src0_sel:WORD_1 src1_sel:DWORD
	s_mov_b32 s17, 0
	s_mov_b32 s18, exec_lo
	v_cmpx_lt_i16_e32 0x7f, v104
	s_xor_b32 s18, exec_lo, s18
	s_cbranch_execz .LBB4_3291
; %bb.3197:                             ;   in Loop: Header=BB4_2910 Depth=3
	s_mov_b32 s17, -1
	s_mov_b32 s22, exec_lo
	v_cmpx_eq_u16_e32 0x80, v104
; %bb.3198:                             ;   in Loop: Header=BB4_2910 Depth=3
	s_xor_b32 s17, exec_lo, -1
; %bb.3199:                             ;   in Loop: Header=BB4_2910 Depth=3
	s_or_b32 exec_lo, exec_lo, s22
	s_and_b32 s17, s17, exec_lo
                                        ; implicit-def: $vgpr104
	s_or_saveexec_b32 s18, s18
	v_mov_b32_e32 v95, 0x7f800001
	s_xor_b32 exec_lo, exec_lo, s18
	s_cbranch_execnz .LBB4_3292
.LBB4_3200:                             ;   in Loop: Header=BB4_2910 Depth=3
	s_or_b32 exec_lo, exec_lo, s18
	s_and_saveexec_b32 s18, s17
	s_cbranch_execz .LBB4_3202
.LBB4_3201:                             ;   in Loop: Header=BB4_2910 Depth=3
	v_and_b32_sdwa v26, v11, v40 dst_sel:DWORD dst_unused:UNUSED_PAD src0_sel:WORD_1 src1_sel:DWORD
	v_bfe_u32 v104, v11, 18, 5
	v_lshlrev_b32_sdwa v105, v118, v11 dst_sel:DWORD dst_unused:UNUSED_PAD src0_sel:DWORD src1_sel:WORD_1
	v_ffbh_u32_e32 v27, v26
	v_cmp_eq_u32_e32 vcc_lo, 0, v104
	v_min_u32_e32 v27, 32, v27
	v_subrev_nc_u32_e32 v95, 29, v27
	v_sub_nc_u32_e32 v27, 30, v27
	v_lshlrev_b32_sdwa v95, v95, v11 dst_sel:DWORD dst_unused:UNUSED_PAD src0_sel:DWORD src1_sel:WORD_1
	v_cndmask_b32_e32 v27, v104, v27, vcc_lo
	v_and_b32_e32 v95, 3, v95
	v_lshl_add_u32 v27, v27, 23, 0x37800000
	v_cndmask_b32_e32 v26, v26, v95, vcc_lo
	v_and_b32_e32 v95, 0x80000000, v105
	v_lshlrev_b32_e32 v26, 21, v26
	v_or3_b32 v95, v95, v27, v26
.LBB4_3202:                             ;   in Loop: Header=BB4_2910 Depth=3
	s_or_b32 exec_lo, exec_lo, s18
	v_mul_f32_e32 v95, v94, v95
	v_mov_b32_e32 v94, 0x80
	s_mov_b32 s18, exec_lo
	v_and_b32_e32 v26, 0x7f800000, v95
	v_cmpx_ne_u32_e32 0x7f800000, v26
	s_cbranch_execz .LBB4_3210
; %bb.3203:                             ;   in Loop: Header=BB4_2910 Depth=3
	v_mov_b32_e32 v94, 0
	s_mov_b32 s22, exec_lo
	v_cmpx_ne_u32_e32 0, v95
	s_cbranch_execz .LBB4_3209
; %bb.3204:                             ;   in Loop: Header=BB4_2910 Depth=3
	v_bfe_u32 v26, v95, 23, 8
	v_and_b32_e32 v27, 0x7fffff, v95
	v_sub_nc_u32_e32 v94, 0x70, v26
	v_cmp_gt_u32_e32 vcc_lo, 0x71, v26
	v_or_b32_e32 v104, 0x800000, v27
	v_cndmask_b32_e32 v94, 0, v94, vcc_lo
	v_cmp_eq_u32_e32 vcc_lo, 0, v26
	v_add_nc_u32_e32 v26, 0xffffff91, v26
	v_cndmask_b32_e64 v94, v94, 0x6f, vcc_lo
	v_cndmask_b32_e32 v27, v104, v27, vcc_lo
	v_cndmask_b32_e64 v26, v26, 0xffffff92, vcc_lo
	v_lshl_add_u32 v105, 0x200000, v94, -1
	v_lshrrev_b32_e32 v104, v94, v27
	v_lshlrev_b32_e64 v107, v94, 0x100000
	v_and_b32_e32 v27, v105, v27
	v_bfe_u32 v106, v104, 21, 1
	v_cmp_eq_u32_e64 s17, v27, v107
	v_add_nc_u32_e32 v105, -1, v106
	v_lshrrev_b32_e32 v106, 23, v104
	v_cndmask_b32_e64 v27, 0, v105, s17
	v_add_nc_u32_e32 v105, v94, v26
	v_xor_b32_e32 v106, 1, v106
	s_mov_b32 s17, exec_lo
                                        ; implicit-def: $vgpr94
	v_add_nc_u32_e32 v27, v27, v104
	v_and_b32_e32 v26, 0x1fffff, v27
	v_add_nc_u32_e32 v104, v26, v104
	v_cmpx_ne_u32_e64 v105, v106
	s_xor_b32 s17, exec_lo, s17
; %bb.3205:                             ;   in Loop: Header=BB4_2910 Depth=3
	v_cmp_lt_u32_e32 vcc_lo, 0xffffff, v104
	v_sub_nc_u32_e32 v26, v105, v106
	v_cndmask_b32_e64 v27, 0, 1, vcc_lo
	v_add_co_ci_u32_e64 v94, null, 0, v26, vcc_lo
	v_lshrrev_b32_e32 v104, v27, v104
; %bb.3206:                             ;   in Loop: Header=BB4_2910 Depth=3
	s_andn2_saveexec_b32 s17, s17
; %bb.3207:                             ;   in Loop: Header=BB4_2910 Depth=3
	v_bfe_u32 v94, v104, 23, 1
; %bb.3208:                             ;   in Loop: Header=BB4_2910 Depth=3
	s_or_b32 exec_lo, exec_lo, s17
	v_lshrrev_b32_e32 v26, 21, v104
	v_min_i32_e32 v27, 31, v94
	v_cmp_gt_i32_e32 vcc_lo, 32, v94
	v_and_b32_sdwa v95, v95, v116 dst_sel:DWORD dst_unused:UNUSED_PAD src0_sel:BYTE_3 src1_sel:DWORD
	v_lshlrev_b32_e32 v27, 2, v27
	v_cndmask_b32_e32 v26, 3, v26, vcc_lo
	v_and_b32_e32 v27, 0xfc, v27
	v_and_b32_e32 v104, 3, v26
	v_or_b32_e32 v26, v94, v26
	v_or3_b32 v27, v27, v95, v104
	v_cmp_ne_u32_e32 vcc_lo, 0, v26
	v_cndmask_b32_e32 v94, 0, v27, vcc_lo
.LBB4_3209:                             ;   in Loop: Header=BB4_2910 Depth=3
	s_or_b32 exec_lo, exec_lo, s22
.LBB4_3210:                             ;   in Loop: Header=BB4_2910 Depth=3
	s_or_b32 exec_lo, exec_lo, s18
	v_cmp_gt_i16_sdwa s18, v15, v115 src0_sel:BYTE_3 src1_sel:DWORD
	s_mov_b32 s17, 0
	s_and_saveexec_b32 s22, s18
	s_xor_b32 s18, exec_lo, s22
	s_cbranch_execz .LBB4_3293
; %bb.3211:                             ;   in Loop: Header=BB4_2910 Depth=3
	v_cmp_eq_u16_sdwa s23, v15, v116 src0_sel:BYTE_3 src1_sel:DWORD
	s_mov_b32 s17, -1
	s_and_saveexec_b32 s22, s23
; %bb.3212:                             ;   in Loop: Header=BB4_2910 Depth=3
	s_xor_b32 s17, exec_lo, -1
; %bb.3213:                             ;   in Loop: Header=BB4_2910 Depth=3
	s_or_b32 exec_lo, exec_lo, s22
	s_and_b32 s17, s17, exec_lo
	s_or_saveexec_b32 s18, s18
	v_mov_b32_e32 v95, 0x7f800001
	s_xor_b32 exec_lo, exec_lo, s18
	s_cbranch_execnz .LBB4_3294
.LBB4_3214:                             ;   in Loop: Header=BB4_2910 Depth=3
	s_or_b32 exec_lo, exec_lo, s18
	s_and_saveexec_b32 s18, s17
	s_cbranch_execz .LBB4_3216
.LBB4_3215:                             ;   in Loop: Header=BB4_2910 Depth=3
	v_bfe_u32 v26, v15, 24, 2
	v_bfe_u32 v104, v15, 26, 5
	v_ffbh_u32_e32 v27, v26
	v_cmp_eq_u32_e32 vcc_lo, 0, v104
	v_min_u32_e32 v27, 32, v27
	v_subrev_nc_u32_e32 v95, 29, v27
	v_sub_nc_u32_e32 v27, 30, v27
	v_lshlrev_b32_sdwa v95, v95, v15 dst_sel:DWORD dst_unused:UNUSED_PAD src0_sel:DWORD src1_sel:BYTE_3
	v_cndmask_b32_e32 v27, v104, v27, vcc_lo
	v_and_b32_e32 v15, 0x80000000, v15
	v_and_b32_e32 v95, 3, v95
	v_lshl_add_u32 v27, v27, 23, 0x37800000
	v_cndmask_b32_e32 v26, v26, v95, vcc_lo
	v_lshlrev_b32_e32 v26, 21, v26
	v_or3_b32 v95, v15, v27, v26
.LBB4_3216:                             ;   in Loop: Header=BB4_2910 Depth=3
	s_or_b32 exec_lo, exec_lo, s18
	v_cmp_gt_i16_sdwa s18, v11, v115 src0_sel:BYTE_3 src1_sel:DWORD
	s_mov_b32 s17, 0
	s_and_saveexec_b32 s22, s18
	s_xor_b32 s18, exec_lo, s22
	s_cbranch_execz .LBB4_3295
; %bb.3217:                             ;   in Loop: Header=BB4_2910 Depth=3
	v_cmp_eq_u16_sdwa s23, v11, v116 src0_sel:BYTE_3 src1_sel:DWORD
	s_mov_b32 s17, -1
	s_and_saveexec_b32 s22, s23
; %bb.3218:                             ;   in Loop: Header=BB4_2910 Depth=3
	s_xor_b32 s17, exec_lo, -1
; %bb.3219:                             ;   in Loop: Header=BB4_2910 Depth=3
	s_or_b32 exec_lo, exec_lo, s22
	s_and_b32 s17, s17, exec_lo
	s_or_saveexec_b32 s18, s18
	v_mov_b32_e32 v15, 0x7f800001
	s_xor_b32 exec_lo, exec_lo, s18
	s_cbranch_execnz .LBB4_3296
.LBB4_3220:                             ;   in Loop: Header=BB4_2910 Depth=3
	s_or_b32 exec_lo, exec_lo, s18
	s_and_saveexec_b32 s18, s17
	s_cbranch_execz .LBB4_3222
.LBB4_3221:                             ;   in Loop: Header=BB4_2910 Depth=3
	v_and_b32_sdwa v15, v11, v40 dst_sel:DWORD dst_unused:UNUSED_PAD src0_sel:BYTE_3 src1_sel:DWORD
	v_bfe_u32 v104, v11, 26, 5
	v_ffbh_u32_e32 v26, v15
	v_cmp_eq_u32_e32 vcc_lo, 0, v104
	v_min_u32_e32 v26, 32, v26
	v_subrev_nc_u32_e32 v27, 29, v26
	v_sub_nc_u32_e32 v26, 30, v26
	v_lshlrev_b32_sdwa v27, v27, v11 dst_sel:DWORD dst_unused:UNUSED_PAD src0_sel:DWORD src1_sel:BYTE_3
	v_cndmask_b32_e32 v26, v104, v26, vcc_lo
	v_and_b32_e32 v11, 0x80000000, v11
	v_and_b32_e32 v27, 3, v27
	v_lshl_add_u32 v26, v26, 23, 0x37800000
	v_cndmask_b32_e32 v15, v15, v27, vcc_lo
	v_lshlrev_b32_e32 v15, 21, v15
	v_or3_b32 v15, v11, v26, v15
.LBB4_3222:                             ;   in Loop: Header=BB4_2910 Depth=3
	s_or_b32 exec_lo, exec_lo, s18
	v_mul_f32_e32 v11, v95, v15
	v_and_b32_e32 v15, 0x7f800000, v11
	v_cmp_ne_u32_e32 vcc_lo, 0x7f800000, v15
	v_mov_b32_e32 v15, 0x8000
	s_and_saveexec_b32 s18, vcc_lo
	s_cbranch_execz .LBB4_3230
; %bb.3223:                             ;   in Loop: Header=BB4_2910 Depth=3
	v_mov_b32_e32 v15, 0
	s_mov_b32 s22, exec_lo
	v_cmpx_ne_u32_e32 0, v11
	s_cbranch_execz .LBB4_3229
; %bb.3224:                             ;   in Loop: Header=BB4_2910 Depth=3
	v_bfe_u32 v15, v11, 23, 8
	v_and_b32_e32 v26, 0x7fffff, v11
	v_sub_nc_u32_e32 v27, 0x70, v15
	v_cmp_gt_u32_e32 vcc_lo, 0x71, v15
	v_or_b32_e32 v95, 0x800000, v26
	v_cndmask_b32_e32 v27, 0, v27, vcc_lo
	v_cmp_eq_u32_e32 vcc_lo, 0, v15
	v_add_nc_u32_e32 v15, 0xffffff91, v15
	v_cndmask_b32_e64 v27, v27, 0x6f, vcc_lo
	v_cndmask_b32_e32 v26, v95, v26, vcc_lo
	v_cndmask_b32_e64 v15, v15, 0xffffff92, vcc_lo
	v_lshl_add_u32 v104, 0x200000, v27, -1
	v_lshrrev_b32_e32 v95, v27, v26
	v_lshlrev_b32_e64 v106, v27, 0x100000
	v_and_b32_e32 v26, v104, v26
	v_bfe_u32 v105, v95, 21, 1
	v_cmp_eq_u32_e64 s17, v26, v106
	v_add_nc_u32_e32 v104, -1, v105
	v_lshrrev_b32_e32 v105, 23, v95
	v_cndmask_b32_e64 v26, 0, v104, s17
	v_add_nc_u32_e32 v104, v27, v15
	v_xor_b32_e32 v105, 1, v105
	s_mov_b32 s17, exec_lo
	v_add_nc_u32_e32 v26, v26, v95
	v_and_b32_e32 v15, 0x1fffff, v26
	v_add_nc_u32_e32 v95, v15, v95
                                        ; implicit-def: $vgpr15
	v_cmpx_ne_u32_e64 v104, v105
	s_xor_b32 s17, exec_lo, s17
; %bb.3225:                             ;   in Loop: Header=BB4_2910 Depth=3
	v_cmp_lt_u32_e32 vcc_lo, 0xffffff, v95
	v_sub_nc_u32_e32 v15, v104, v105
	v_cndmask_b32_e64 v26, 0, 1, vcc_lo
	v_add_co_ci_u32_e64 v15, null, 0, v15, vcc_lo
	v_lshrrev_b32_e32 v95, v26, v95
; %bb.3226:                             ;   in Loop: Header=BB4_2910 Depth=3
	s_andn2_saveexec_b32 s17, s17
; %bb.3227:                             ;   in Loop: Header=BB4_2910 Depth=3
	v_bfe_u32 v15, v95, 23, 1
; %bb.3228:                             ;   in Loop: Header=BB4_2910 Depth=3
	s_or_b32 exec_lo, exec_lo, s17
	v_lshrrev_b32_e32 v26, 21, v95
	v_min_i32_e32 v27, 31, v15
	v_cmp_gt_i32_e32 vcc_lo, 32, v15
	v_and_b32_sdwa v11, v11, v116 dst_sel:DWORD dst_unused:UNUSED_PAD src0_sel:BYTE_3 src1_sel:DWORD
	v_lshlrev_b32_e32 v27, 2, v27
	v_cndmask_b32_e32 v26, 3, v26, vcc_lo
	v_and_b32_e32 v27, 0xfc, v27
	v_and_b32_e32 v95, 3, v26
	v_or_b32_e32 v15, v15, v26
	v_or3_b32 v11, v11, v27, v95
	v_cmp_ne_u32_e32 vcc_lo, 0, v15
	v_lshlrev_b32_e32 v11, 8, v11
	v_cndmask_b32_e32 v15, 0, v11, vcc_lo
.LBB4_3229:                             ;   in Loop: Header=BB4_2910 Depth=3
	s_or_b32 exec_lo, exec_lo, s22
.LBB4_3230:                             ;   in Loop: Header=BB4_2910 Depth=3
	s_or_b32 exec_lo, exec_lo, s18
	v_or_b32_sdwa v9, v9, v90 dst_sel:WORD_1 dst_unused:UNUSED_PAD src0_sel:DWORD src1_sel:DWORD
	v_or_b32_sdwa v8, v8, v88 dst_sel:WORD_1 dst_unused:UNUSED_PAD src0_sel:DWORD src1_sel:DWORD
	;; [unrolled: 1-line block ×4, first 2 shown]
	s_mov_b64 s[22:23], 0
	v_or3_b32 v9, v89, v12, v9
	v_or3_b32 v8, v99, v98, v8
	;; [unrolled: 1-line block ×4, first 2 shown]
	s_mov_b32 s74, -1
	.p2align	6
.LBB4_3231:                             ;   Parent Loop BB4_47 Depth=1
                                        ;     Parent Loop BB4_2055 Depth=2
                                        ;       Parent Loop BB4_2910 Depth=3
                                        ; =>      This Inner Loop Header: Depth=4
	s_cmp_eq_u32 s22, 1
	s_cselect_b32 vcc_lo, -1, 0
	s_cmp_eq_u32 s22, 0
	v_cndmask_b32_e32 v12, v86, v96, vcc_lo
	v_cndmask_b32_e32 v13, v87, v97, vcc_lo
	s_mov_b64 s[22:23], 1
	v_add_co_u32 v14, s17, 0x200, v12
	v_add_co_ci_u32_e64 v15, null, 0, v13, s17
	s_cselect_b32 s17, -1, 0
	v_cndmask_b32_e32 v96, v96, v14, vcc_lo
	v_cndmask_b32_e64 v86, v86, v14, s17
	v_cndmask_b32_e32 v97, v97, v15, vcc_lo
	v_cndmask_b32_e64 v87, v87, v15, s17
	s_and_b32 s18, exec_lo, s74
	s_mov_b32 s74, 0
	s_mov_b32 vcc_lo, s18
	global_store_dwordx4 v[12:13], v[8:11], off glc slc
	s_cbranch_vccnz .LBB4_3231
; %bb.3232:                             ;   in Loop: Header=BB4_2910 Depth=3
	v_add_co_u32 v16, vcc_lo, v16, v62
	v_sub_nc_u32_e32 v85, v85, v43
	v_add_co_ci_u32_e64 v17, null, v17, v63, vcc_lo
	v_add_co_u32 v18, vcc_lo, v18, v62
	v_add_co_ci_u32_e64 v19, null, v19, v63, vcc_lo
	v_add_co_u32 v86, vcc_lo, v86, v46
	v_add_co_ci_u32_e64 v87, null, v87, v57, vcc_lo
	v_cmp_gt_i32_e32 vcc_lo, 16, v85
	v_add_co_u32 v96, s17, v96, v46
	v_add_co_ci_u32_e64 v97, null, v97, v57, s17
	v_sub_nc_u32_e32 v84, v84, v103
	s_or_b32 s73, vcc_lo, s73
	s_andn2_b32 exec_lo, exec_lo, s73
	s_cbranch_execnz .LBB4_2910
	s_branch .LBB4_3297
.LBB4_3233:                             ;   in Loop: Header=BB4_2910 Depth=3
	s_or_saveexec_b32 s18, s18
	v_mov_b32_e32 v98, 0x7f800001
	s_xor_b32 exec_lo, exec_lo, s18
	s_cbranch_execz .LBB4_2914
.LBB4_3234:                             ;   in Loop: Header=BB4_2910 Depth=3
	v_cmp_ne_u16_sdwa s22, v12, v2 src0_sel:BYTE_0 src1_sel:DWORD
	v_mov_b32_e32 v98, 0
	s_andn2_b32 s17, s17, exec_lo
	s_and_b32 s22, s22, exec_lo
	s_or_b32 s17, s17, s22
	s_or_b32 exec_lo, exec_lo, s18
	s_and_saveexec_b32 s18, s17
	s_cbranch_execnz .LBB4_2915
	s_branch .LBB4_2916
.LBB4_3235:                             ;   in Loop: Header=BB4_2910 Depth=3
	s_or_saveexec_b32 s18, s18
	v_mov_b32_e32 v99, 0x7f800001
	s_xor_b32 exec_lo, exec_lo, s18
	s_cbranch_execz .LBB4_2920
.LBB4_3236:                             ;   in Loop: Header=BB4_2910 Depth=3
	v_cmp_ne_u16_sdwa s22, v8, v2 src0_sel:BYTE_0 src1_sel:DWORD
	v_mov_b32_e32 v99, 0
	s_andn2_b32 s17, s17, exec_lo
	s_and_b32 s22, s22, exec_lo
	s_or_b32 s17, s17, s22
	s_or_b32 exec_lo, exec_lo, s18
	s_and_saveexec_b32 s18, s17
	s_cbranch_execnz .LBB4_2921
	s_branch .LBB4_2922
.LBB4_3237:                             ;   in Loop: Header=BB4_2910 Depth=3
	s_or_saveexec_b32 s18, s18
	v_mov_b32_e32 v99, 0x7f800001
	s_xor_b32 exec_lo, exec_lo, s18
	s_cbranch_execz .LBB4_2934
.LBB4_3238:                             ;   in Loop: Header=BB4_2910 Depth=3
	v_cmp_ne_u16_sdwa s22, v12, v2 src0_sel:BYTE_1 src1_sel:DWORD
	v_mov_b32_e32 v99, 0
	s_andn2_b32 s17, s17, exec_lo
	s_and_b32 s22, s22, exec_lo
	s_or_b32 s17, s17, s22
	s_or_b32 exec_lo, exec_lo, s18
	s_and_saveexec_b32 s18, s17
	s_cbranch_execnz .LBB4_2935
	s_branch .LBB4_2936
.LBB4_3239:                             ;   in Loop: Header=BB4_2910 Depth=3
	s_or_saveexec_b32 s18, s18
	v_mov_b32_e32 v88, 0x7f800001
	s_xor_b32 exec_lo, exec_lo, s18
	s_cbranch_execz .LBB4_2940
.LBB4_3240:                             ;   in Loop: Header=BB4_2910 Depth=3
	v_cmp_ne_u16_sdwa s22, v8, v2 src0_sel:BYTE_1 src1_sel:DWORD
	v_mov_b32_e32 v88, 0
	s_andn2_b32 s17, s17, exec_lo
	s_and_b32 s22, s22, exec_lo
	s_or_b32 s17, s17, s22
	s_or_b32 exec_lo, exec_lo, s18
	s_and_saveexec_b32 s18, s17
	s_cbranch_execnz .LBB4_2941
	s_branch .LBB4_2942
.LBB4_3241:                             ;   in Loop: Header=BB4_2910 Depth=3
	s_or_saveexec_b32 s18, s18
	v_mov_b32_e32 v88, 0x7f800001
	s_xor_b32 exec_lo, exec_lo, s18
	s_cbranch_execz .LBB4_2954
.LBB4_3242:                             ;   in Loop: Header=BB4_2910 Depth=3
	v_cmp_ne_u16_e32 vcc_lo, 0, v89
	v_mov_b32_e32 v88, 0
	s_andn2_b32 s17, s17, exec_lo
	s_and_b32 s22, vcc_lo, exec_lo
	s_or_b32 s17, s17, s22
	s_or_b32 exec_lo, exec_lo, s18
	s_and_saveexec_b32 s18, s17
	s_cbranch_execnz .LBB4_2955
	s_branch .LBB4_2956
.LBB4_3243:                             ;   in Loop: Header=BB4_2910 Depth=3
	s_or_saveexec_b32 s18, s18
	v_mov_b32_e32 v89, 0x7f800001
	s_xor_b32 exec_lo, exec_lo, s18
	s_cbranch_execz .LBB4_2960
.LBB4_3244:                             ;   in Loop: Header=BB4_2910 Depth=3
	v_cmp_ne_u16_e32 vcc_lo, 0, v90
	v_mov_b32_e32 v89, 0
	s_andn2_b32 s17, s17, exec_lo
	s_and_b32 s22, vcc_lo, exec_lo
	s_or_b32 s17, s17, s22
	s_or_b32 exec_lo, exec_lo, s18
	s_and_saveexec_b32 s18, s17
	s_cbranch_execnz .LBB4_2961
	s_branch .LBB4_2962
.LBB4_3245:                             ;   in Loop: Header=BB4_2910 Depth=3
	s_or_saveexec_b32 s18, s18
	v_mov_b32_e32 v89, 0x7f800001
	s_xor_b32 exec_lo, exec_lo, s18
	s_cbranch_execz .LBB4_2974
.LBB4_3246:                             ;   in Loop: Header=BB4_2910 Depth=3
	v_cmp_ne_u16_sdwa s22, v12, v2 src0_sel:BYTE_3 src1_sel:DWORD
	v_mov_b32_e32 v89, 0
	s_andn2_b32 s17, s17, exec_lo
	s_and_b32 s22, s22, exec_lo
	s_or_b32 s17, s17, s22
	s_or_b32 exec_lo, exec_lo, s18
	s_and_saveexec_b32 s18, s17
	s_cbranch_execnz .LBB4_2975
	s_branch .LBB4_2976
.LBB4_3247:                             ;   in Loop: Header=BB4_2910 Depth=3
	s_or_saveexec_b32 s18, s18
	v_mov_b32_e32 v12, 0x7f800001
	s_xor_b32 exec_lo, exec_lo, s18
	s_cbranch_execz .LBB4_2980
.LBB4_3248:                             ;   in Loop: Header=BB4_2910 Depth=3
	v_cmp_ne_u16_sdwa s22, v8, v2 src0_sel:BYTE_3 src1_sel:DWORD
	v_mov_b32_e32 v12, 0
	s_andn2_b32 s17, s17, exec_lo
	s_and_b32 s22, s22, exec_lo
	s_or_b32 s17, s17, s22
	s_or_b32 exec_lo, exec_lo, s18
	s_and_saveexec_b32 s18, s17
	s_cbranch_execnz .LBB4_2981
	s_branch .LBB4_2982
.LBB4_3249:                             ;   in Loop: Header=BB4_2910 Depth=3
	s_or_saveexec_b32 s18, s18
	v_mov_b32_e32 v12, 0x7f800001
	s_xor_b32 exec_lo, exec_lo, s18
	s_cbranch_execz .LBB4_2994
.LBB4_3250:                             ;   in Loop: Header=BB4_2910 Depth=3
	v_cmp_ne_u16_sdwa s22, v13, v2 src0_sel:BYTE_0 src1_sel:DWORD
	v_mov_b32_e32 v12, 0
	s_andn2_b32 s17, s17, exec_lo
	s_and_b32 s22, s22, exec_lo
	s_or_b32 s17, s17, s22
	s_or_b32 exec_lo, exec_lo, s18
	s_and_saveexec_b32 s18, s17
	s_cbranch_execnz .LBB4_2995
	s_branch .LBB4_2996
.LBB4_3251:                             ;   in Loop: Header=BB4_2910 Depth=3
	s_or_saveexec_b32 s18, s18
	v_mov_b32_e32 v89, 0x7f800001
	s_xor_b32 exec_lo, exec_lo, s18
	s_cbranch_execz .LBB4_3000
.LBB4_3252:                             ;   in Loop: Header=BB4_2910 Depth=3
	v_cmp_ne_u16_sdwa s22, v9, v2 src0_sel:BYTE_0 src1_sel:DWORD
	v_mov_b32_e32 v89, 0
	s_andn2_b32 s17, s17, exec_lo
	s_and_b32 s22, s22, exec_lo
	s_or_b32 s17, s17, s22
	s_or_b32 exec_lo, exec_lo, s18
	s_and_saveexec_b32 s18, s17
	s_cbranch_execnz .LBB4_3001
	s_branch .LBB4_3002
.LBB4_3253:                             ;   in Loop: Header=BB4_2910 Depth=3
	s_or_saveexec_b32 s18, s18
	v_mov_b32_e32 v89, 0x7f800001
	s_xor_b32 exec_lo, exec_lo, s18
	s_cbranch_execz .LBB4_3014
.LBB4_3254:                             ;   in Loop: Header=BB4_2910 Depth=3
	v_cmp_ne_u16_sdwa s22, v13, v2 src0_sel:BYTE_1 src1_sel:DWORD
	v_mov_b32_e32 v89, 0
	s_andn2_b32 s17, s17, exec_lo
	s_and_b32 s22, s22, exec_lo
	s_or_b32 s17, s17, s22
	s_or_b32 exec_lo, exec_lo, s18
	s_and_saveexec_b32 s18, s17
	s_cbranch_execnz .LBB4_3015
	s_branch .LBB4_3016
.LBB4_3255:                             ;   in Loop: Header=BB4_2910 Depth=3
	s_or_saveexec_b32 s18, s18
	v_mov_b32_e32 v90, 0x7f800001
	s_xor_b32 exec_lo, exec_lo, s18
	s_cbranch_execz .LBB4_3020
.LBB4_3256:                             ;   in Loop: Header=BB4_2910 Depth=3
	v_cmp_ne_u16_sdwa s22, v9, v2 src0_sel:BYTE_1 src1_sel:DWORD
	v_mov_b32_e32 v90, 0
	s_andn2_b32 s17, s17, exec_lo
	s_and_b32 s22, s22, exec_lo
	s_or_b32 s17, s17, s22
	s_or_b32 exec_lo, exec_lo, s18
	s_and_saveexec_b32 s18, s17
	s_cbranch_execnz .LBB4_3021
	s_branch .LBB4_3022
.LBB4_3257:                             ;   in Loop: Header=BB4_2910 Depth=3
	s_or_saveexec_b32 s18, s18
	v_mov_b32_e32 v90, 0x7f800001
	s_xor_b32 exec_lo, exec_lo, s18
	s_cbranch_execz .LBB4_3034
.LBB4_3258:                             ;   in Loop: Header=BB4_2910 Depth=3
	v_cmp_ne_u16_e32 vcc_lo, 0, v91
	v_mov_b32_e32 v90, 0
	s_andn2_b32 s17, s17, exec_lo
	s_and_b32 s22, vcc_lo, exec_lo
	s_or_b32 s17, s17, s22
	s_or_b32 exec_lo, exec_lo, s18
	s_and_saveexec_b32 s18, s17
	s_cbranch_execnz .LBB4_3035
	s_branch .LBB4_3036
.LBB4_3259:                             ;   in Loop: Header=BB4_2910 Depth=3
	s_or_saveexec_b32 s18, s18
	v_mov_b32_e32 v91, 0x7f800001
	s_xor_b32 exec_lo, exec_lo, s18
	s_cbranch_execz .LBB4_3040
.LBB4_3260:                             ;   in Loop: Header=BB4_2910 Depth=3
	v_cmp_ne_u16_e32 vcc_lo, 0, v92
	v_mov_b32_e32 v91, 0
	s_andn2_b32 s17, s17, exec_lo
	s_and_b32 s22, vcc_lo, exec_lo
	s_or_b32 s17, s17, s22
	s_or_b32 exec_lo, exec_lo, s18
	s_and_saveexec_b32 s18, s17
	s_cbranch_execnz .LBB4_3041
	s_branch .LBB4_3042
.LBB4_3261:                             ;   in Loop: Header=BB4_2910 Depth=3
	s_or_saveexec_b32 s18, s18
	v_mov_b32_e32 v91, 0x7f800001
	s_xor_b32 exec_lo, exec_lo, s18
	s_cbranch_execz .LBB4_3054
.LBB4_3262:                             ;   in Loop: Header=BB4_2910 Depth=3
	v_cmp_ne_u16_sdwa s22, v13, v2 src0_sel:BYTE_3 src1_sel:DWORD
	v_mov_b32_e32 v91, 0
	s_andn2_b32 s17, s17, exec_lo
	s_and_b32 s22, s22, exec_lo
	s_or_b32 s17, s17, s22
	s_or_b32 exec_lo, exec_lo, s18
	s_and_saveexec_b32 s18, s17
	s_cbranch_execnz .LBB4_3055
	s_branch .LBB4_3056
.LBB4_3263:                             ;   in Loop: Header=BB4_2910 Depth=3
	s_or_saveexec_b32 s18, s18
	v_mov_b32_e32 v13, 0x7f800001
	s_xor_b32 exec_lo, exec_lo, s18
	s_cbranch_execz .LBB4_3060
.LBB4_3264:                             ;   in Loop: Header=BB4_2910 Depth=3
	v_cmp_ne_u16_sdwa s22, v9, v2 src0_sel:BYTE_3 src1_sel:DWORD
	v_mov_b32_e32 v13, 0
	s_andn2_b32 s17, s17, exec_lo
	s_and_b32 s22, s22, exec_lo
	s_or_b32 s17, s17, s22
	s_or_b32 exec_lo, exec_lo, s18
	s_and_saveexec_b32 s18, s17
	s_cbranch_execnz .LBB4_3061
	s_branch .LBB4_3062
.LBB4_3265:                             ;   in Loop: Header=BB4_2910 Depth=3
	s_or_saveexec_b32 s18, s18
	v_mov_b32_e32 v13, 0x7f800001
	s_xor_b32 exec_lo, exec_lo, s18
	s_cbranch_execz .LBB4_3074
.LBB4_3266:                             ;   in Loop: Header=BB4_2910 Depth=3
	v_cmp_ne_u16_sdwa s22, v14, v2 src0_sel:BYTE_0 src1_sel:DWORD
	v_mov_b32_e32 v13, 0
	s_andn2_b32 s17, s17, exec_lo
	s_and_b32 s22, s22, exec_lo
	s_or_b32 s17, s17, s22
	s_or_b32 exec_lo, exec_lo, s18
	s_and_saveexec_b32 s18, s17
	s_cbranch_execnz .LBB4_3075
	s_branch .LBB4_3076
.LBB4_3267:                             ;   in Loop: Header=BB4_2910 Depth=3
	s_or_saveexec_b32 s18, s18
	v_mov_b32_e32 v91, 0x7f800001
	s_xor_b32 exec_lo, exec_lo, s18
	s_cbranch_execz .LBB4_3080
.LBB4_3268:                             ;   in Loop: Header=BB4_2910 Depth=3
	v_cmp_ne_u16_sdwa s22, v10, v2 src0_sel:BYTE_0 src1_sel:DWORD
	v_mov_b32_e32 v91, 0
	s_andn2_b32 s17, s17, exec_lo
	s_and_b32 s22, s22, exec_lo
	s_or_b32 s17, s17, s22
	s_or_b32 exec_lo, exec_lo, s18
	s_and_saveexec_b32 s18, s17
	s_cbranch_execnz .LBB4_3081
	s_branch .LBB4_3082
.LBB4_3269:                             ;   in Loop: Header=BB4_2910 Depth=3
	s_or_saveexec_b32 s18, s18
	v_mov_b32_e32 v91, 0x7f800001
	s_xor_b32 exec_lo, exec_lo, s18
	s_cbranch_execz .LBB4_3094
.LBB4_3270:                             ;   in Loop: Header=BB4_2910 Depth=3
	v_cmp_ne_u16_sdwa s22, v14, v2 src0_sel:BYTE_1 src1_sel:DWORD
	v_mov_b32_e32 v91, 0
	s_andn2_b32 s17, s17, exec_lo
	s_and_b32 s22, s22, exec_lo
	s_or_b32 s17, s17, s22
	s_or_b32 exec_lo, exec_lo, s18
	s_and_saveexec_b32 s18, s17
	s_cbranch_execnz .LBB4_3095
	s_branch .LBB4_3096
.LBB4_3271:                             ;   in Loop: Header=BB4_2910 Depth=3
	s_or_saveexec_b32 s18, s18
	v_mov_b32_e32 v92, 0x7f800001
	s_xor_b32 exec_lo, exec_lo, s18
	s_cbranch_execz .LBB4_3100
.LBB4_3272:                             ;   in Loop: Header=BB4_2910 Depth=3
	v_cmp_ne_u16_sdwa s22, v10, v2 src0_sel:BYTE_1 src1_sel:DWORD
	v_mov_b32_e32 v92, 0
	s_andn2_b32 s17, s17, exec_lo
	s_and_b32 s22, s22, exec_lo
	s_or_b32 s17, s17, s22
	s_or_b32 exec_lo, exec_lo, s18
	s_and_saveexec_b32 s18, s17
	s_cbranch_execnz .LBB4_3101
	s_branch .LBB4_3102
.LBB4_3273:                             ;   in Loop: Header=BB4_2910 Depth=3
	s_or_saveexec_b32 s18, s18
	v_mov_b32_e32 v92, 0x7f800001
	s_xor_b32 exec_lo, exec_lo, s18
	s_cbranch_execz .LBB4_3114
.LBB4_3274:                             ;   in Loop: Header=BB4_2910 Depth=3
	v_cmp_ne_u16_e32 vcc_lo, 0, v93
	v_mov_b32_e32 v92, 0
	s_andn2_b32 s17, s17, exec_lo
	s_and_b32 s22, vcc_lo, exec_lo
	s_or_b32 s17, s17, s22
	s_or_b32 exec_lo, exec_lo, s18
	s_and_saveexec_b32 s18, s17
	s_cbranch_execnz .LBB4_3115
	s_branch .LBB4_3116
.LBB4_3275:                             ;   in Loop: Header=BB4_2910 Depth=3
	s_or_saveexec_b32 s18, s18
	v_mov_b32_e32 v93, 0x7f800001
	s_xor_b32 exec_lo, exec_lo, s18
	s_cbranch_execz .LBB4_3120
.LBB4_3276:                             ;   in Loop: Header=BB4_2910 Depth=3
	v_cmp_ne_u16_e32 vcc_lo, 0, v94
	v_mov_b32_e32 v93, 0
	s_andn2_b32 s17, s17, exec_lo
	s_and_b32 s22, vcc_lo, exec_lo
	s_or_b32 s17, s17, s22
	s_or_b32 exec_lo, exec_lo, s18
	s_and_saveexec_b32 s18, s17
	s_cbranch_execnz .LBB4_3121
	s_branch .LBB4_3122
.LBB4_3277:                             ;   in Loop: Header=BB4_2910 Depth=3
	s_or_saveexec_b32 s18, s18
	v_mov_b32_e32 v93, 0x7f800001
	s_xor_b32 exec_lo, exec_lo, s18
	s_cbranch_execz .LBB4_3134
.LBB4_3278:                             ;   in Loop: Header=BB4_2910 Depth=3
	v_cmp_ne_u16_sdwa s22, v14, v2 src0_sel:BYTE_3 src1_sel:DWORD
	v_mov_b32_e32 v93, 0
	s_andn2_b32 s17, s17, exec_lo
	s_and_b32 s22, s22, exec_lo
	s_or_b32 s17, s17, s22
	s_or_b32 exec_lo, exec_lo, s18
	s_and_saveexec_b32 s18, s17
	s_cbranch_execnz .LBB4_3135
	s_branch .LBB4_3136
.LBB4_3279:                             ;   in Loop: Header=BB4_2910 Depth=3
	s_or_saveexec_b32 s18, s18
	v_mov_b32_e32 v14, 0x7f800001
	s_xor_b32 exec_lo, exec_lo, s18
	s_cbranch_execz .LBB4_3140
.LBB4_3280:                             ;   in Loop: Header=BB4_2910 Depth=3
	v_cmp_ne_u16_sdwa s22, v10, v2 src0_sel:BYTE_3 src1_sel:DWORD
	v_mov_b32_e32 v14, 0
	s_andn2_b32 s17, s17, exec_lo
	s_and_b32 s22, s22, exec_lo
	s_or_b32 s17, s17, s22
	s_or_b32 exec_lo, exec_lo, s18
	s_and_saveexec_b32 s18, s17
	s_cbranch_execnz .LBB4_3141
	s_branch .LBB4_3142
.LBB4_3281:                             ;   in Loop: Header=BB4_2910 Depth=3
	s_or_saveexec_b32 s18, s18
	v_mov_b32_e32 v14, 0x7f800001
	s_xor_b32 exec_lo, exec_lo, s18
	s_cbranch_execz .LBB4_3154
.LBB4_3282:                             ;   in Loop: Header=BB4_2910 Depth=3
	v_cmp_ne_u16_sdwa s22, v15, v2 src0_sel:BYTE_0 src1_sel:DWORD
	v_mov_b32_e32 v14, 0
	s_andn2_b32 s17, s17, exec_lo
	s_and_b32 s22, s22, exec_lo
	s_or_b32 s17, s17, s22
	s_or_b32 exec_lo, exec_lo, s18
	s_and_saveexec_b32 s18, s17
	s_cbranch_execnz .LBB4_3155
	s_branch .LBB4_3156
.LBB4_3283:                             ;   in Loop: Header=BB4_2910 Depth=3
	s_or_saveexec_b32 s18, s18
	v_mov_b32_e32 v93, 0x7f800001
	s_xor_b32 exec_lo, exec_lo, s18
	s_cbranch_execz .LBB4_3160
.LBB4_3284:                             ;   in Loop: Header=BB4_2910 Depth=3
	v_cmp_ne_u16_sdwa s22, v11, v2 src0_sel:BYTE_0 src1_sel:DWORD
	v_mov_b32_e32 v93, 0
	s_andn2_b32 s17, s17, exec_lo
	s_and_b32 s22, s22, exec_lo
	s_or_b32 s17, s17, s22
	s_or_b32 exec_lo, exec_lo, s18
	s_and_saveexec_b32 s18, s17
	s_cbranch_execnz .LBB4_3161
	s_branch .LBB4_3162
.LBB4_3285:                             ;   in Loop: Header=BB4_2910 Depth=3
	s_or_saveexec_b32 s18, s18
	v_mov_b32_e32 v93, 0x7f800001
	s_xor_b32 exec_lo, exec_lo, s18
	s_cbranch_execz .LBB4_3174
.LBB4_3286:                             ;   in Loop: Header=BB4_2910 Depth=3
	v_cmp_ne_u16_sdwa s22, v15, v2 src0_sel:BYTE_1 src1_sel:DWORD
	v_mov_b32_e32 v93, 0
	s_andn2_b32 s17, s17, exec_lo
	s_and_b32 s22, s22, exec_lo
	s_or_b32 s17, s17, s22
	s_or_b32 exec_lo, exec_lo, s18
	s_and_saveexec_b32 s18, s17
	s_cbranch_execnz .LBB4_3175
	s_branch .LBB4_3176
.LBB4_3287:                             ;   in Loop: Header=BB4_2910 Depth=3
	s_or_saveexec_b32 s18, s18
	v_mov_b32_e32 v94, 0x7f800001
	s_xor_b32 exec_lo, exec_lo, s18
	s_cbranch_execz .LBB4_3180
.LBB4_3288:                             ;   in Loop: Header=BB4_2910 Depth=3
	v_cmp_ne_u16_sdwa s22, v11, v2 src0_sel:BYTE_1 src1_sel:DWORD
	v_mov_b32_e32 v94, 0
	s_andn2_b32 s17, s17, exec_lo
	s_and_b32 s22, s22, exec_lo
	s_or_b32 s17, s17, s22
	s_or_b32 exec_lo, exec_lo, s18
	s_and_saveexec_b32 s18, s17
	s_cbranch_execnz .LBB4_3181
	s_branch .LBB4_3182
.LBB4_3289:                             ;   in Loop: Header=BB4_2910 Depth=3
	s_or_saveexec_b32 s18, s18
	v_mov_b32_e32 v94, 0x7f800001
	s_xor_b32 exec_lo, exec_lo, s18
	s_cbranch_execz .LBB4_3194
.LBB4_3290:                             ;   in Loop: Header=BB4_2910 Depth=3
	v_cmp_ne_u16_e32 vcc_lo, 0, v95
	v_mov_b32_e32 v94, 0
	s_andn2_b32 s17, s17, exec_lo
	s_and_b32 s22, vcc_lo, exec_lo
	s_or_b32 s17, s17, s22
	s_or_b32 exec_lo, exec_lo, s18
	s_and_saveexec_b32 s18, s17
	s_cbranch_execnz .LBB4_3195
	s_branch .LBB4_3196
.LBB4_3291:                             ;   in Loop: Header=BB4_2910 Depth=3
	s_or_saveexec_b32 s18, s18
	v_mov_b32_e32 v95, 0x7f800001
	s_xor_b32 exec_lo, exec_lo, s18
	s_cbranch_execz .LBB4_3200
.LBB4_3292:                             ;   in Loop: Header=BB4_2910 Depth=3
	v_cmp_ne_u16_e32 vcc_lo, 0, v104
	v_mov_b32_e32 v95, 0
	s_andn2_b32 s17, s17, exec_lo
	s_and_b32 s22, vcc_lo, exec_lo
	s_or_b32 s17, s17, s22
	s_or_b32 exec_lo, exec_lo, s18
	s_and_saveexec_b32 s18, s17
	s_cbranch_execnz .LBB4_3201
	s_branch .LBB4_3202
.LBB4_3293:                             ;   in Loop: Header=BB4_2910 Depth=3
	s_or_saveexec_b32 s18, s18
	v_mov_b32_e32 v95, 0x7f800001
	s_xor_b32 exec_lo, exec_lo, s18
	s_cbranch_execz .LBB4_3214
.LBB4_3294:                             ;   in Loop: Header=BB4_2910 Depth=3
	v_cmp_ne_u16_sdwa s22, v15, v2 src0_sel:BYTE_3 src1_sel:DWORD
	v_mov_b32_e32 v95, 0
	s_andn2_b32 s17, s17, exec_lo
	s_and_b32 s22, s22, exec_lo
	s_or_b32 s17, s17, s22
	s_or_b32 exec_lo, exec_lo, s18
	s_and_saveexec_b32 s18, s17
	s_cbranch_execnz .LBB4_3215
	s_branch .LBB4_3216
.LBB4_3295:                             ;   in Loop: Header=BB4_2910 Depth=3
	s_or_saveexec_b32 s18, s18
	v_mov_b32_e32 v15, 0x7f800001
	s_xor_b32 exec_lo, exec_lo, s18
	s_cbranch_execz .LBB4_3220
.LBB4_3296:                             ;   in Loop: Header=BB4_2910 Depth=3
	v_cmp_ne_u16_sdwa s22, v11, v2 src0_sel:BYTE_3 src1_sel:DWORD
	v_mov_b32_e32 v15, 0
	s_andn2_b32 s17, s17, exec_lo
	s_and_b32 s22, s22, exec_lo
	s_or_b32 s17, s17, s22
	s_or_b32 exec_lo, exec_lo, s18
	s_and_saveexec_b32 s18, s17
	s_cbranch_execnz .LBB4_3221
	s_branch .LBB4_3222
.LBB4_3297:                             ;   in Loop: Header=BB4_2055 Depth=2
	s_or_b32 exec_lo, exec_lo, s73
.LBB4_3298:                             ;   in Loop: Header=BB4_2055 Depth=2
	s_or_b32 exec_lo, exec_lo, s72
	v_and_b32_e32 v9, 15, v79
	v_mov_b32_e32 v16, 0
	s_mov_b32 s17, 0
	s_mov_b32 s18, exec_lo
                                        ; implicit-def: $vgpr18
                                        ; implicit-def: $vgpr8
	v_cndmask_b32_e64 v17, v23, v9, s16
	v_cmpx_ne_u32_e32 0, v17
	s_cbranch_execz .LBB4_3300
; %bb.3299:                             ;   in Loop: Header=BB4_2055 Depth=2
	v_cmp_lt_i32_e32 vcc_lo, 0, v84
	v_sub_nc_u32_e32 v9, v23, v9
	s_mov_b32 s17, exec_lo
	v_cndmask_b32_e32 v8, 0, v103, vcc_lo
	v_cndmask_b32_e64 v9, 0, v9, s16
	v_sub_nc_u32_e32 v8, v8, v84
	v_add3_u32 v16, v21, v20, v9
	v_lshl_add_u32 v18, v8, 5, v22
	v_ashrrev_i32_e32 v8, 31, v18
	v_lshrrev_b32_e32 v8, 27, v8
	v_add_nc_u32_e32 v8, v18, v8
	v_ashrrev_i32_e32 v8, 5, v8
.LBB4_3300:                             ;   in Loop: Header=BB4_2055 Depth=2
	s_or_b32 exec_lo, exec_lo, s18
	s_and_b32 s16, s17, exec_lo
.LBB4_3301:                             ;   in Loop: Header=BB4_2055 Depth=2
	s_or_b32 exec_lo, exec_lo, s19
	s_and_saveexec_b32 s22, s16
	s_cbranch_execz .LBB4_3720
.LBB4_3302:                             ;   in Loop: Header=BB4_2055 Depth=2
	v_ashrrev_i32_e32 v9, 31, v17
	s_mov_b32 s17, exec_lo
	v_lshrrev_b32_e32 v9, 23, v9
	v_add_nc_u32_e32 v9, v17, v9
	v_ashrrev_i32_e32 v21, 9, v9
	v_ashrrev_i32_e32 v9, 31, v18
	v_sub_nc_u32_e32 v19, v21, v8
	v_lshrrev_b32_e32 v20, 27, v9
	v_cmpx_lt_i32_e32 0, v19
	s_cbranch_execz .LBB4_3690
; %bb.3303:                             ;   in Loop: Header=BB4_2055 Depth=2
	v_add_nc_u32_e32 v9, v18, v20
	s_trap 2
	ds_read_b64 v[14:15], v0
	v_lshlrev_b32_e32 v8, 9, v8
	s_mov_b32 s18, 0
	v_and_b32_e32 v9, 0xffffffe0, v9
	v_sub_nc_u32_e32 v9, v18, v9
	v_add3_u32 v22, v16, v9, v8
	v_ashrrev_i32_e32 v23, 31, v22
	v_add_co_u32 v8, vcc_lo, v22, v80
	v_add_co_ci_u32_e64 v9, null, v23, v81, vcc_lo
	v_add_co_u32 v10, vcc_lo, v22, v82
	v_add_co_ci_u32_e64 v11, null, v23, v83, vcc_lo
	;; [unrolled: 2-line block ×3, first 2 shown]
	s_waitcnt lgkmcnt(0)
	v_add_co_u32 v14, vcc_lo, v14, v22
	v_add_co_ci_u32_e64 v15, null, v15, v23, vcc_lo
	s_branch .LBB4_3307
.LBB4_3304:                             ;   in Loop: Header=BB4_3307 Depth=3
	s_or_b32 exec_lo, exec_lo, s16
	v_lshrrev_b32_e32 v26, 21, v84
	v_cmp_gt_i32_e32 vcc_lo, 32, v23
	v_min_i32_e32 v27, 31, v23
	v_and_b32_sdwa v22, v22, v116 dst_sel:DWORD dst_unused:UNUSED_PAD src0_sel:BYTE_3 src1_sel:DWORD
	v_cndmask_b32_e32 v26, 3, v26, vcc_lo
	v_lshlrev_b32_e32 v27, 2, v27
	v_and_b32_e32 v84, 3, v26
	v_or_b32_e32 v23, v23, v26
	v_or3_b32 v22, v27, v22, v84
	v_cmp_ne_u32_e32 vcc_lo, 0, v23
	v_cndmask_b32_e32 v23, 0, v22, vcc_lo
.LBB4_3305:                             ;   in Loop: Header=BB4_3307 Depth=3
	s_or_b32 exec_lo, exec_lo, s23
.LBB4_3306:                             ;   in Loop: Header=BB4_3307 Depth=3
	s_or_b32 exec_lo, exec_lo, s19
	v_add_co_u32 v12, vcc_lo, v12, v43
	v_sub_nc_u32_e32 v19, v19, v103
	v_add_co_ci_u32_e64 v13, null, 0, v13, vcc_lo
	v_add_co_u32 v14, vcc_lo, v14, v43
	flat_store_byte v[8:9], v82 glc slc
	flat_store_byte v[8:9], v85 offset:32 glc slc
	flat_store_byte v[8:9], v97 offset:64 glc slc
	;; [unrolled: 1-line block ×15, first 2 shown]
	flat_store_byte v[10:11], v82 glc slc
	flat_store_byte v[10:11], v85 offset:32 glc slc
	flat_store_byte v[10:11], v97 offset:64 glc slc
	;; [unrolled: 1-line block ×15, first 2 shown]
	v_add_co_ci_u32_e64 v15, null, 0, v15, vcc_lo
	v_add_co_u32 v8, vcc_lo, v8, v43
	v_add_co_ci_u32_e64 v9, null, 0, v9, vcc_lo
	v_cmp_gt_i32_e32 vcc_lo, 1, v19
	v_add_co_u32 v10, s16, v10, v43
	v_add_co_ci_u32_e64 v11, null, 0, v11, s16
	s_or_b32 s18, vcc_lo, s18
	s_andn2_b32 exec_lo, exec_lo, s18
	s_cbranch_execz .LBB4_3689
.LBB4_3307:                             ;   Parent Loop BB4_47 Depth=1
                                        ;     Parent Loop BB4_2055 Depth=2
                                        ; =>    This Inner Loop Header: Depth=3
	s_clause 0xf
	flat_load_ubyte v124, v[12:13] slc
	flat_load_ubyte v122, v[12:13] offset:32 slc
	flat_load_ubyte v121, v[12:13] offset:64 slc
	;; [unrolled: 1-line block ×15, first 2 shown]
	s_clause 0xf
	flat_load_ubyte v82, v[14:15] slc
	flat_load_ubyte v85, v[14:15] offset:32 slc
	flat_load_ubyte v97, v[14:15] offset:64 slc
	;; [unrolled: 1-line block ×15, first 2 shown]
	s_mov_b32 s19, 0
	s_mov_b32 s16, exec_lo
	s_waitcnt vmcnt(31) lgkmcnt(31)
	v_cmpx_lt_i16_e32 0x7f, v124
	s_xor_b32 s16, exec_lo, s16
	s_cbranch_execz .LBB4_3625
; %bb.3308:                             ;   in Loop: Header=BB4_3307 Depth=3
	s_mov_b32 s19, -1
	s_mov_b32 s23, exec_lo
	v_cmpx_eq_u16_e32 0x80, v124
; %bb.3309:                             ;   in Loop: Header=BB4_3307 Depth=3
	s_xor_b32 s19, exec_lo, -1
; %bb.3310:                             ;   in Loop: Header=BB4_3307 Depth=3
	s_or_b32 exec_lo, exec_lo, s23
	s_and_b32 s19, s19, exec_lo
	s_or_saveexec_b32 s16, s16
	v_mov_b32_e32 v123, 0x7f800001
	s_xor_b32 exec_lo, exec_lo, s16
	s_cbranch_execnz .LBB4_3626
.LBB4_3311:                             ;   in Loop: Header=BB4_3307 Depth=3
	s_or_b32 exec_lo, exec_lo, s16
	s_and_saveexec_b32 s16, s19
	s_cbranch_execz .LBB4_3313
.LBB4_3312:                             ;   in Loop: Header=BB4_3307 Depth=3
	v_and_b32_e32 v26, 0xffff, v124
	v_lshlrev_b32_e32 v124, 24, v124
	v_and_b32_e32 v27, 3, v26
	v_bfe_u32 v126, v26, 2, 5
	v_ffbh_u32_e32 v123, v27
	v_cmp_eq_u32_e32 vcc_lo, 0, v126
	v_min_u32_e32 v123, 32, v123
	v_subrev_nc_u32_e32 v125, 29, v123
	v_sub_nc_u32_e32 v123, 30, v123
	v_lshlrev_b32_e32 v26, v125, v26
	v_cndmask_b32_e32 v123, v126, v123, vcc_lo
	v_and_b32_e32 v26, 3, v26
	v_lshl_add_u32 v123, v123, 23, 0x37800000
	v_cndmask_b32_e32 v26, v27, v26, vcc_lo
	v_and_b32_e32 v27, 0x80000000, v124
	v_lshlrev_b32_e32 v26, 21, v26
	v_or3_b32 v123, v27, v123, v26
.LBB4_3313:                             ;   in Loop: Header=BB4_3307 Depth=3
	s_or_b32 exec_lo, exec_lo, s16
	s_waitcnt vmcnt(15) lgkmcnt(15)
	v_cmp_gt_i16_sdwa s16, v82, v115 src0_sel:BYTE_0 src1_sel:DWORD
	s_mov_b32 s19, 0
	s_and_saveexec_b32 s23, s16
	s_xor_b32 s16, exec_lo, s23
	s_cbranch_execz .LBB4_3627
; %bb.3314:                             ;   in Loop: Header=BB4_3307 Depth=3
	v_cmp_eq_u16_sdwa s72, v82, v116 src0_sel:BYTE_0 src1_sel:DWORD
	s_mov_b32 s19, -1
	s_and_saveexec_b32 s23, s72
; %bb.3315:                             ;   in Loop: Header=BB4_3307 Depth=3
	s_xor_b32 s19, exec_lo, -1
; %bb.3316:                             ;   in Loop: Header=BB4_3307 Depth=3
	s_or_b32 exec_lo, exec_lo, s23
	s_and_b32 s19, s19, exec_lo
	s_or_saveexec_b32 s16, s16
	v_mov_b32_e32 v124, 0x7f800001
	s_xor_b32 exec_lo, exec_lo, s16
	s_cbranch_execnz .LBB4_3628
.LBB4_3317:                             ;   in Loop: Header=BB4_3307 Depth=3
	s_or_b32 exec_lo, exec_lo, s16
	s_and_saveexec_b32 s16, s19
	s_cbranch_execz .LBB4_3319
.LBB4_3318:                             ;   in Loop: Header=BB4_3307 Depth=3
	v_and_b32_e32 v26, 3, v82
	v_lshrrev_b16 v124, 2, v82
	v_ffbh_u32_e32 v27, v26
	v_and_b32_e32 v124, 31, v124
	v_min_u32_e32 v27, 32, v27
	v_cmp_eq_u32_e32 vcc_lo, 0, v124
	v_subrev_nc_u32_e32 v125, 29, v27
	v_sub_nc_u32_e32 v27, 30, v27
	v_lshlrev_b32_e32 v125, v125, v82
	v_lshlrev_b32_e32 v82, 24, v82
	v_cndmask_b32_e32 v27, v124, v27, vcc_lo
	v_and_b32_e32 v125, 3, v125
	v_and_b32_e32 v82, 0x80000000, v82
	v_lshl_add_u32 v27, v27, 23, 0x37800000
	v_cndmask_b32_e32 v26, v26, v125, vcc_lo
	v_lshlrev_b32_e32 v26, 21, v26
	v_or3_b32 v124, v82, v27, v26
.LBB4_3319:                             ;   in Loop: Header=BB4_3307 Depth=3
	s_or_b32 exec_lo, exec_lo, s16
	v_mul_f32_e32 v123, v123, v124
	v_mov_b32_e32 v82, 0x80
	s_mov_b32 s19, exec_lo
	v_and_b32_e32 v26, 0x7f800000, v123
	v_cmpx_ne_u32_e32 0x7f800000, v26
	s_cbranch_execz .LBB4_3327
; %bb.3320:                             ;   in Loop: Header=BB4_3307 Depth=3
	v_mov_b32_e32 v82, 0
	s_mov_b32 s23, exec_lo
	v_cmpx_ne_u32_e32 0, v123
	s_cbranch_execz .LBB4_3326
; %bb.3321:                             ;   in Loop: Header=BB4_3307 Depth=3
	v_bfe_u32 v27, v123, 23, 8
	v_and_b32_e32 v26, 0x7fffff, v123
                                        ; implicit-def: $vgpr126
	v_cmp_gt_u32_e64 s16, 0x71, v27
	v_sub_nc_u32_e32 v82, 0x70, v27
	v_cmp_eq_u32_e32 vcc_lo, 0, v27
	v_or_b32_e32 v124, 0x800000, v26
	v_add_nc_u32_e32 v27, 0xffffff91, v27
	v_cndmask_b32_e64 v82, 0, v82, s16
	v_cndmask_b32_e32 v26, v124, v26, vcc_lo
	v_cndmask_b32_e64 v27, v27, 0xffffff92, vcc_lo
	v_cndmask_b32_e64 v82, v82, 0x6f, vcc_lo
	v_lshl_add_u32 v124, 0x200000, v82, -1
	v_lshlrev_b32_e64 v125, v82, 0x100000
	v_and_b32_e32 v124, v124, v26
	v_lshrrev_b32_e32 v26, v82, v26
	v_add_nc_u32_e32 v82, v82, v27
	v_cmp_eq_u32_e64 s16, v124, v125
	v_lshrrev_b32_e32 v27, 23, v26
	v_xor_b32_e32 v124, 1, v27
	v_bfe_u32 v27, v26, 21, 1
	v_add_nc_u32_e32 v27, -1, v27
	v_cndmask_b32_e64 v27, 0, v27, s16
	s_mov_b32 s16, exec_lo
	v_add_nc_u32_e32 v27, v27, v26
	v_and_b32_e32 v27, 0x1fffff, v27
	v_add_nc_u32_e32 v125, v27, v26
	v_cmpx_ne_u32_e64 v82, v124
	s_xor_b32 s16, exec_lo, s16
; %bb.3322:                             ;   in Loop: Header=BB4_3307 Depth=3
	v_cmp_lt_u32_e32 vcc_lo, 0xffffff, v125
	v_sub_nc_u32_e32 v26, v82, v124
	v_cndmask_b32_e64 v27, 0, 1, vcc_lo
	v_add_co_ci_u32_e64 v126, null, 0, v26, vcc_lo
	v_lshrrev_b32_e32 v125, v27, v125
; %bb.3323:                             ;   in Loop: Header=BB4_3307 Depth=3
	s_andn2_saveexec_b32 s16, s16
; %bb.3324:                             ;   in Loop: Header=BB4_3307 Depth=3
	v_bfe_u32 v126, v125, 23, 1
; %bb.3325:                             ;   in Loop: Header=BB4_3307 Depth=3
	s_or_b32 exec_lo, exec_lo, s16
	v_lshrrev_b32_e32 v27, 21, v125
	v_cmp_gt_i32_e32 vcc_lo, 32, v126
	v_min_i32_e32 v82, 31, v126
	v_and_b32_sdwa v26, v123, v116 dst_sel:DWORD dst_unused:UNUSED_PAD src0_sel:BYTE_3 src1_sel:DWORD
	v_cndmask_b32_e32 v27, 3, v27, vcc_lo
	v_lshlrev_b32_e32 v82, 2, v82
	v_or_b32_e32 v123, v126, v27
	v_and_b32_e32 v27, 3, v27
	v_cmp_ne_u32_e32 vcc_lo, 0, v123
	v_or3_b32 v26, v82, v26, v27
	v_cndmask_b32_e32 v82, 0, v26, vcc_lo
.LBB4_3326:                             ;   in Loop: Header=BB4_3307 Depth=3
	s_or_b32 exec_lo, exec_lo, s23
.LBB4_3327:                             ;   in Loop: Header=BB4_3307 Depth=3
	s_or_b32 exec_lo, exec_lo, s19
	v_cmp_gt_i16_sdwa s19, v122, v115 src0_sel:BYTE_0 src1_sel:DWORD
	s_mov_b32 s16, 0
	s_and_saveexec_b32 s23, s19
	s_xor_b32 s19, exec_lo, s23
	s_cbranch_execz .LBB4_3629
; %bb.3328:                             ;   in Loop: Header=BB4_3307 Depth=3
	v_cmp_eq_u16_sdwa s72, v122, v116 src0_sel:BYTE_0 src1_sel:DWORD
	s_mov_b32 s16, -1
	s_and_saveexec_b32 s23, s72
; %bb.3329:                             ;   in Loop: Header=BB4_3307 Depth=3
	s_xor_b32 s16, exec_lo, -1
; %bb.3330:                             ;   in Loop: Header=BB4_3307 Depth=3
	s_or_b32 exec_lo, exec_lo, s23
	s_and_b32 s16, s16, exec_lo
	s_or_saveexec_b32 s19, s19
	v_mov_b32_e32 v123, 0x7f800001
	s_xor_b32 exec_lo, exec_lo, s19
	s_cbranch_execnz .LBB4_3630
.LBB4_3331:                             ;   in Loop: Header=BB4_3307 Depth=3
	s_or_b32 exec_lo, exec_lo, s19
	s_and_saveexec_b32 s19, s16
	s_cbranch_execz .LBB4_3333
.LBB4_3332:                             ;   in Loop: Header=BB4_3307 Depth=3
	v_and_b32_e32 v26, 3, v122
	v_lshrrev_b16 v123, 2, v122
	v_ffbh_u32_e32 v27, v26
	v_and_b32_e32 v123, 31, v123
	v_min_u32_e32 v27, 32, v27
	v_cmp_eq_u32_e32 vcc_lo, 0, v123
	v_subrev_nc_u32_e32 v124, 29, v27
	v_sub_nc_u32_e32 v27, 30, v27
	v_lshlrev_b32_e32 v124, v124, v122
	v_lshlrev_b32_e32 v122, 24, v122
	v_cndmask_b32_e32 v27, v123, v27, vcc_lo
	v_and_b32_e32 v124, 3, v124
	v_and_b32_e32 v122, 0x80000000, v122
	v_lshl_add_u32 v27, v27, 23, 0x37800000
	v_cndmask_b32_e32 v26, v26, v124, vcc_lo
	v_lshlrev_b32_e32 v26, 21, v26
	v_or3_b32 v123, v122, v27, v26
.LBB4_3333:                             ;   in Loop: Header=BB4_3307 Depth=3
	s_or_b32 exec_lo, exec_lo, s19
	s_waitcnt vmcnt(14) lgkmcnt(14)
	v_cmp_gt_i16_sdwa s19, v85, v115 src0_sel:BYTE_0 src1_sel:DWORD
	s_mov_b32 s16, 0
	s_and_saveexec_b32 s23, s19
	s_xor_b32 s19, exec_lo, s23
	s_cbranch_execz .LBB4_3631
; %bb.3334:                             ;   in Loop: Header=BB4_3307 Depth=3
	v_cmp_eq_u16_sdwa s72, v85, v116 src0_sel:BYTE_0 src1_sel:DWORD
	s_mov_b32 s16, -1
	s_and_saveexec_b32 s23, s72
; %bb.3335:                             ;   in Loop: Header=BB4_3307 Depth=3
	s_xor_b32 s16, exec_lo, -1
; %bb.3336:                             ;   in Loop: Header=BB4_3307 Depth=3
	s_or_b32 exec_lo, exec_lo, s23
	s_and_b32 s16, s16, exec_lo
	s_or_saveexec_b32 s19, s19
	v_mov_b32_e32 v122, 0x7f800001
	s_xor_b32 exec_lo, exec_lo, s19
	s_cbranch_execnz .LBB4_3632
.LBB4_3337:                             ;   in Loop: Header=BB4_3307 Depth=3
	s_or_b32 exec_lo, exec_lo, s19
	s_and_saveexec_b32 s19, s16
	s_cbranch_execz .LBB4_3339
.LBB4_3338:                             ;   in Loop: Header=BB4_3307 Depth=3
	v_and_b32_e32 v26, 3, v85
	v_lshrrev_b16 v122, 2, v85
	v_ffbh_u32_e32 v27, v26
	v_and_b32_e32 v122, 31, v122
	v_min_u32_e32 v27, 32, v27
	v_cmp_eq_u32_e32 vcc_lo, 0, v122
	v_subrev_nc_u32_e32 v124, 29, v27
	v_sub_nc_u32_e32 v27, 30, v27
	v_lshlrev_b32_e32 v124, v124, v85
	v_lshlrev_b32_e32 v85, 24, v85
	v_cndmask_b32_e32 v27, v122, v27, vcc_lo
	v_and_b32_e32 v124, 3, v124
	v_and_b32_e32 v85, 0x80000000, v85
	v_lshl_add_u32 v27, v27, 23, 0x37800000
	v_cndmask_b32_e32 v26, v26, v124, vcc_lo
	v_lshlrev_b32_e32 v26, 21, v26
	v_or3_b32 v122, v85, v27, v26
.LBB4_3339:                             ;   in Loop: Header=BB4_3307 Depth=3
	s_or_b32 exec_lo, exec_lo, s19
	v_mul_f32_e32 v122, v123, v122
	v_mov_b32_e32 v85, 0x80
	s_mov_b32 s19, exec_lo
	v_and_b32_e32 v26, 0x7f800000, v122
	v_cmpx_ne_u32_e32 0x7f800000, v26
	s_cbranch_execz .LBB4_3347
; %bb.3340:                             ;   in Loop: Header=BB4_3307 Depth=3
	v_mov_b32_e32 v85, 0
	s_mov_b32 s23, exec_lo
	v_cmpx_ne_u32_e32 0, v122
	s_cbranch_execz .LBB4_3346
; %bb.3341:                             ;   in Loop: Header=BB4_3307 Depth=3
	v_bfe_u32 v27, v122, 23, 8
	v_and_b32_e32 v26, 0x7fffff, v122
	v_cmp_gt_u32_e64 s16, 0x71, v27
	v_sub_nc_u32_e32 v85, 0x70, v27
	v_cmp_eq_u32_e32 vcc_lo, 0, v27
	v_or_b32_e32 v123, 0x800000, v26
	v_add_nc_u32_e32 v27, 0xffffff91, v27
	v_cndmask_b32_e64 v85, 0, v85, s16
	v_cndmask_b32_e32 v26, v123, v26, vcc_lo
	v_cndmask_b32_e64 v27, v27, 0xffffff92, vcc_lo
	v_cndmask_b32_e64 v85, v85, 0x6f, vcc_lo
	v_lshl_add_u32 v123, 0x200000, v85, -1
	v_lshlrev_b32_e64 v124, v85, 0x100000
	v_and_b32_e32 v123, v123, v26
	v_lshrrev_b32_e32 v26, v85, v26
	v_add_nc_u32_e32 v85, v85, v27
	v_cmp_eq_u32_e64 s16, v123, v124
	v_lshrrev_b32_e32 v27, 23, v26
                                        ; implicit-def: $vgpr124
	v_xor_b32_e32 v123, 1, v27
	v_bfe_u32 v27, v26, 21, 1
	v_add_nc_u32_e32 v27, -1, v27
	v_cndmask_b32_e64 v27, 0, v27, s16
	s_mov_b32 s16, exec_lo
	v_add_nc_u32_e32 v27, v27, v26
	v_and_b32_e32 v27, 0x1fffff, v27
	v_add_nc_u32_e32 v125, v27, v26
	v_cmpx_ne_u32_e64 v85, v123
	s_xor_b32 s16, exec_lo, s16
; %bb.3342:                             ;   in Loop: Header=BB4_3307 Depth=3
	v_cmp_lt_u32_e32 vcc_lo, 0xffffff, v125
	v_sub_nc_u32_e32 v26, v85, v123
	v_cndmask_b32_e64 v27, 0, 1, vcc_lo
	v_add_co_ci_u32_e64 v124, null, 0, v26, vcc_lo
	v_lshrrev_b32_e32 v125, v27, v125
; %bb.3343:                             ;   in Loop: Header=BB4_3307 Depth=3
	s_andn2_saveexec_b32 s16, s16
; %bb.3344:                             ;   in Loop: Header=BB4_3307 Depth=3
	v_bfe_u32 v124, v125, 23, 1
; %bb.3345:                             ;   in Loop: Header=BB4_3307 Depth=3
	s_or_b32 exec_lo, exec_lo, s16
	v_lshrrev_b32_e32 v26, 21, v125
	v_cmp_gt_i32_e32 vcc_lo, 32, v124
	v_min_i32_e32 v27, 31, v124
	v_and_b32_sdwa v85, v122, v116 dst_sel:DWORD dst_unused:UNUSED_PAD src0_sel:BYTE_3 src1_sel:DWORD
	v_cndmask_b32_e32 v26, 3, v26, vcc_lo
	v_lshlrev_b32_e32 v27, 2, v27
	v_and_b32_e32 v122, 3, v26
	v_or_b32_e32 v26, v124, v26
	v_or3_b32 v27, v27, v85, v122
	v_cmp_ne_u32_e32 vcc_lo, 0, v26
	v_cndmask_b32_e32 v85, 0, v27, vcc_lo
.LBB4_3346:                             ;   in Loop: Header=BB4_3307 Depth=3
	s_or_b32 exec_lo, exec_lo, s23
.LBB4_3347:                             ;   in Loop: Header=BB4_3307 Depth=3
	s_or_b32 exec_lo, exec_lo, s19
	v_cmp_gt_i16_sdwa s19, v121, v115 src0_sel:BYTE_0 src1_sel:DWORD
	s_mov_b32 s16, 0
	s_and_saveexec_b32 s23, s19
	s_xor_b32 s19, exec_lo, s23
	s_cbranch_execz .LBB4_3633
; %bb.3348:                             ;   in Loop: Header=BB4_3307 Depth=3
	v_cmp_eq_u16_sdwa s72, v121, v116 src0_sel:BYTE_0 src1_sel:DWORD
	s_mov_b32 s16, -1
	s_and_saveexec_b32 s23, s72
; %bb.3349:                             ;   in Loop: Header=BB4_3307 Depth=3
	s_xor_b32 s16, exec_lo, -1
; %bb.3350:                             ;   in Loop: Header=BB4_3307 Depth=3
	s_or_b32 exec_lo, exec_lo, s23
	s_and_b32 s16, s16, exec_lo
	s_or_saveexec_b32 s19, s19
	v_mov_b32_e32 v122, 0x7f800001
	s_xor_b32 exec_lo, exec_lo, s19
	s_cbranch_execnz .LBB4_3634
.LBB4_3351:                             ;   in Loop: Header=BB4_3307 Depth=3
	s_or_b32 exec_lo, exec_lo, s19
	s_and_saveexec_b32 s19, s16
	s_cbranch_execz .LBB4_3353
.LBB4_3352:                             ;   in Loop: Header=BB4_3307 Depth=3
	v_and_b32_e32 v26, 3, v121
	v_lshrrev_b16 v122, 2, v121
	v_ffbh_u32_e32 v27, v26
	v_and_b32_e32 v122, 31, v122
	v_min_u32_e32 v27, 32, v27
	v_cmp_eq_u32_e32 vcc_lo, 0, v122
	v_subrev_nc_u32_e32 v123, 29, v27
	v_sub_nc_u32_e32 v27, 30, v27
	v_lshlrev_b32_e32 v123, v123, v121
	v_lshlrev_b32_e32 v121, 24, v121
	v_cndmask_b32_e32 v27, v122, v27, vcc_lo
	v_and_b32_e32 v123, 3, v123
	v_and_b32_e32 v121, 0x80000000, v121
	v_lshl_add_u32 v27, v27, 23, 0x37800000
	v_cndmask_b32_e32 v26, v26, v123, vcc_lo
	v_lshlrev_b32_e32 v26, 21, v26
	v_or3_b32 v122, v121, v27, v26
.LBB4_3353:                             ;   in Loop: Header=BB4_3307 Depth=3
	s_or_b32 exec_lo, exec_lo, s19
	s_waitcnt vmcnt(13) lgkmcnt(13)
	v_cmp_gt_i16_sdwa s19, v97, v115 src0_sel:BYTE_0 src1_sel:DWORD
	s_mov_b32 s16, 0
	s_and_saveexec_b32 s23, s19
	s_xor_b32 s19, exec_lo, s23
	s_cbranch_execz .LBB4_3635
; %bb.3354:                             ;   in Loop: Header=BB4_3307 Depth=3
	v_cmp_eq_u16_sdwa s72, v97, v116 src0_sel:BYTE_0 src1_sel:DWORD
	s_mov_b32 s16, -1
	s_and_saveexec_b32 s23, s72
; %bb.3355:                             ;   in Loop: Header=BB4_3307 Depth=3
	s_xor_b32 s16, exec_lo, -1
; %bb.3356:                             ;   in Loop: Header=BB4_3307 Depth=3
	s_or_b32 exec_lo, exec_lo, s23
	s_and_b32 s16, s16, exec_lo
	s_or_saveexec_b32 s19, s19
	v_mov_b32_e32 v121, 0x7f800001
	s_xor_b32 exec_lo, exec_lo, s19
	s_cbranch_execnz .LBB4_3636
.LBB4_3357:                             ;   in Loop: Header=BB4_3307 Depth=3
	s_or_b32 exec_lo, exec_lo, s19
	s_and_saveexec_b32 s19, s16
	s_cbranch_execz .LBB4_3359
.LBB4_3358:                             ;   in Loop: Header=BB4_3307 Depth=3
	v_and_b32_e32 v26, 3, v97
	v_lshrrev_b16 v121, 2, v97
	v_ffbh_u32_e32 v27, v26
	v_and_b32_e32 v121, 31, v121
	v_min_u32_e32 v27, 32, v27
	v_cmp_eq_u32_e32 vcc_lo, 0, v121
	v_subrev_nc_u32_e32 v123, 29, v27
	v_sub_nc_u32_e32 v27, 30, v27
	v_lshlrev_b32_e32 v123, v123, v97
	v_lshlrev_b32_e32 v97, 24, v97
	v_cndmask_b32_e32 v27, v121, v27, vcc_lo
	v_and_b32_e32 v123, 3, v123
	v_and_b32_e32 v97, 0x80000000, v97
	v_lshl_add_u32 v27, v27, 23, 0x37800000
	v_cndmask_b32_e32 v26, v26, v123, vcc_lo
	v_lshlrev_b32_e32 v26, 21, v26
	v_or3_b32 v121, v97, v27, v26
.LBB4_3359:                             ;   in Loop: Header=BB4_3307 Depth=3
	s_or_b32 exec_lo, exec_lo, s19
	v_mul_f32_e32 v121, v122, v121
	v_mov_b32_e32 v97, 0x80
	s_mov_b32 s19, exec_lo
	v_and_b32_e32 v26, 0x7f800000, v121
	v_cmpx_ne_u32_e32 0x7f800000, v26
	s_cbranch_execz .LBB4_3367
; %bb.3360:                             ;   in Loop: Header=BB4_3307 Depth=3
	v_mov_b32_e32 v97, 0
	s_mov_b32 s23, exec_lo
	v_cmpx_ne_u32_e32 0, v121
	s_cbranch_execz .LBB4_3366
; %bb.3361:                             ;   in Loop: Header=BB4_3307 Depth=3
	v_bfe_u32 v27, v121, 23, 8
	v_and_b32_e32 v26, 0x7fffff, v121
	v_cmp_gt_u32_e64 s16, 0x71, v27
	v_sub_nc_u32_e32 v97, 0x70, v27
	v_cmp_eq_u32_e32 vcc_lo, 0, v27
	v_or_b32_e32 v122, 0x800000, v26
	v_add_nc_u32_e32 v27, 0xffffff91, v27
	v_cndmask_b32_e64 v97, 0, v97, s16
	v_cndmask_b32_e32 v26, v122, v26, vcc_lo
	v_cndmask_b32_e64 v27, v27, 0xffffff92, vcc_lo
	v_cndmask_b32_e64 v97, v97, 0x6f, vcc_lo
	v_lshl_add_u32 v122, 0x200000, v97, -1
	v_lshlrev_b32_e64 v123, v97, 0x100000
	v_and_b32_e32 v122, v122, v26
	v_lshrrev_b32_e32 v26, v97, v26
	v_add_nc_u32_e32 v97, v97, v27
	v_cmp_eq_u32_e64 s16, v122, v123
	v_lshrrev_b32_e32 v27, 23, v26
                                        ; implicit-def: $vgpr123
	v_xor_b32_e32 v122, 1, v27
	v_bfe_u32 v27, v26, 21, 1
	v_add_nc_u32_e32 v27, -1, v27
	v_cndmask_b32_e64 v27, 0, v27, s16
	s_mov_b32 s16, exec_lo
	v_add_nc_u32_e32 v27, v27, v26
	v_and_b32_e32 v27, 0x1fffff, v27
	v_add_nc_u32_e32 v124, v27, v26
	v_cmpx_ne_u32_e64 v97, v122
	s_xor_b32 s16, exec_lo, s16
; %bb.3362:                             ;   in Loop: Header=BB4_3307 Depth=3
	v_cmp_lt_u32_e32 vcc_lo, 0xffffff, v124
	v_sub_nc_u32_e32 v26, v97, v122
	v_cndmask_b32_e64 v27, 0, 1, vcc_lo
	v_add_co_ci_u32_e64 v123, null, 0, v26, vcc_lo
	v_lshrrev_b32_e32 v124, v27, v124
; %bb.3363:                             ;   in Loop: Header=BB4_3307 Depth=3
	s_andn2_saveexec_b32 s16, s16
; %bb.3364:                             ;   in Loop: Header=BB4_3307 Depth=3
	v_bfe_u32 v123, v124, 23, 1
; %bb.3365:                             ;   in Loop: Header=BB4_3307 Depth=3
	s_or_b32 exec_lo, exec_lo, s16
	v_lshrrev_b32_e32 v26, 21, v124
	v_cmp_gt_i32_e32 vcc_lo, 32, v123
	v_min_i32_e32 v27, 31, v123
	v_and_b32_sdwa v97, v121, v116 dst_sel:DWORD dst_unused:UNUSED_PAD src0_sel:BYTE_3 src1_sel:DWORD
	v_cndmask_b32_e32 v26, 3, v26, vcc_lo
	v_lshlrev_b32_e32 v27, 2, v27
	v_and_b32_e32 v121, 3, v26
	v_or_b32_e32 v26, v123, v26
	v_or3_b32 v27, v27, v97, v121
	v_cmp_ne_u32_e32 vcc_lo, 0, v26
	v_cndmask_b32_e32 v97, 0, v27, vcc_lo
.LBB4_3366:                             ;   in Loop: Header=BB4_3307 Depth=3
	s_or_b32 exec_lo, exec_lo, s23
.LBB4_3367:                             ;   in Loop: Header=BB4_3307 Depth=3
	s_or_b32 exec_lo, exec_lo, s19
	v_cmp_gt_i16_sdwa s19, v120, v115 src0_sel:BYTE_0 src1_sel:DWORD
	s_mov_b32 s16, 0
	s_and_saveexec_b32 s23, s19
	s_xor_b32 s19, exec_lo, s23
	s_cbranch_execz .LBB4_3637
; %bb.3368:                             ;   in Loop: Header=BB4_3307 Depth=3
	v_cmp_eq_u16_sdwa s72, v120, v116 src0_sel:BYTE_0 src1_sel:DWORD
	s_mov_b32 s16, -1
	s_and_saveexec_b32 s23, s72
; %bb.3369:                             ;   in Loop: Header=BB4_3307 Depth=3
	s_xor_b32 s16, exec_lo, -1
; %bb.3370:                             ;   in Loop: Header=BB4_3307 Depth=3
	s_or_b32 exec_lo, exec_lo, s23
	s_and_b32 s16, s16, exec_lo
	s_or_saveexec_b32 s19, s19
	v_mov_b32_e32 v121, 0x7f800001
	s_xor_b32 exec_lo, exec_lo, s19
	s_cbranch_execnz .LBB4_3638
.LBB4_3371:                             ;   in Loop: Header=BB4_3307 Depth=3
	s_or_b32 exec_lo, exec_lo, s19
	s_and_saveexec_b32 s19, s16
	s_cbranch_execz .LBB4_3373
.LBB4_3372:                             ;   in Loop: Header=BB4_3307 Depth=3
	v_and_b32_e32 v26, 3, v120
	v_lshrrev_b16 v121, 2, v120
	v_ffbh_u32_e32 v27, v26
	v_and_b32_e32 v121, 31, v121
	v_min_u32_e32 v27, 32, v27
	v_cmp_eq_u32_e32 vcc_lo, 0, v121
	v_subrev_nc_u32_e32 v122, 29, v27
	v_sub_nc_u32_e32 v27, 30, v27
	v_lshlrev_b32_e32 v122, v122, v120
	v_lshlrev_b32_e32 v120, 24, v120
	v_cndmask_b32_e32 v27, v121, v27, vcc_lo
	v_and_b32_e32 v122, 3, v122
	v_and_b32_e32 v120, 0x80000000, v120
	v_lshl_add_u32 v27, v27, 23, 0x37800000
	v_cndmask_b32_e32 v26, v26, v122, vcc_lo
	v_lshlrev_b32_e32 v26, 21, v26
	v_or3_b32 v121, v120, v27, v26
.LBB4_3373:                             ;   in Loop: Header=BB4_3307 Depth=3
	s_or_b32 exec_lo, exec_lo, s19
	s_waitcnt vmcnt(12) lgkmcnt(12)
	v_cmp_gt_i16_sdwa s19, v89, v115 src0_sel:BYTE_0 src1_sel:DWORD
	s_mov_b32 s16, 0
	s_and_saveexec_b32 s23, s19
	s_xor_b32 s19, exec_lo, s23
	s_cbranch_execz .LBB4_3639
; %bb.3374:                             ;   in Loop: Header=BB4_3307 Depth=3
	v_cmp_eq_u16_sdwa s72, v89, v116 src0_sel:BYTE_0 src1_sel:DWORD
	s_mov_b32 s16, -1
	s_and_saveexec_b32 s23, s72
; %bb.3375:                             ;   in Loop: Header=BB4_3307 Depth=3
	s_xor_b32 s16, exec_lo, -1
; %bb.3376:                             ;   in Loop: Header=BB4_3307 Depth=3
	s_or_b32 exec_lo, exec_lo, s23
	s_and_b32 s16, s16, exec_lo
	s_or_saveexec_b32 s19, s19
	v_mov_b32_e32 v120, 0x7f800001
	s_xor_b32 exec_lo, exec_lo, s19
	s_cbranch_execnz .LBB4_3640
.LBB4_3377:                             ;   in Loop: Header=BB4_3307 Depth=3
	s_or_b32 exec_lo, exec_lo, s19
	s_and_saveexec_b32 s19, s16
	s_cbranch_execz .LBB4_3379
.LBB4_3378:                             ;   in Loop: Header=BB4_3307 Depth=3
	v_and_b32_e32 v26, 3, v89
	v_lshrrev_b16 v120, 2, v89
	v_ffbh_u32_e32 v27, v26
	v_and_b32_e32 v120, 31, v120
	v_min_u32_e32 v27, 32, v27
	v_cmp_eq_u32_e32 vcc_lo, 0, v120
	v_subrev_nc_u32_e32 v122, 29, v27
	v_sub_nc_u32_e32 v27, 30, v27
	v_lshlrev_b32_e32 v122, v122, v89
	v_lshlrev_b32_e32 v89, 24, v89
	v_cndmask_b32_e32 v27, v120, v27, vcc_lo
	v_and_b32_e32 v122, 3, v122
	v_and_b32_e32 v89, 0x80000000, v89
	v_lshl_add_u32 v27, v27, 23, 0x37800000
	v_cndmask_b32_e32 v26, v26, v122, vcc_lo
	v_lshlrev_b32_e32 v26, 21, v26
	v_or3_b32 v120, v89, v27, v26
.LBB4_3379:                             ;   in Loop: Header=BB4_3307 Depth=3
	s_or_b32 exec_lo, exec_lo, s19
	v_mul_f32_e32 v120, v121, v120
	v_mov_b32_e32 v89, 0x80
	s_mov_b32 s19, exec_lo
	v_and_b32_e32 v26, 0x7f800000, v120
	v_cmpx_ne_u32_e32 0x7f800000, v26
	s_cbranch_execz .LBB4_3387
; %bb.3380:                             ;   in Loop: Header=BB4_3307 Depth=3
	v_mov_b32_e32 v89, 0
	s_mov_b32 s23, exec_lo
	v_cmpx_ne_u32_e32 0, v120
	s_cbranch_execz .LBB4_3386
; %bb.3381:                             ;   in Loop: Header=BB4_3307 Depth=3
	v_bfe_u32 v27, v120, 23, 8
	v_and_b32_e32 v26, 0x7fffff, v120
	v_cmp_gt_u32_e64 s16, 0x71, v27
	v_sub_nc_u32_e32 v89, 0x70, v27
	v_cmp_eq_u32_e32 vcc_lo, 0, v27
	v_or_b32_e32 v121, 0x800000, v26
	v_add_nc_u32_e32 v27, 0xffffff91, v27
	v_cndmask_b32_e64 v89, 0, v89, s16
	v_cndmask_b32_e32 v26, v121, v26, vcc_lo
	v_cndmask_b32_e64 v27, v27, 0xffffff92, vcc_lo
	v_cndmask_b32_e64 v89, v89, 0x6f, vcc_lo
	v_lshl_add_u32 v121, 0x200000, v89, -1
	v_lshlrev_b32_e64 v122, v89, 0x100000
	v_and_b32_e32 v121, v121, v26
	v_lshrrev_b32_e32 v26, v89, v26
	v_add_nc_u32_e32 v89, v89, v27
	v_cmp_eq_u32_e64 s16, v121, v122
	v_lshrrev_b32_e32 v27, 23, v26
                                        ; implicit-def: $vgpr122
	v_xor_b32_e32 v121, 1, v27
	v_bfe_u32 v27, v26, 21, 1
	v_add_nc_u32_e32 v27, -1, v27
	v_cndmask_b32_e64 v27, 0, v27, s16
	s_mov_b32 s16, exec_lo
	v_add_nc_u32_e32 v27, v27, v26
	v_and_b32_e32 v27, 0x1fffff, v27
	v_add_nc_u32_e32 v123, v27, v26
	v_cmpx_ne_u32_e64 v89, v121
	s_xor_b32 s16, exec_lo, s16
; %bb.3382:                             ;   in Loop: Header=BB4_3307 Depth=3
	v_cmp_lt_u32_e32 vcc_lo, 0xffffff, v123
	v_sub_nc_u32_e32 v26, v89, v121
	v_cndmask_b32_e64 v27, 0, 1, vcc_lo
	v_add_co_ci_u32_e64 v122, null, 0, v26, vcc_lo
	v_lshrrev_b32_e32 v123, v27, v123
; %bb.3383:                             ;   in Loop: Header=BB4_3307 Depth=3
	s_andn2_saveexec_b32 s16, s16
; %bb.3384:                             ;   in Loop: Header=BB4_3307 Depth=3
	v_bfe_u32 v122, v123, 23, 1
; %bb.3385:                             ;   in Loop: Header=BB4_3307 Depth=3
	s_or_b32 exec_lo, exec_lo, s16
	v_lshrrev_b32_e32 v26, 21, v123
	v_cmp_gt_i32_e32 vcc_lo, 32, v122
	v_min_i32_e32 v27, 31, v122
	v_and_b32_sdwa v89, v120, v116 dst_sel:DWORD dst_unused:UNUSED_PAD src0_sel:BYTE_3 src1_sel:DWORD
	v_cndmask_b32_e32 v26, 3, v26, vcc_lo
	v_lshlrev_b32_e32 v27, 2, v27
	v_and_b32_e32 v120, 3, v26
	v_or_b32_e32 v26, v122, v26
	v_or3_b32 v27, v27, v89, v120
	v_cmp_ne_u32_e32 vcc_lo, 0, v26
	v_cndmask_b32_e32 v89, 0, v27, vcc_lo
.LBB4_3386:                             ;   in Loop: Header=BB4_3307 Depth=3
	s_or_b32 exec_lo, exec_lo, s23
.LBB4_3387:                             ;   in Loop: Header=BB4_3307 Depth=3
	s_or_b32 exec_lo, exec_lo, s19
	v_cmp_gt_i16_sdwa s19, v111, v115 src0_sel:BYTE_0 src1_sel:DWORD
	s_mov_b32 s16, 0
	s_and_saveexec_b32 s23, s19
	s_xor_b32 s19, exec_lo, s23
	s_cbranch_execz .LBB4_3641
; %bb.3388:                             ;   in Loop: Header=BB4_3307 Depth=3
	v_cmp_eq_u16_sdwa s72, v111, v116 src0_sel:BYTE_0 src1_sel:DWORD
	s_mov_b32 s16, -1
	s_and_saveexec_b32 s23, s72
; %bb.3389:                             ;   in Loop: Header=BB4_3307 Depth=3
	s_xor_b32 s16, exec_lo, -1
; %bb.3390:                             ;   in Loop: Header=BB4_3307 Depth=3
	s_or_b32 exec_lo, exec_lo, s23
	s_and_b32 s16, s16, exec_lo
	s_or_saveexec_b32 s19, s19
	v_mov_b32_e32 v120, 0x7f800001
	s_xor_b32 exec_lo, exec_lo, s19
	s_cbranch_execnz .LBB4_3642
.LBB4_3391:                             ;   in Loop: Header=BB4_3307 Depth=3
	s_or_b32 exec_lo, exec_lo, s19
	s_and_saveexec_b32 s19, s16
	s_cbranch_execz .LBB4_3393
.LBB4_3392:                             ;   in Loop: Header=BB4_3307 Depth=3
	v_and_b32_e32 v26, 3, v111
	v_lshrrev_b16 v120, 2, v111
	v_ffbh_u32_e32 v27, v26
	v_and_b32_e32 v120, 31, v120
	v_min_u32_e32 v27, 32, v27
	v_cmp_eq_u32_e32 vcc_lo, 0, v120
	v_subrev_nc_u32_e32 v121, 29, v27
	v_sub_nc_u32_e32 v27, 30, v27
	v_lshlrev_b32_e32 v121, v121, v111
	v_lshlrev_b32_e32 v111, 24, v111
	v_cndmask_b32_e32 v27, v120, v27, vcc_lo
	v_and_b32_e32 v121, 3, v121
	v_and_b32_e32 v111, 0x80000000, v111
	v_lshl_add_u32 v27, v27, 23, 0x37800000
	v_cndmask_b32_e32 v26, v26, v121, vcc_lo
	v_lshlrev_b32_e32 v26, 21, v26
	v_or3_b32 v120, v111, v27, v26
.LBB4_3393:                             ;   in Loop: Header=BB4_3307 Depth=3
	s_or_b32 exec_lo, exec_lo, s19
	s_waitcnt vmcnt(11) lgkmcnt(11)
	v_cmp_gt_i16_sdwa s19, v92, v115 src0_sel:BYTE_0 src1_sel:DWORD
	s_mov_b32 s16, 0
	s_and_saveexec_b32 s23, s19
	s_xor_b32 s19, exec_lo, s23
	s_cbranch_execz .LBB4_3643
; %bb.3394:                             ;   in Loop: Header=BB4_3307 Depth=3
	v_cmp_eq_u16_sdwa s72, v92, v116 src0_sel:BYTE_0 src1_sel:DWORD
	s_mov_b32 s16, -1
	s_and_saveexec_b32 s23, s72
; %bb.3395:                             ;   in Loop: Header=BB4_3307 Depth=3
	s_xor_b32 s16, exec_lo, -1
; %bb.3396:                             ;   in Loop: Header=BB4_3307 Depth=3
	s_or_b32 exec_lo, exec_lo, s23
	s_and_b32 s16, s16, exec_lo
	s_or_saveexec_b32 s19, s19
	v_mov_b32_e32 v111, 0x7f800001
	s_xor_b32 exec_lo, exec_lo, s19
	s_cbranch_execnz .LBB4_3644
.LBB4_3397:                             ;   in Loop: Header=BB4_3307 Depth=3
	s_or_b32 exec_lo, exec_lo, s19
	s_and_saveexec_b32 s19, s16
	s_cbranch_execz .LBB4_3399
.LBB4_3398:                             ;   in Loop: Header=BB4_3307 Depth=3
	v_and_b32_e32 v26, 3, v92
	v_lshrrev_b16 v111, 2, v92
	v_ffbh_u32_e32 v27, v26
	v_and_b32_e32 v111, 31, v111
	v_min_u32_e32 v27, 32, v27
	v_cmp_eq_u32_e32 vcc_lo, 0, v111
	v_subrev_nc_u32_e32 v121, 29, v27
	v_sub_nc_u32_e32 v27, 30, v27
	v_lshlrev_b32_e32 v121, v121, v92
	v_lshlrev_b32_e32 v92, 24, v92
	v_cndmask_b32_e32 v27, v111, v27, vcc_lo
	v_and_b32_e32 v121, 3, v121
	v_and_b32_e32 v92, 0x80000000, v92
	v_lshl_add_u32 v27, v27, 23, 0x37800000
	v_cndmask_b32_e32 v26, v26, v121, vcc_lo
	v_lshlrev_b32_e32 v26, 21, v26
	v_or3_b32 v111, v92, v27, v26
.LBB4_3399:                             ;   in Loop: Header=BB4_3307 Depth=3
	s_or_b32 exec_lo, exec_lo, s19
	v_mul_f32_e32 v111, v120, v111
	v_mov_b32_e32 v92, 0x80
	s_mov_b32 s19, exec_lo
	v_and_b32_e32 v26, 0x7f800000, v111
	v_cmpx_ne_u32_e32 0x7f800000, v26
	s_cbranch_execz .LBB4_3407
; %bb.3400:                             ;   in Loop: Header=BB4_3307 Depth=3
	v_mov_b32_e32 v92, 0
	s_mov_b32 s23, exec_lo
	v_cmpx_ne_u32_e32 0, v111
	s_cbranch_execz .LBB4_3406
; %bb.3401:                             ;   in Loop: Header=BB4_3307 Depth=3
	v_bfe_u32 v26, v111, 23, 8
	v_and_b32_e32 v27, 0x7fffff, v111
	v_sub_nc_u32_e32 v92, 0x70, v26
	v_cmp_gt_u32_e32 vcc_lo, 0x71, v26
	v_or_b32_e32 v120, 0x800000, v27
	v_cndmask_b32_e32 v92, 0, v92, vcc_lo
	v_cmp_eq_u32_e32 vcc_lo, 0, v26
	v_add_nc_u32_e32 v26, 0xffffff91, v26
	v_cndmask_b32_e64 v92, v92, 0x6f, vcc_lo
	v_cndmask_b32_e32 v27, v120, v27, vcc_lo
	v_cndmask_b32_e64 v26, v26, 0xffffff92, vcc_lo
	v_lshl_add_u32 v121, 0x200000, v92, -1
	v_lshrrev_b32_e32 v120, v92, v27
	v_lshlrev_b32_e64 v123, v92, 0x100000
	v_and_b32_e32 v27, v121, v27
	v_bfe_u32 v122, v120, 21, 1
	v_cmp_eq_u32_e64 s16, v27, v123
	v_add_nc_u32_e32 v121, -1, v122
	v_lshrrev_b32_e32 v122, 23, v120
	v_cndmask_b32_e64 v27, 0, v121, s16
	v_add_nc_u32_e32 v121, v92, v26
	v_xor_b32_e32 v122, 1, v122
	s_mov_b32 s16, exec_lo
                                        ; implicit-def: $vgpr92
	v_add_nc_u32_e32 v27, v27, v120
	v_and_b32_e32 v26, 0x1fffff, v27
	v_add_nc_u32_e32 v120, v26, v120
	v_cmpx_ne_u32_e64 v121, v122
	s_xor_b32 s16, exec_lo, s16
; %bb.3402:                             ;   in Loop: Header=BB4_3307 Depth=3
	v_cmp_lt_u32_e32 vcc_lo, 0xffffff, v120
	v_sub_nc_u32_e32 v26, v121, v122
	v_cndmask_b32_e64 v27, 0, 1, vcc_lo
	v_add_co_ci_u32_e64 v92, null, 0, v26, vcc_lo
	v_lshrrev_b32_e32 v120, v27, v120
; %bb.3403:                             ;   in Loop: Header=BB4_3307 Depth=3
	s_andn2_saveexec_b32 s16, s16
; %bb.3404:                             ;   in Loop: Header=BB4_3307 Depth=3
	v_bfe_u32 v92, v120, 23, 1
; %bb.3405:                             ;   in Loop: Header=BB4_3307 Depth=3
	s_or_b32 exec_lo, exec_lo, s16
	v_lshrrev_b32_e32 v26, 21, v120
	v_cmp_gt_i32_e32 vcc_lo, 32, v92
	v_min_i32_e32 v27, 31, v92
	v_and_b32_sdwa v111, v111, v116 dst_sel:DWORD dst_unused:UNUSED_PAD src0_sel:BYTE_3 src1_sel:DWORD
	v_cndmask_b32_e32 v26, 3, v26, vcc_lo
	v_lshlrev_b32_e32 v27, 2, v27
	v_and_b32_e32 v120, 3, v26
	v_or_b32_e32 v26, v92, v26
	v_or3_b32 v27, v27, v111, v120
	v_cmp_ne_u32_e32 vcc_lo, 0, v26
	v_cndmask_b32_e32 v92, 0, v27, vcc_lo
.LBB4_3406:                             ;   in Loop: Header=BB4_3307 Depth=3
	s_or_b32 exec_lo, exec_lo, s23
.LBB4_3407:                             ;   in Loop: Header=BB4_3307 Depth=3
	s_or_b32 exec_lo, exec_lo, s19
	v_cmp_gt_i16_sdwa s19, v110, v115 src0_sel:BYTE_0 src1_sel:DWORD
	s_mov_b32 s16, 0
	s_and_saveexec_b32 s23, s19
	s_xor_b32 s19, exec_lo, s23
	s_cbranch_execz .LBB4_3645
; %bb.3408:                             ;   in Loop: Header=BB4_3307 Depth=3
	v_cmp_eq_u16_sdwa s72, v110, v116 src0_sel:BYTE_0 src1_sel:DWORD
	s_mov_b32 s16, -1
	s_and_saveexec_b32 s23, s72
; %bb.3409:                             ;   in Loop: Header=BB4_3307 Depth=3
	s_xor_b32 s16, exec_lo, -1
; %bb.3410:                             ;   in Loop: Header=BB4_3307 Depth=3
	s_or_b32 exec_lo, exec_lo, s23
	s_and_b32 s16, s16, exec_lo
	s_or_saveexec_b32 s19, s19
	v_mov_b32_e32 v111, 0x7f800001
	s_xor_b32 exec_lo, exec_lo, s19
	s_cbranch_execnz .LBB4_3646
.LBB4_3411:                             ;   in Loop: Header=BB4_3307 Depth=3
	s_or_b32 exec_lo, exec_lo, s19
	s_and_saveexec_b32 s19, s16
	s_cbranch_execz .LBB4_3413
.LBB4_3412:                             ;   in Loop: Header=BB4_3307 Depth=3
	v_and_b32_e32 v26, 3, v110
	v_lshrrev_b16 v111, 2, v110
	v_ffbh_u32_e32 v27, v26
	v_and_b32_e32 v111, 31, v111
	v_min_u32_e32 v27, 32, v27
	v_cmp_eq_u32_e32 vcc_lo, 0, v111
	v_subrev_nc_u32_e32 v120, 29, v27
	v_sub_nc_u32_e32 v27, 30, v27
	v_lshlrev_b32_e32 v120, v120, v110
	v_lshlrev_b32_e32 v110, 24, v110
	v_cndmask_b32_e32 v27, v111, v27, vcc_lo
	v_and_b32_e32 v120, 3, v120
	v_and_b32_e32 v110, 0x80000000, v110
	v_lshl_add_u32 v27, v27, 23, 0x37800000
	v_cndmask_b32_e32 v26, v26, v120, vcc_lo
	v_lshlrev_b32_e32 v26, 21, v26
	v_or3_b32 v111, v110, v27, v26
.LBB4_3413:                             ;   in Loop: Header=BB4_3307 Depth=3
	s_or_b32 exec_lo, exec_lo, s19
	s_waitcnt vmcnt(10) lgkmcnt(10)
	v_cmp_gt_i16_sdwa s19, v95, v115 src0_sel:BYTE_0 src1_sel:DWORD
	s_mov_b32 s16, 0
	s_and_saveexec_b32 s23, s19
	s_xor_b32 s19, exec_lo, s23
	s_cbranch_execz .LBB4_3647
; %bb.3414:                             ;   in Loop: Header=BB4_3307 Depth=3
	v_cmp_eq_u16_sdwa s72, v95, v116 src0_sel:BYTE_0 src1_sel:DWORD
	s_mov_b32 s16, -1
	s_and_saveexec_b32 s23, s72
; %bb.3415:                             ;   in Loop: Header=BB4_3307 Depth=3
	s_xor_b32 s16, exec_lo, -1
; %bb.3416:                             ;   in Loop: Header=BB4_3307 Depth=3
	s_or_b32 exec_lo, exec_lo, s23
	s_and_b32 s16, s16, exec_lo
	s_or_saveexec_b32 s19, s19
	v_mov_b32_e32 v110, 0x7f800001
	s_xor_b32 exec_lo, exec_lo, s19
	s_cbranch_execnz .LBB4_3648
.LBB4_3417:                             ;   in Loop: Header=BB4_3307 Depth=3
	s_or_b32 exec_lo, exec_lo, s19
	s_and_saveexec_b32 s19, s16
	s_cbranch_execz .LBB4_3419
.LBB4_3418:                             ;   in Loop: Header=BB4_3307 Depth=3
	v_and_b32_e32 v26, 3, v95
	v_lshrrev_b16 v110, 2, v95
	v_ffbh_u32_e32 v27, v26
	v_and_b32_e32 v110, 31, v110
	v_min_u32_e32 v27, 32, v27
	v_cmp_eq_u32_e32 vcc_lo, 0, v110
	v_subrev_nc_u32_e32 v120, 29, v27
	v_sub_nc_u32_e32 v27, 30, v27
	v_lshlrev_b32_e32 v120, v120, v95
	v_lshlrev_b32_e32 v95, 24, v95
	v_cndmask_b32_e32 v27, v110, v27, vcc_lo
	v_and_b32_e32 v120, 3, v120
	v_and_b32_e32 v95, 0x80000000, v95
	v_lshl_add_u32 v27, v27, 23, 0x37800000
	v_cndmask_b32_e32 v26, v26, v120, vcc_lo
	v_lshlrev_b32_e32 v26, 21, v26
	v_or3_b32 v110, v95, v27, v26
.LBB4_3419:                             ;   in Loop: Header=BB4_3307 Depth=3
	s_or_b32 exec_lo, exec_lo, s19
	v_mul_f32_e32 v110, v111, v110
	v_mov_b32_e32 v95, 0x80
	s_mov_b32 s19, exec_lo
	v_and_b32_e32 v26, 0x7f800000, v110
	v_cmpx_ne_u32_e32 0x7f800000, v26
	s_cbranch_execz .LBB4_3427
; %bb.3420:                             ;   in Loop: Header=BB4_3307 Depth=3
	v_mov_b32_e32 v95, 0
	s_mov_b32 s23, exec_lo
	v_cmpx_ne_u32_e32 0, v110
	s_cbranch_execz .LBB4_3426
; %bb.3421:                             ;   in Loop: Header=BB4_3307 Depth=3
	v_bfe_u32 v26, v110, 23, 8
	v_and_b32_e32 v27, 0x7fffff, v110
	v_sub_nc_u32_e32 v95, 0x70, v26
	v_cmp_gt_u32_e32 vcc_lo, 0x71, v26
	v_or_b32_e32 v111, 0x800000, v27
	v_cndmask_b32_e32 v95, 0, v95, vcc_lo
	v_cmp_eq_u32_e32 vcc_lo, 0, v26
	v_add_nc_u32_e32 v26, 0xffffff91, v26
	v_cndmask_b32_e64 v95, v95, 0x6f, vcc_lo
	v_cndmask_b32_e32 v27, v111, v27, vcc_lo
	v_cndmask_b32_e64 v26, v26, 0xffffff92, vcc_lo
	v_lshl_add_u32 v120, 0x200000, v95, -1
	v_lshrrev_b32_e32 v111, v95, v27
	v_lshlrev_b32_e64 v122, v95, 0x100000
	v_and_b32_e32 v27, v120, v27
	v_bfe_u32 v121, v111, 21, 1
	v_cmp_eq_u32_e64 s16, v27, v122
	v_add_nc_u32_e32 v120, -1, v121
	v_lshrrev_b32_e32 v121, 23, v111
	v_cndmask_b32_e64 v27, 0, v120, s16
	v_add_nc_u32_e32 v120, v95, v26
	v_xor_b32_e32 v121, 1, v121
	s_mov_b32 s16, exec_lo
                                        ; implicit-def: $vgpr95
	v_add_nc_u32_e32 v27, v27, v111
	v_and_b32_e32 v26, 0x1fffff, v27
	v_add_nc_u32_e32 v111, v26, v111
	v_cmpx_ne_u32_e64 v120, v121
	s_xor_b32 s16, exec_lo, s16
; %bb.3422:                             ;   in Loop: Header=BB4_3307 Depth=3
	v_cmp_lt_u32_e32 vcc_lo, 0xffffff, v111
	v_sub_nc_u32_e32 v26, v120, v121
	v_cndmask_b32_e64 v27, 0, 1, vcc_lo
	v_add_co_ci_u32_e64 v95, null, 0, v26, vcc_lo
	v_lshrrev_b32_e32 v111, v27, v111
; %bb.3423:                             ;   in Loop: Header=BB4_3307 Depth=3
	s_andn2_saveexec_b32 s16, s16
; %bb.3424:                             ;   in Loop: Header=BB4_3307 Depth=3
	v_bfe_u32 v95, v111, 23, 1
; %bb.3425:                             ;   in Loop: Header=BB4_3307 Depth=3
	s_or_b32 exec_lo, exec_lo, s16
	v_lshrrev_b32_e32 v26, 21, v111
	v_cmp_gt_i32_e32 vcc_lo, 32, v95
	v_min_i32_e32 v27, 31, v95
	v_and_b32_sdwa v110, v110, v116 dst_sel:DWORD dst_unused:UNUSED_PAD src0_sel:BYTE_3 src1_sel:DWORD
	v_cndmask_b32_e32 v26, 3, v26, vcc_lo
	v_lshlrev_b32_e32 v27, 2, v27
	v_and_b32_e32 v111, 3, v26
	v_or_b32_e32 v26, v95, v26
	v_or3_b32 v27, v27, v110, v111
	v_cmp_ne_u32_e32 vcc_lo, 0, v26
	v_cndmask_b32_e32 v95, 0, v27, vcc_lo
.LBB4_3426:                             ;   in Loop: Header=BB4_3307 Depth=3
	s_or_b32 exec_lo, exec_lo, s23
.LBB4_3427:                             ;   in Loop: Header=BB4_3307 Depth=3
	s_or_b32 exec_lo, exec_lo, s19
	v_cmp_gt_i16_sdwa s19, v109, v115 src0_sel:BYTE_0 src1_sel:DWORD
	s_mov_b32 s16, 0
	s_and_saveexec_b32 s23, s19
	s_xor_b32 s19, exec_lo, s23
	s_cbranch_execz .LBB4_3649
; %bb.3428:                             ;   in Loop: Header=BB4_3307 Depth=3
	v_cmp_eq_u16_sdwa s72, v109, v116 src0_sel:BYTE_0 src1_sel:DWORD
	s_mov_b32 s16, -1
	s_and_saveexec_b32 s23, s72
; %bb.3429:                             ;   in Loop: Header=BB4_3307 Depth=3
	s_xor_b32 s16, exec_lo, -1
; %bb.3430:                             ;   in Loop: Header=BB4_3307 Depth=3
	s_or_b32 exec_lo, exec_lo, s23
	s_and_b32 s16, s16, exec_lo
	s_or_saveexec_b32 s19, s19
	v_mov_b32_e32 v110, 0x7f800001
	s_xor_b32 exec_lo, exec_lo, s19
	s_cbranch_execnz .LBB4_3650
.LBB4_3431:                             ;   in Loop: Header=BB4_3307 Depth=3
	s_or_b32 exec_lo, exec_lo, s19
	s_and_saveexec_b32 s19, s16
	s_cbranch_execz .LBB4_3433
.LBB4_3432:                             ;   in Loop: Header=BB4_3307 Depth=3
	v_and_b32_e32 v26, 3, v109
	v_lshrrev_b16 v110, 2, v109
	v_ffbh_u32_e32 v27, v26
	v_and_b32_e32 v110, 31, v110
	v_min_u32_e32 v27, 32, v27
	v_cmp_eq_u32_e32 vcc_lo, 0, v110
	v_subrev_nc_u32_e32 v111, 29, v27
	v_sub_nc_u32_e32 v27, 30, v27
	v_lshlrev_b32_e32 v111, v111, v109
	v_lshlrev_b32_e32 v109, 24, v109
	v_cndmask_b32_e32 v27, v110, v27, vcc_lo
	v_and_b32_e32 v111, 3, v111
	v_and_b32_e32 v109, 0x80000000, v109
	v_lshl_add_u32 v27, v27, 23, 0x37800000
	v_cndmask_b32_e32 v26, v26, v111, vcc_lo
	v_lshlrev_b32_e32 v26, 21, v26
	v_or3_b32 v110, v109, v27, v26
.LBB4_3433:                             ;   in Loop: Header=BB4_3307 Depth=3
	s_or_b32 exec_lo, exec_lo, s19
	s_waitcnt vmcnt(9) lgkmcnt(9)
	v_cmp_gt_i16_sdwa s19, v106, v115 src0_sel:BYTE_0 src1_sel:DWORD
	s_mov_b32 s16, 0
	s_and_saveexec_b32 s23, s19
	s_xor_b32 s19, exec_lo, s23
	s_cbranch_execz .LBB4_3651
; %bb.3434:                             ;   in Loop: Header=BB4_3307 Depth=3
	v_cmp_eq_u16_sdwa s72, v106, v116 src0_sel:BYTE_0 src1_sel:DWORD
	s_mov_b32 s16, -1
	s_and_saveexec_b32 s23, s72
; %bb.3435:                             ;   in Loop: Header=BB4_3307 Depth=3
	s_xor_b32 s16, exec_lo, -1
; %bb.3436:                             ;   in Loop: Header=BB4_3307 Depth=3
	s_or_b32 exec_lo, exec_lo, s23
	s_and_b32 s16, s16, exec_lo
	s_or_saveexec_b32 s19, s19
	v_mov_b32_e32 v109, 0x7f800001
	s_xor_b32 exec_lo, exec_lo, s19
	s_cbranch_execnz .LBB4_3652
.LBB4_3437:                             ;   in Loop: Header=BB4_3307 Depth=3
	s_or_b32 exec_lo, exec_lo, s19
	s_and_saveexec_b32 s19, s16
	s_cbranch_execz .LBB4_3439
.LBB4_3438:                             ;   in Loop: Header=BB4_3307 Depth=3
	v_and_b32_e32 v26, 3, v106
	v_lshrrev_b16 v109, 2, v106
	v_ffbh_u32_e32 v27, v26
	v_and_b32_e32 v109, 31, v109
	v_min_u32_e32 v27, 32, v27
	v_cmp_eq_u32_e32 vcc_lo, 0, v109
	v_subrev_nc_u32_e32 v111, 29, v27
	v_sub_nc_u32_e32 v27, 30, v27
	v_lshlrev_b32_e32 v111, v111, v106
	v_lshlrev_b32_e32 v106, 24, v106
	v_cndmask_b32_e32 v27, v109, v27, vcc_lo
	v_and_b32_e32 v111, 3, v111
	v_and_b32_e32 v106, 0x80000000, v106
	v_lshl_add_u32 v27, v27, 23, 0x37800000
	v_cndmask_b32_e32 v26, v26, v111, vcc_lo
	v_lshlrev_b32_e32 v26, 21, v26
	v_or3_b32 v109, v106, v27, v26
.LBB4_3439:                             ;   in Loop: Header=BB4_3307 Depth=3
	s_or_b32 exec_lo, exec_lo, s19
	v_mul_f32_e32 v109, v110, v109
	v_mov_b32_e32 v106, 0x80
	s_mov_b32 s19, exec_lo
	v_and_b32_e32 v26, 0x7f800000, v109
	v_cmpx_ne_u32_e32 0x7f800000, v26
	s_cbranch_execz .LBB4_3447
; %bb.3440:                             ;   in Loop: Header=BB4_3307 Depth=3
	v_mov_b32_e32 v106, 0
	s_mov_b32 s23, exec_lo
	v_cmpx_ne_u32_e32 0, v109
	s_cbranch_execz .LBB4_3446
; %bb.3441:                             ;   in Loop: Header=BB4_3307 Depth=3
	v_bfe_u32 v26, v109, 23, 8
	v_and_b32_e32 v27, 0x7fffff, v109
	v_sub_nc_u32_e32 v106, 0x70, v26
	v_cmp_gt_u32_e32 vcc_lo, 0x71, v26
	v_or_b32_e32 v110, 0x800000, v27
	v_cndmask_b32_e32 v106, 0, v106, vcc_lo
	v_cmp_eq_u32_e32 vcc_lo, 0, v26
	v_add_nc_u32_e32 v26, 0xffffff91, v26
	v_cndmask_b32_e64 v106, v106, 0x6f, vcc_lo
	v_cndmask_b32_e32 v27, v110, v27, vcc_lo
	v_cndmask_b32_e64 v26, v26, 0xffffff92, vcc_lo
	v_lshl_add_u32 v111, 0x200000, v106, -1
	v_lshrrev_b32_e32 v110, v106, v27
	v_lshlrev_b32_e64 v121, v106, 0x100000
	v_and_b32_e32 v27, v111, v27
	v_bfe_u32 v120, v110, 21, 1
	v_cmp_eq_u32_e64 s16, v27, v121
	v_add_nc_u32_e32 v111, -1, v120
	v_lshrrev_b32_e32 v120, 23, v110
	v_cndmask_b32_e64 v27, 0, v111, s16
	v_add_nc_u32_e32 v111, v106, v26
	v_xor_b32_e32 v120, 1, v120
	s_mov_b32 s16, exec_lo
                                        ; implicit-def: $vgpr106
	v_add_nc_u32_e32 v27, v27, v110
	v_and_b32_e32 v26, 0x1fffff, v27
	v_add_nc_u32_e32 v110, v26, v110
	v_cmpx_ne_u32_e64 v111, v120
	s_xor_b32 s16, exec_lo, s16
; %bb.3442:                             ;   in Loop: Header=BB4_3307 Depth=3
	v_cmp_lt_u32_e32 vcc_lo, 0xffffff, v110
	v_sub_nc_u32_e32 v26, v111, v120
	v_cndmask_b32_e64 v27, 0, 1, vcc_lo
	v_add_co_ci_u32_e64 v106, null, 0, v26, vcc_lo
	v_lshrrev_b32_e32 v110, v27, v110
; %bb.3443:                             ;   in Loop: Header=BB4_3307 Depth=3
	s_andn2_saveexec_b32 s16, s16
; %bb.3444:                             ;   in Loop: Header=BB4_3307 Depth=3
	v_bfe_u32 v106, v110, 23, 1
; %bb.3445:                             ;   in Loop: Header=BB4_3307 Depth=3
	s_or_b32 exec_lo, exec_lo, s16
	v_lshrrev_b32_e32 v26, 21, v110
	v_cmp_gt_i32_e32 vcc_lo, 32, v106
	v_min_i32_e32 v27, 31, v106
	v_and_b32_sdwa v109, v109, v116 dst_sel:DWORD dst_unused:UNUSED_PAD src0_sel:BYTE_3 src1_sel:DWORD
	v_cndmask_b32_e32 v26, 3, v26, vcc_lo
	v_lshlrev_b32_e32 v27, 2, v27
	v_and_b32_e32 v110, 3, v26
	v_or_b32_e32 v26, v106, v26
	v_or3_b32 v27, v27, v109, v110
	v_cmp_ne_u32_e32 vcc_lo, 0, v26
	v_cndmask_b32_e32 v106, 0, v27, vcc_lo
.LBB4_3446:                             ;   in Loop: Header=BB4_3307 Depth=3
	s_or_b32 exec_lo, exec_lo, s23
.LBB4_3447:                             ;   in Loop: Header=BB4_3307 Depth=3
	s_or_b32 exec_lo, exec_lo, s19
	v_cmp_gt_i16_sdwa s19, v108, v115 src0_sel:BYTE_0 src1_sel:DWORD
	s_mov_b32 s16, 0
	s_and_saveexec_b32 s23, s19
	s_xor_b32 s19, exec_lo, s23
	s_cbranch_execz .LBB4_3653
; %bb.3448:                             ;   in Loop: Header=BB4_3307 Depth=3
	v_cmp_eq_u16_sdwa s72, v108, v116 src0_sel:BYTE_0 src1_sel:DWORD
	s_mov_b32 s16, -1
	s_and_saveexec_b32 s23, s72
; %bb.3449:                             ;   in Loop: Header=BB4_3307 Depth=3
	s_xor_b32 s16, exec_lo, -1
; %bb.3450:                             ;   in Loop: Header=BB4_3307 Depth=3
	s_or_b32 exec_lo, exec_lo, s23
	s_and_b32 s16, s16, exec_lo
	s_or_saveexec_b32 s19, s19
	v_mov_b32_e32 v109, 0x7f800001
	s_xor_b32 exec_lo, exec_lo, s19
	s_cbranch_execnz .LBB4_3654
.LBB4_3451:                             ;   in Loop: Header=BB4_3307 Depth=3
	s_or_b32 exec_lo, exec_lo, s19
	s_and_saveexec_b32 s19, s16
	s_cbranch_execz .LBB4_3453
.LBB4_3452:                             ;   in Loop: Header=BB4_3307 Depth=3
	v_and_b32_e32 v26, 3, v108
	v_lshrrev_b16 v109, 2, v108
	v_ffbh_u32_e32 v27, v26
	v_and_b32_e32 v109, 31, v109
	v_min_u32_e32 v27, 32, v27
	v_cmp_eq_u32_e32 vcc_lo, 0, v109
	v_subrev_nc_u32_e32 v110, 29, v27
	v_sub_nc_u32_e32 v27, 30, v27
	v_lshlrev_b32_e32 v110, v110, v108
	v_lshlrev_b32_e32 v108, 24, v108
	v_cndmask_b32_e32 v27, v109, v27, vcc_lo
	v_and_b32_e32 v110, 3, v110
	v_and_b32_e32 v108, 0x80000000, v108
	v_lshl_add_u32 v27, v27, 23, 0x37800000
	v_cndmask_b32_e32 v26, v26, v110, vcc_lo
	v_lshlrev_b32_e32 v26, 21, v26
	v_or3_b32 v109, v108, v27, v26
.LBB4_3453:                             ;   in Loop: Header=BB4_3307 Depth=3
	s_or_b32 exec_lo, exec_lo, s19
	s_waitcnt vmcnt(8) lgkmcnt(8)
	v_cmp_gt_i16_sdwa s19, v107, v115 src0_sel:BYTE_0 src1_sel:DWORD
	s_mov_b32 s16, 0
	s_and_saveexec_b32 s23, s19
	s_xor_b32 s19, exec_lo, s23
	s_cbranch_execz .LBB4_3655
; %bb.3454:                             ;   in Loop: Header=BB4_3307 Depth=3
	v_cmp_eq_u16_sdwa s72, v107, v116 src0_sel:BYTE_0 src1_sel:DWORD
	s_mov_b32 s16, -1
	s_and_saveexec_b32 s23, s72
; %bb.3455:                             ;   in Loop: Header=BB4_3307 Depth=3
	s_xor_b32 s16, exec_lo, -1
; %bb.3456:                             ;   in Loop: Header=BB4_3307 Depth=3
	s_or_b32 exec_lo, exec_lo, s23
	s_and_b32 s16, s16, exec_lo
	s_or_saveexec_b32 s19, s19
	v_mov_b32_e32 v108, 0x7f800001
	s_xor_b32 exec_lo, exec_lo, s19
	s_cbranch_execnz .LBB4_3656
.LBB4_3457:                             ;   in Loop: Header=BB4_3307 Depth=3
	s_or_b32 exec_lo, exec_lo, s19
	s_and_saveexec_b32 s19, s16
	s_cbranch_execz .LBB4_3459
.LBB4_3458:                             ;   in Loop: Header=BB4_3307 Depth=3
	v_and_b32_e32 v26, 3, v107
	v_lshrrev_b16 v108, 2, v107
	v_ffbh_u32_e32 v27, v26
	v_and_b32_e32 v108, 31, v108
	v_min_u32_e32 v27, 32, v27
	v_cmp_eq_u32_e32 vcc_lo, 0, v108
	v_subrev_nc_u32_e32 v110, 29, v27
	v_sub_nc_u32_e32 v27, 30, v27
	v_lshlrev_b32_e32 v110, v110, v107
	v_lshlrev_b32_e32 v107, 24, v107
	v_cndmask_b32_e32 v27, v108, v27, vcc_lo
	v_and_b32_e32 v110, 3, v110
	v_and_b32_e32 v107, 0x80000000, v107
	v_lshl_add_u32 v27, v27, 23, 0x37800000
	v_cndmask_b32_e32 v26, v26, v110, vcc_lo
	v_lshlrev_b32_e32 v26, 21, v26
	v_or3_b32 v108, v107, v27, v26
.LBB4_3459:                             ;   in Loop: Header=BB4_3307 Depth=3
	s_or_b32 exec_lo, exec_lo, s19
	v_mul_f32_e32 v108, v109, v108
	v_mov_b32_e32 v107, 0x80
	s_mov_b32 s19, exec_lo
	v_and_b32_e32 v26, 0x7f800000, v108
	v_cmpx_ne_u32_e32 0x7f800000, v26
	s_cbranch_execz .LBB4_3467
; %bb.3460:                             ;   in Loop: Header=BB4_3307 Depth=3
	v_mov_b32_e32 v107, 0
	s_mov_b32 s23, exec_lo
	v_cmpx_ne_u32_e32 0, v108
	s_cbranch_execz .LBB4_3466
; %bb.3461:                             ;   in Loop: Header=BB4_3307 Depth=3
	v_bfe_u32 v26, v108, 23, 8
	v_and_b32_e32 v27, 0x7fffff, v108
	v_sub_nc_u32_e32 v107, 0x70, v26
	v_cmp_gt_u32_e32 vcc_lo, 0x71, v26
	v_or_b32_e32 v109, 0x800000, v27
	v_cndmask_b32_e32 v107, 0, v107, vcc_lo
	v_cmp_eq_u32_e32 vcc_lo, 0, v26
	v_add_nc_u32_e32 v26, 0xffffff91, v26
	v_cndmask_b32_e64 v107, v107, 0x6f, vcc_lo
	v_cndmask_b32_e32 v27, v109, v27, vcc_lo
	v_cndmask_b32_e64 v26, v26, 0xffffff92, vcc_lo
	v_lshl_add_u32 v110, 0x200000, v107, -1
	v_lshrrev_b32_e32 v109, v107, v27
	v_lshlrev_b32_e64 v120, v107, 0x100000
	v_and_b32_e32 v27, v110, v27
	v_bfe_u32 v111, v109, 21, 1
	v_cmp_eq_u32_e64 s16, v27, v120
	v_add_nc_u32_e32 v110, -1, v111
	v_lshrrev_b32_e32 v111, 23, v109
	v_cndmask_b32_e64 v27, 0, v110, s16
	v_add_nc_u32_e32 v110, v107, v26
	v_xor_b32_e32 v111, 1, v111
	s_mov_b32 s16, exec_lo
                                        ; implicit-def: $vgpr107
	v_add_nc_u32_e32 v27, v27, v109
	v_and_b32_e32 v26, 0x1fffff, v27
	v_add_nc_u32_e32 v109, v26, v109
	v_cmpx_ne_u32_e64 v110, v111
	s_xor_b32 s16, exec_lo, s16
; %bb.3462:                             ;   in Loop: Header=BB4_3307 Depth=3
	v_cmp_lt_u32_e32 vcc_lo, 0xffffff, v109
	v_sub_nc_u32_e32 v26, v110, v111
	v_cndmask_b32_e64 v27, 0, 1, vcc_lo
	v_add_co_ci_u32_e64 v107, null, 0, v26, vcc_lo
	v_lshrrev_b32_e32 v109, v27, v109
; %bb.3463:                             ;   in Loop: Header=BB4_3307 Depth=3
	s_andn2_saveexec_b32 s16, s16
; %bb.3464:                             ;   in Loop: Header=BB4_3307 Depth=3
	v_bfe_u32 v107, v109, 23, 1
; %bb.3465:                             ;   in Loop: Header=BB4_3307 Depth=3
	s_or_b32 exec_lo, exec_lo, s16
	v_lshrrev_b32_e32 v26, 21, v109
	v_cmp_gt_i32_e32 vcc_lo, 32, v107
	v_min_i32_e32 v27, 31, v107
	v_and_b32_sdwa v108, v108, v116 dst_sel:DWORD dst_unused:UNUSED_PAD src0_sel:BYTE_3 src1_sel:DWORD
	v_cndmask_b32_e32 v26, 3, v26, vcc_lo
	v_lshlrev_b32_e32 v27, 2, v27
	v_and_b32_e32 v109, 3, v26
	v_or_b32_e32 v26, v107, v26
	v_or3_b32 v27, v27, v108, v109
	v_cmp_ne_u32_e32 vcc_lo, 0, v26
	v_cndmask_b32_e32 v107, 0, v27, vcc_lo
.LBB4_3466:                             ;   in Loop: Header=BB4_3307 Depth=3
	s_or_b32 exec_lo, exec_lo, s23
.LBB4_3467:                             ;   in Loop: Header=BB4_3307 Depth=3
	s_or_b32 exec_lo, exec_lo, s19
	v_cmp_gt_i16_sdwa s19, v105, v115 src0_sel:BYTE_0 src1_sel:DWORD
	s_mov_b32 s16, 0
	s_and_saveexec_b32 s23, s19
	s_xor_b32 s19, exec_lo, s23
	s_cbranch_execz .LBB4_3657
; %bb.3468:                             ;   in Loop: Header=BB4_3307 Depth=3
	v_cmp_eq_u16_sdwa s72, v105, v116 src0_sel:BYTE_0 src1_sel:DWORD
	s_mov_b32 s16, -1
	s_and_saveexec_b32 s23, s72
; %bb.3469:                             ;   in Loop: Header=BB4_3307 Depth=3
	s_xor_b32 s16, exec_lo, -1
; %bb.3470:                             ;   in Loop: Header=BB4_3307 Depth=3
	s_or_b32 exec_lo, exec_lo, s23
	s_and_b32 s16, s16, exec_lo
	s_or_saveexec_b32 s19, s19
	v_mov_b32_e32 v108, 0x7f800001
	s_xor_b32 exec_lo, exec_lo, s19
	s_cbranch_execnz .LBB4_3658
.LBB4_3471:                             ;   in Loop: Header=BB4_3307 Depth=3
	s_or_b32 exec_lo, exec_lo, s19
	s_and_saveexec_b32 s19, s16
	s_cbranch_execz .LBB4_3473
.LBB4_3472:                             ;   in Loop: Header=BB4_3307 Depth=3
	v_and_b32_e32 v26, 3, v105
	v_lshrrev_b16 v108, 2, v105
	v_ffbh_u32_e32 v27, v26
	v_and_b32_e32 v108, 31, v108
	v_min_u32_e32 v27, 32, v27
	v_cmp_eq_u32_e32 vcc_lo, 0, v108
	v_subrev_nc_u32_e32 v109, 29, v27
	v_sub_nc_u32_e32 v27, 30, v27
	v_lshlrev_b32_e32 v109, v109, v105
	v_lshlrev_b32_e32 v105, 24, v105
	v_cndmask_b32_e32 v27, v108, v27, vcc_lo
	v_and_b32_e32 v109, 3, v109
	v_and_b32_e32 v105, 0x80000000, v105
	v_lshl_add_u32 v27, v27, 23, 0x37800000
	v_cndmask_b32_e32 v26, v26, v109, vcc_lo
	v_lshlrev_b32_e32 v26, 21, v26
	v_or3_b32 v108, v105, v27, v26
.LBB4_3473:                             ;   in Loop: Header=BB4_3307 Depth=3
	s_or_b32 exec_lo, exec_lo, s19
	s_waitcnt vmcnt(7) lgkmcnt(7)
	v_cmp_gt_i16_sdwa s19, v104, v115 src0_sel:BYTE_0 src1_sel:DWORD
	s_mov_b32 s16, 0
	s_and_saveexec_b32 s23, s19
	s_xor_b32 s19, exec_lo, s23
	s_cbranch_execz .LBB4_3659
; %bb.3474:                             ;   in Loop: Header=BB4_3307 Depth=3
	v_cmp_eq_u16_sdwa s72, v104, v116 src0_sel:BYTE_0 src1_sel:DWORD
	s_mov_b32 s16, -1
	s_and_saveexec_b32 s23, s72
; %bb.3475:                             ;   in Loop: Header=BB4_3307 Depth=3
	s_xor_b32 s16, exec_lo, -1
; %bb.3476:                             ;   in Loop: Header=BB4_3307 Depth=3
	s_or_b32 exec_lo, exec_lo, s23
	s_and_b32 s16, s16, exec_lo
	s_or_saveexec_b32 s19, s19
	v_mov_b32_e32 v105, 0x7f800001
	s_xor_b32 exec_lo, exec_lo, s19
	s_cbranch_execnz .LBB4_3660
.LBB4_3477:                             ;   in Loop: Header=BB4_3307 Depth=3
	s_or_b32 exec_lo, exec_lo, s19
	s_and_saveexec_b32 s19, s16
	s_cbranch_execz .LBB4_3479
.LBB4_3478:                             ;   in Loop: Header=BB4_3307 Depth=3
	v_and_b32_e32 v26, 3, v104
	v_lshrrev_b16 v105, 2, v104
	v_ffbh_u32_e32 v27, v26
	v_and_b32_e32 v105, 31, v105
	v_min_u32_e32 v27, 32, v27
	v_cmp_eq_u32_e32 vcc_lo, 0, v105
	v_subrev_nc_u32_e32 v109, 29, v27
	v_sub_nc_u32_e32 v27, 30, v27
	v_lshlrev_b32_e32 v109, v109, v104
	v_lshlrev_b32_e32 v104, 24, v104
	v_cndmask_b32_e32 v27, v105, v27, vcc_lo
	v_and_b32_e32 v109, 3, v109
	v_and_b32_e32 v104, 0x80000000, v104
	v_lshl_add_u32 v27, v27, 23, 0x37800000
	v_cndmask_b32_e32 v26, v26, v109, vcc_lo
	v_lshlrev_b32_e32 v26, 21, v26
	v_or3_b32 v105, v104, v27, v26
.LBB4_3479:                             ;   in Loop: Header=BB4_3307 Depth=3
	s_or_b32 exec_lo, exec_lo, s19
	v_mul_f32_e32 v105, v108, v105
	v_mov_b32_e32 v104, 0x80
	s_mov_b32 s19, exec_lo
	v_and_b32_e32 v26, 0x7f800000, v105
	v_cmpx_ne_u32_e32 0x7f800000, v26
	s_cbranch_execz .LBB4_3487
; %bb.3480:                             ;   in Loop: Header=BB4_3307 Depth=3
	v_mov_b32_e32 v104, 0
	s_mov_b32 s23, exec_lo
	v_cmpx_ne_u32_e32 0, v105
	s_cbranch_execz .LBB4_3486
; %bb.3481:                             ;   in Loop: Header=BB4_3307 Depth=3
	v_bfe_u32 v26, v105, 23, 8
	v_and_b32_e32 v27, 0x7fffff, v105
	v_sub_nc_u32_e32 v104, 0x70, v26
	v_cmp_gt_u32_e32 vcc_lo, 0x71, v26
	v_or_b32_e32 v108, 0x800000, v27
	v_cndmask_b32_e32 v104, 0, v104, vcc_lo
	v_cmp_eq_u32_e32 vcc_lo, 0, v26
	v_add_nc_u32_e32 v26, 0xffffff91, v26
	v_cndmask_b32_e64 v104, v104, 0x6f, vcc_lo
	v_cndmask_b32_e32 v27, v108, v27, vcc_lo
	v_cndmask_b32_e64 v26, v26, 0xffffff92, vcc_lo
	v_lshl_add_u32 v109, 0x200000, v104, -1
	v_lshrrev_b32_e32 v108, v104, v27
	v_lshlrev_b32_e64 v111, v104, 0x100000
	v_and_b32_e32 v27, v109, v27
	v_bfe_u32 v110, v108, 21, 1
	v_cmp_eq_u32_e64 s16, v27, v111
	v_add_nc_u32_e32 v109, -1, v110
	v_lshrrev_b32_e32 v110, 23, v108
	v_cndmask_b32_e64 v27, 0, v109, s16
	v_add_nc_u32_e32 v109, v104, v26
	v_xor_b32_e32 v110, 1, v110
	s_mov_b32 s16, exec_lo
                                        ; implicit-def: $vgpr104
	v_add_nc_u32_e32 v27, v27, v108
	v_and_b32_e32 v26, 0x1fffff, v27
	v_add_nc_u32_e32 v108, v26, v108
	v_cmpx_ne_u32_e64 v109, v110
	s_xor_b32 s16, exec_lo, s16
; %bb.3482:                             ;   in Loop: Header=BB4_3307 Depth=3
	v_cmp_lt_u32_e32 vcc_lo, 0xffffff, v108
	v_sub_nc_u32_e32 v26, v109, v110
	v_cndmask_b32_e64 v27, 0, 1, vcc_lo
	v_add_co_ci_u32_e64 v104, null, 0, v26, vcc_lo
	v_lshrrev_b32_e32 v108, v27, v108
; %bb.3483:                             ;   in Loop: Header=BB4_3307 Depth=3
	s_andn2_saveexec_b32 s16, s16
; %bb.3484:                             ;   in Loop: Header=BB4_3307 Depth=3
	v_bfe_u32 v104, v108, 23, 1
; %bb.3485:                             ;   in Loop: Header=BB4_3307 Depth=3
	s_or_b32 exec_lo, exec_lo, s16
	v_lshrrev_b32_e32 v26, 21, v108
	v_cmp_gt_i32_e32 vcc_lo, 32, v104
	v_min_i32_e32 v27, 31, v104
	v_and_b32_sdwa v105, v105, v116 dst_sel:DWORD dst_unused:UNUSED_PAD src0_sel:BYTE_3 src1_sel:DWORD
	v_cndmask_b32_e32 v26, 3, v26, vcc_lo
	v_lshlrev_b32_e32 v27, 2, v27
	v_and_b32_e32 v108, 3, v26
	v_or_b32_e32 v26, v104, v26
	v_or3_b32 v27, v27, v105, v108
	v_cmp_ne_u32_e32 vcc_lo, 0, v26
	v_cndmask_b32_e32 v104, 0, v27, vcc_lo
.LBB4_3486:                             ;   in Loop: Header=BB4_3307 Depth=3
	s_or_b32 exec_lo, exec_lo, s23
.LBB4_3487:                             ;   in Loop: Header=BB4_3307 Depth=3
	s_or_b32 exec_lo, exec_lo, s19
	v_cmp_gt_i16_sdwa s19, v94, v115 src0_sel:BYTE_0 src1_sel:DWORD
	s_mov_b32 s16, 0
	s_and_saveexec_b32 s23, s19
	s_xor_b32 s19, exec_lo, s23
	s_cbranch_execz .LBB4_3661
; %bb.3488:                             ;   in Loop: Header=BB4_3307 Depth=3
	v_cmp_eq_u16_sdwa s72, v94, v116 src0_sel:BYTE_0 src1_sel:DWORD
	s_mov_b32 s16, -1
	s_and_saveexec_b32 s23, s72
; %bb.3489:                             ;   in Loop: Header=BB4_3307 Depth=3
	s_xor_b32 s16, exec_lo, -1
; %bb.3490:                             ;   in Loop: Header=BB4_3307 Depth=3
	s_or_b32 exec_lo, exec_lo, s23
	s_and_b32 s16, s16, exec_lo
	s_or_saveexec_b32 s19, s19
	v_mov_b32_e32 v105, 0x7f800001
	s_xor_b32 exec_lo, exec_lo, s19
	s_cbranch_execnz .LBB4_3662
.LBB4_3491:                             ;   in Loop: Header=BB4_3307 Depth=3
	s_or_b32 exec_lo, exec_lo, s19
	s_and_saveexec_b32 s19, s16
	s_cbranch_execz .LBB4_3493
.LBB4_3492:                             ;   in Loop: Header=BB4_3307 Depth=3
	v_and_b32_e32 v26, 3, v94
	v_lshrrev_b16 v105, 2, v94
	v_ffbh_u32_e32 v27, v26
	v_and_b32_e32 v105, 31, v105
	v_min_u32_e32 v27, 32, v27
	v_cmp_eq_u32_e32 vcc_lo, 0, v105
	v_subrev_nc_u32_e32 v108, 29, v27
	v_sub_nc_u32_e32 v27, 30, v27
	v_lshlrev_b32_e32 v108, v108, v94
	v_lshlrev_b32_e32 v94, 24, v94
	v_cndmask_b32_e32 v27, v105, v27, vcc_lo
	v_and_b32_e32 v108, 3, v108
	v_and_b32_e32 v94, 0x80000000, v94
	v_lshl_add_u32 v27, v27, 23, 0x37800000
	v_cndmask_b32_e32 v26, v26, v108, vcc_lo
	v_lshlrev_b32_e32 v26, 21, v26
	v_or3_b32 v105, v94, v27, v26
.LBB4_3493:                             ;   in Loop: Header=BB4_3307 Depth=3
	s_or_b32 exec_lo, exec_lo, s19
	s_waitcnt vmcnt(6) lgkmcnt(6)
	v_cmp_gt_i16_sdwa s19, v93, v115 src0_sel:BYTE_0 src1_sel:DWORD
	s_mov_b32 s16, 0
	s_and_saveexec_b32 s23, s19
	s_xor_b32 s19, exec_lo, s23
	s_cbranch_execz .LBB4_3663
; %bb.3494:                             ;   in Loop: Header=BB4_3307 Depth=3
	v_cmp_eq_u16_sdwa s72, v93, v116 src0_sel:BYTE_0 src1_sel:DWORD
	s_mov_b32 s16, -1
	s_and_saveexec_b32 s23, s72
; %bb.3495:                             ;   in Loop: Header=BB4_3307 Depth=3
	s_xor_b32 s16, exec_lo, -1
; %bb.3496:                             ;   in Loop: Header=BB4_3307 Depth=3
	s_or_b32 exec_lo, exec_lo, s23
	s_and_b32 s16, s16, exec_lo
	s_or_saveexec_b32 s19, s19
	v_mov_b32_e32 v94, 0x7f800001
	s_xor_b32 exec_lo, exec_lo, s19
	s_cbranch_execnz .LBB4_3664
.LBB4_3497:                             ;   in Loop: Header=BB4_3307 Depth=3
	s_or_b32 exec_lo, exec_lo, s19
	s_and_saveexec_b32 s19, s16
	s_cbranch_execz .LBB4_3499
.LBB4_3498:                             ;   in Loop: Header=BB4_3307 Depth=3
	v_and_b32_e32 v26, 3, v93
	v_lshrrev_b16 v94, 2, v93
	v_ffbh_u32_e32 v27, v26
	v_and_b32_e32 v94, 31, v94
	v_min_u32_e32 v27, 32, v27
	v_cmp_eq_u32_e32 vcc_lo, 0, v94
	v_subrev_nc_u32_e32 v108, 29, v27
	v_sub_nc_u32_e32 v27, 30, v27
	v_lshlrev_b32_e32 v108, v108, v93
	v_lshlrev_b32_e32 v93, 24, v93
	v_cndmask_b32_e32 v27, v94, v27, vcc_lo
	v_and_b32_e32 v108, 3, v108
	v_and_b32_e32 v93, 0x80000000, v93
	v_lshl_add_u32 v27, v27, 23, 0x37800000
	v_cndmask_b32_e32 v26, v26, v108, vcc_lo
	v_lshlrev_b32_e32 v26, 21, v26
	v_or3_b32 v94, v93, v27, v26
.LBB4_3499:                             ;   in Loop: Header=BB4_3307 Depth=3
	s_or_b32 exec_lo, exec_lo, s19
	v_mul_f32_e32 v94, v105, v94
	v_mov_b32_e32 v93, 0x80
	s_mov_b32 s19, exec_lo
	v_and_b32_e32 v26, 0x7f800000, v94
	v_cmpx_ne_u32_e32 0x7f800000, v26
	s_cbranch_execz .LBB4_3507
; %bb.3500:                             ;   in Loop: Header=BB4_3307 Depth=3
	v_mov_b32_e32 v93, 0
	s_mov_b32 s23, exec_lo
	v_cmpx_ne_u32_e32 0, v94
	s_cbranch_execz .LBB4_3506
; %bb.3501:                             ;   in Loop: Header=BB4_3307 Depth=3
	v_bfe_u32 v26, v94, 23, 8
	v_and_b32_e32 v27, 0x7fffff, v94
	v_sub_nc_u32_e32 v93, 0x70, v26
	v_cmp_gt_u32_e32 vcc_lo, 0x71, v26
	v_or_b32_e32 v105, 0x800000, v27
	v_cndmask_b32_e32 v93, 0, v93, vcc_lo
	v_cmp_eq_u32_e32 vcc_lo, 0, v26
	v_add_nc_u32_e32 v26, 0xffffff91, v26
	v_cndmask_b32_e64 v93, v93, 0x6f, vcc_lo
	v_cndmask_b32_e32 v27, v105, v27, vcc_lo
	v_cndmask_b32_e64 v26, v26, 0xffffff92, vcc_lo
	v_lshl_add_u32 v108, 0x200000, v93, -1
	v_lshrrev_b32_e32 v105, v93, v27
	v_lshlrev_b32_e64 v110, v93, 0x100000
	v_and_b32_e32 v27, v108, v27
	v_bfe_u32 v109, v105, 21, 1
	v_cmp_eq_u32_e64 s16, v27, v110
	v_add_nc_u32_e32 v108, -1, v109
	v_lshrrev_b32_e32 v109, 23, v105
	v_cndmask_b32_e64 v27, 0, v108, s16
	v_add_nc_u32_e32 v108, v93, v26
	v_xor_b32_e32 v109, 1, v109
	s_mov_b32 s16, exec_lo
                                        ; implicit-def: $vgpr93
	v_add_nc_u32_e32 v27, v27, v105
	v_and_b32_e32 v26, 0x1fffff, v27
	v_add_nc_u32_e32 v105, v26, v105
	v_cmpx_ne_u32_e64 v108, v109
	s_xor_b32 s16, exec_lo, s16
; %bb.3502:                             ;   in Loop: Header=BB4_3307 Depth=3
	v_cmp_lt_u32_e32 vcc_lo, 0xffffff, v105
	v_sub_nc_u32_e32 v26, v108, v109
	v_cndmask_b32_e64 v27, 0, 1, vcc_lo
	v_add_co_ci_u32_e64 v93, null, 0, v26, vcc_lo
	v_lshrrev_b32_e32 v105, v27, v105
; %bb.3503:                             ;   in Loop: Header=BB4_3307 Depth=3
	s_andn2_saveexec_b32 s16, s16
; %bb.3504:                             ;   in Loop: Header=BB4_3307 Depth=3
	v_bfe_u32 v93, v105, 23, 1
; %bb.3505:                             ;   in Loop: Header=BB4_3307 Depth=3
	s_or_b32 exec_lo, exec_lo, s16
	v_lshrrev_b32_e32 v26, 21, v105
	v_cmp_gt_i32_e32 vcc_lo, 32, v93
	v_min_i32_e32 v27, 31, v93
	v_and_b32_sdwa v94, v94, v116 dst_sel:DWORD dst_unused:UNUSED_PAD src0_sel:BYTE_3 src1_sel:DWORD
	v_cndmask_b32_e32 v26, 3, v26, vcc_lo
	v_lshlrev_b32_e32 v27, 2, v27
	v_and_b32_e32 v105, 3, v26
	v_or_b32_e32 v26, v93, v26
	v_or3_b32 v27, v27, v94, v105
	v_cmp_ne_u32_e32 vcc_lo, 0, v26
	v_cndmask_b32_e32 v93, 0, v27, vcc_lo
.LBB4_3506:                             ;   in Loop: Header=BB4_3307 Depth=3
	s_or_b32 exec_lo, exec_lo, s23
.LBB4_3507:                             ;   in Loop: Header=BB4_3307 Depth=3
	s_or_b32 exec_lo, exec_lo, s19
	v_cmp_gt_i16_sdwa s19, v91, v115 src0_sel:BYTE_0 src1_sel:DWORD
	s_mov_b32 s16, 0
	s_and_saveexec_b32 s23, s19
	s_xor_b32 s19, exec_lo, s23
	s_cbranch_execz .LBB4_3665
; %bb.3508:                             ;   in Loop: Header=BB4_3307 Depth=3
	v_cmp_eq_u16_sdwa s72, v91, v116 src0_sel:BYTE_0 src1_sel:DWORD
	s_mov_b32 s16, -1
	s_and_saveexec_b32 s23, s72
; %bb.3509:                             ;   in Loop: Header=BB4_3307 Depth=3
	s_xor_b32 s16, exec_lo, -1
; %bb.3510:                             ;   in Loop: Header=BB4_3307 Depth=3
	s_or_b32 exec_lo, exec_lo, s23
	s_and_b32 s16, s16, exec_lo
	s_or_saveexec_b32 s19, s19
	v_mov_b32_e32 v94, 0x7f800001
	s_xor_b32 exec_lo, exec_lo, s19
	s_cbranch_execnz .LBB4_3666
.LBB4_3511:                             ;   in Loop: Header=BB4_3307 Depth=3
	s_or_b32 exec_lo, exec_lo, s19
	s_and_saveexec_b32 s19, s16
	s_cbranch_execz .LBB4_3513
.LBB4_3512:                             ;   in Loop: Header=BB4_3307 Depth=3
	v_and_b32_e32 v26, 3, v91
	v_lshrrev_b16 v94, 2, v91
	v_ffbh_u32_e32 v27, v26
	v_and_b32_e32 v94, 31, v94
	v_min_u32_e32 v27, 32, v27
	v_cmp_eq_u32_e32 vcc_lo, 0, v94
	v_subrev_nc_u32_e32 v105, 29, v27
	v_sub_nc_u32_e32 v27, 30, v27
	v_lshlrev_b32_e32 v105, v105, v91
	v_lshlrev_b32_e32 v91, 24, v91
	v_cndmask_b32_e32 v27, v94, v27, vcc_lo
	v_and_b32_e32 v105, 3, v105
	v_and_b32_e32 v91, 0x80000000, v91
	v_lshl_add_u32 v27, v27, 23, 0x37800000
	v_cndmask_b32_e32 v26, v26, v105, vcc_lo
	v_lshlrev_b32_e32 v26, 21, v26
	v_or3_b32 v94, v91, v27, v26
.LBB4_3513:                             ;   in Loop: Header=BB4_3307 Depth=3
	s_or_b32 exec_lo, exec_lo, s19
	s_waitcnt vmcnt(5) lgkmcnt(5)
	v_cmp_gt_i16_sdwa s19, v90, v115 src0_sel:BYTE_0 src1_sel:DWORD
	s_mov_b32 s16, 0
	s_and_saveexec_b32 s23, s19
	s_xor_b32 s19, exec_lo, s23
	s_cbranch_execz .LBB4_3667
; %bb.3514:                             ;   in Loop: Header=BB4_3307 Depth=3
	v_cmp_eq_u16_sdwa s72, v90, v116 src0_sel:BYTE_0 src1_sel:DWORD
	s_mov_b32 s16, -1
	s_and_saveexec_b32 s23, s72
; %bb.3515:                             ;   in Loop: Header=BB4_3307 Depth=3
	s_xor_b32 s16, exec_lo, -1
; %bb.3516:                             ;   in Loop: Header=BB4_3307 Depth=3
	s_or_b32 exec_lo, exec_lo, s23
	s_and_b32 s16, s16, exec_lo
	s_or_saveexec_b32 s19, s19
	v_mov_b32_e32 v91, 0x7f800001
	s_xor_b32 exec_lo, exec_lo, s19
	s_cbranch_execnz .LBB4_3668
.LBB4_3517:                             ;   in Loop: Header=BB4_3307 Depth=3
	s_or_b32 exec_lo, exec_lo, s19
	s_and_saveexec_b32 s19, s16
	s_cbranch_execz .LBB4_3519
.LBB4_3518:                             ;   in Loop: Header=BB4_3307 Depth=3
	v_and_b32_e32 v26, 3, v90
	v_lshrrev_b16 v91, 2, v90
	v_ffbh_u32_e32 v27, v26
	v_and_b32_e32 v91, 31, v91
	v_min_u32_e32 v27, 32, v27
	v_cmp_eq_u32_e32 vcc_lo, 0, v91
	v_subrev_nc_u32_e32 v105, 29, v27
	v_sub_nc_u32_e32 v27, 30, v27
	v_lshlrev_b32_e32 v105, v105, v90
	v_lshlrev_b32_e32 v90, 24, v90
	v_cndmask_b32_e32 v27, v91, v27, vcc_lo
	v_and_b32_e32 v105, 3, v105
	v_and_b32_e32 v90, 0x80000000, v90
	v_lshl_add_u32 v27, v27, 23, 0x37800000
	v_cndmask_b32_e32 v26, v26, v105, vcc_lo
	v_lshlrev_b32_e32 v26, 21, v26
	v_or3_b32 v91, v90, v27, v26
.LBB4_3519:                             ;   in Loop: Header=BB4_3307 Depth=3
	s_or_b32 exec_lo, exec_lo, s19
	v_mul_f32_e32 v91, v94, v91
	v_mov_b32_e32 v90, 0x80
	s_mov_b32 s19, exec_lo
	v_and_b32_e32 v26, 0x7f800000, v91
	v_cmpx_ne_u32_e32 0x7f800000, v26
	s_cbranch_execz .LBB4_3527
; %bb.3520:                             ;   in Loop: Header=BB4_3307 Depth=3
	v_mov_b32_e32 v90, 0
	s_mov_b32 s23, exec_lo
	v_cmpx_ne_u32_e32 0, v91
	s_cbranch_execz .LBB4_3526
; %bb.3521:                             ;   in Loop: Header=BB4_3307 Depth=3
	v_bfe_u32 v26, v91, 23, 8
	v_and_b32_e32 v27, 0x7fffff, v91
	v_sub_nc_u32_e32 v90, 0x70, v26
	v_cmp_gt_u32_e32 vcc_lo, 0x71, v26
	v_or_b32_e32 v94, 0x800000, v27
	v_cndmask_b32_e32 v90, 0, v90, vcc_lo
	v_cmp_eq_u32_e32 vcc_lo, 0, v26
	v_add_nc_u32_e32 v26, 0xffffff91, v26
	v_cndmask_b32_e64 v90, v90, 0x6f, vcc_lo
	v_cndmask_b32_e32 v27, v94, v27, vcc_lo
	v_cndmask_b32_e64 v26, v26, 0xffffff92, vcc_lo
	v_lshl_add_u32 v105, 0x200000, v90, -1
	v_lshrrev_b32_e32 v94, v90, v27
	v_lshlrev_b32_e64 v109, v90, 0x100000
	v_and_b32_e32 v27, v105, v27
	v_bfe_u32 v108, v94, 21, 1
	v_cmp_eq_u32_e64 s16, v27, v109
	v_add_nc_u32_e32 v105, -1, v108
	v_lshrrev_b32_e32 v108, 23, v94
	v_cndmask_b32_e64 v27, 0, v105, s16
	v_add_nc_u32_e32 v105, v90, v26
	v_xor_b32_e32 v108, 1, v108
	s_mov_b32 s16, exec_lo
                                        ; implicit-def: $vgpr90
	v_add_nc_u32_e32 v27, v27, v94
	v_and_b32_e32 v26, 0x1fffff, v27
	v_add_nc_u32_e32 v94, v26, v94
	v_cmpx_ne_u32_e64 v105, v108
	s_xor_b32 s16, exec_lo, s16
; %bb.3522:                             ;   in Loop: Header=BB4_3307 Depth=3
	v_cmp_lt_u32_e32 vcc_lo, 0xffffff, v94
	v_sub_nc_u32_e32 v26, v105, v108
	v_cndmask_b32_e64 v27, 0, 1, vcc_lo
	v_add_co_ci_u32_e64 v90, null, 0, v26, vcc_lo
	v_lshrrev_b32_e32 v94, v27, v94
; %bb.3523:                             ;   in Loop: Header=BB4_3307 Depth=3
	s_andn2_saveexec_b32 s16, s16
; %bb.3524:                             ;   in Loop: Header=BB4_3307 Depth=3
	v_bfe_u32 v90, v94, 23, 1
; %bb.3525:                             ;   in Loop: Header=BB4_3307 Depth=3
	s_or_b32 exec_lo, exec_lo, s16
	v_lshrrev_b32_e32 v26, 21, v94
	v_cmp_gt_i32_e32 vcc_lo, 32, v90
	v_min_i32_e32 v27, 31, v90
	v_and_b32_sdwa v91, v91, v116 dst_sel:DWORD dst_unused:UNUSED_PAD src0_sel:BYTE_3 src1_sel:DWORD
	v_cndmask_b32_e32 v26, 3, v26, vcc_lo
	v_lshlrev_b32_e32 v27, 2, v27
	v_and_b32_e32 v94, 3, v26
	v_or_b32_e32 v26, v90, v26
	v_or3_b32 v27, v27, v91, v94
	v_cmp_ne_u32_e32 vcc_lo, 0, v26
	v_cndmask_b32_e32 v90, 0, v27, vcc_lo
.LBB4_3526:                             ;   in Loop: Header=BB4_3307 Depth=3
	s_or_b32 exec_lo, exec_lo, s23
.LBB4_3527:                             ;   in Loop: Header=BB4_3307 Depth=3
	s_or_b32 exec_lo, exec_lo, s19
	v_cmp_gt_i16_sdwa s19, v88, v115 src0_sel:BYTE_0 src1_sel:DWORD
	s_mov_b32 s16, 0
	s_and_saveexec_b32 s23, s19
	s_xor_b32 s19, exec_lo, s23
	s_cbranch_execz .LBB4_3669
; %bb.3528:                             ;   in Loop: Header=BB4_3307 Depth=3
	v_cmp_eq_u16_sdwa s72, v88, v116 src0_sel:BYTE_0 src1_sel:DWORD
	s_mov_b32 s16, -1
	s_and_saveexec_b32 s23, s72
; %bb.3529:                             ;   in Loop: Header=BB4_3307 Depth=3
	s_xor_b32 s16, exec_lo, -1
; %bb.3530:                             ;   in Loop: Header=BB4_3307 Depth=3
	s_or_b32 exec_lo, exec_lo, s23
	s_and_b32 s16, s16, exec_lo
	s_or_saveexec_b32 s19, s19
	v_mov_b32_e32 v91, 0x7f800001
	s_xor_b32 exec_lo, exec_lo, s19
	s_cbranch_execnz .LBB4_3670
.LBB4_3531:                             ;   in Loop: Header=BB4_3307 Depth=3
	s_or_b32 exec_lo, exec_lo, s19
	s_and_saveexec_b32 s19, s16
	s_cbranch_execz .LBB4_3533
.LBB4_3532:                             ;   in Loop: Header=BB4_3307 Depth=3
	v_and_b32_e32 v26, 3, v88
	v_lshrrev_b16 v91, 2, v88
	v_ffbh_u32_e32 v27, v26
	v_and_b32_e32 v91, 31, v91
	v_min_u32_e32 v27, 32, v27
	v_cmp_eq_u32_e32 vcc_lo, 0, v91
	v_subrev_nc_u32_e32 v94, 29, v27
	v_sub_nc_u32_e32 v27, 30, v27
	v_lshlrev_b32_e32 v94, v94, v88
	v_lshlrev_b32_e32 v88, 24, v88
	v_cndmask_b32_e32 v27, v91, v27, vcc_lo
	v_and_b32_e32 v94, 3, v94
	v_and_b32_e32 v88, 0x80000000, v88
	v_lshl_add_u32 v27, v27, 23, 0x37800000
	v_cndmask_b32_e32 v26, v26, v94, vcc_lo
	v_lshlrev_b32_e32 v26, 21, v26
	v_or3_b32 v91, v88, v27, v26
.LBB4_3533:                             ;   in Loop: Header=BB4_3307 Depth=3
	s_or_b32 exec_lo, exec_lo, s19
	s_waitcnt vmcnt(4) lgkmcnt(4)
	v_cmp_gt_i16_sdwa s19, v99, v115 src0_sel:BYTE_0 src1_sel:DWORD
	s_mov_b32 s16, 0
	s_and_saveexec_b32 s23, s19
	s_xor_b32 s19, exec_lo, s23
	s_cbranch_execz .LBB4_3671
; %bb.3534:                             ;   in Loop: Header=BB4_3307 Depth=3
	v_cmp_eq_u16_sdwa s72, v99, v116 src0_sel:BYTE_0 src1_sel:DWORD
	s_mov_b32 s16, -1
	s_and_saveexec_b32 s23, s72
; %bb.3535:                             ;   in Loop: Header=BB4_3307 Depth=3
	s_xor_b32 s16, exec_lo, -1
; %bb.3536:                             ;   in Loop: Header=BB4_3307 Depth=3
	s_or_b32 exec_lo, exec_lo, s23
	s_and_b32 s16, s16, exec_lo
	s_or_saveexec_b32 s19, s19
	v_mov_b32_e32 v88, 0x7f800001
	s_xor_b32 exec_lo, exec_lo, s19
	s_cbranch_execnz .LBB4_3672
.LBB4_3537:                             ;   in Loop: Header=BB4_3307 Depth=3
	s_or_b32 exec_lo, exec_lo, s19
	s_and_saveexec_b32 s19, s16
	s_cbranch_execz .LBB4_3539
.LBB4_3538:                             ;   in Loop: Header=BB4_3307 Depth=3
	v_and_b32_e32 v26, 3, v99
	v_lshrrev_b16 v88, 2, v99
	v_ffbh_u32_e32 v27, v26
	v_and_b32_e32 v88, 31, v88
	v_min_u32_e32 v27, 32, v27
	v_cmp_eq_u32_e32 vcc_lo, 0, v88
	v_subrev_nc_u32_e32 v94, 29, v27
	v_sub_nc_u32_e32 v27, 30, v27
	v_lshlrev_b32_e32 v94, v94, v99
	v_lshlrev_b32_e32 v99, 24, v99
	v_cndmask_b32_e32 v27, v88, v27, vcc_lo
	v_and_b32_e32 v94, 3, v94
	v_and_b32_e32 v99, 0x80000000, v99
	v_lshl_add_u32 v27, v27, 23, 0x37800000
	v_cndmask_b32_e32 v26, v26, v94, vcc_lo
	v_lshlrev_b32_e32 v26, 21, v26
	v_or3_b32 v88, v99, v27, v26
.LBB4_3539:                             ;   in Loop: Header=BB4_3307 Depth=3
	s_or_b32 exec_lo, exec_lo, s19
	v_mul_f32_e32 v88, v91, v88
	v_mov_b32_e32 v99, 0x80
	s_mov_b32 s19, exec_lo
	v_and_b32_e32 v26, 0x7f800000, v88
	v_cmpx_ne_u32_e32 0x7f800000, v26
	s_cbranch_execz .LBB4_3547
; %bb.3540:                             ;   in Loop: Header=BB4_3307 Depth=3
	v_mov_b32_e32 v99, 0
	s_mov_b32 s23, exec_lo
	v_cmpx_ne_u32_e32 0, v88
	s_cbranch_execz .LBB4_3546
; %bb.3541:                             ;   in Loop: Header=BB4_3307 Depth=3
	v_bfe_u32 v26, v88, 23, 8
	v_and_b32_e32 v27, 0x7fffff, v88
	v_sub_nc_u32_e32 v99, 0x70, v26
	v_cmp_gt_u32_e32 vcc_lo, 0x71, v26
	v_or_b32_e32 v91, 0x800000, v27
	v_cndmask_b32_e32 v99, 0, v99, vcc_lo
	v_cmp_eq_u32_e32 vcc_lo, 0, v26
	v_add_nc_u32_e32 v26, 0xffffff91, v26
	v_cndmask_b32_e64 v99, v99, 0x6f, vcc_lo
	v_cndmask_b32_e32 v27, v91, v27, vcc_lo
	v_cndmask_b32_e64 v26, v26, 0xffffff92, vcc_lo
	v_lshl_add_u32 v94, 0x200000, v99, -1
	v_lshrrev_b32_e32 v91, v99, v27
	v_lshlrev_b32_e64 v108, v99, 0x100000
	v_and_b32_e32 v27, v94, v27
	v_bfe_u32 v105, v91, 21, 1
	v_cmp_eq_u32_e64 s16, v27, v108
	v_add_nc_u32_e32 v94, -1, v105
	v_lshrrev_b32_e32 v105, 23, v91
	v_cndmask_b32_e64 v27, 0, v94, s16
	v_add_nc_u32_e32 v94, v99, v26
	v_xor_b32_e32 v105, 1, v105
	s_mov_b32 s16, exec_lo
                                        ; implicit-def: $vgpr99
	v_add_nc_u32_e32 v27, v27, v91
	v_and_b32_e32 v26, 0x1fffff, v27
	v_add_nc_u32_e32 v91, v26, v91
	v_cmpx_ne_u32_e64 v94, v105
	s_xor_b32 s16, exec_lo, s16
; %bb.3542:                             ;   in Loop: Header=BB4_3307 Depth=3
	v_cmp_lt_u32_e32 vcc_lo, 0xffffff, v91
	v_sub_nc_u32_e32 v26, v94, v105
	v_cndmask_b32_e64 v27, 0, 1, vcc_lo
	v_add_co_ci_u32_e64 v99, null, 0, v26, vcc_lo
	v_lshrrev_b32_e32 v91, v27, v91
; %bb.3543:                             ;   in Loop: Header=BB4_3307 Depth=3
	s_andn2_saveexec_b32 s16, s16
; %bb.3544:                             ;   in Loop: Header=BB4_3307 Depth=3
	v_bfe_u32 v99, v91, 23, 1
; %bb.3545:                             ;   in Loop: Header=BB4_3307 Depth=3
	s_or_b32 exec_lo, exec_lo, s16
	v_lshrrev_b32_e32 v26, 21, v91
	v_cmp_gt_i32_e32 vcc_lo, 32, v99
	v_min_i32_e32 v27, 31, v99
	v_and_b32_sdwa v88, v88, v116 dst_sel:DWORD dst_unused:UNUSED_PAD src0_sel:BYTE_3 src1_sel:DWORD
	v_cndmask_b32_e32 v26, 3, v26, vcc_lo
	v_lshlrev_b32_e32 v27, 2, v27
	v_and_b32_e32 v91, 3, v26
	v_or_b32_e32 v26, v99, v26
	v_or3_b32 v27, v27, v88, v91
	v_cmp_ne_u32_e32 vcc_lo, 0, v26
	v_cndmask_b32_e32 v99, 0, v27, vcc_lo
.LBB4_3546:                             ;   in Loop: Header=BB4_3307 Depth=3
	s_or_b32 exec_lo, exec_lo, s23
.LBB4_3547:                             ;   in Loop: Header=BB4_3307 Depth=3
	s_or_b32 exec_lo, exec_lo, s19
	v_cmp_gt_i16_sdwa s19, v98, v115 src0_sel:BYTE_0 src1_sel:DWORD
	s_mov_b32 s16, 0
	s_and_saveexec_b32 s23, s19
	s_xor_b32 s19, exec_lo, s23
	s_cbranch_execz .LBB4_3673
; %bb.3548:                             ;   in Loop: Header=BB4_3307 Depth=3
	v_cmp_eq_u16_sdwa s72, v98, v116 src0_sel:BYTE_0 src1_sel:DWORD
	s_mov_b32 s16, -1
	s_and_saveexec_b32 s23, s72
; %bb.3549:                             ;   in Loop: Header=BB4_3307 Depth=3
	s_xor_b32 s16, exec_lo, -1
; %bb.3550:                             ;   in Loop: Header=BB4_3307 Depth=3
	s_or_b32 exec_lo, exec_lo, s23
	s_and_b32 s16, s16, exec_lo
	s_or_saveexec_b32 s19, s19
	v_mov_b32_e32 v88, 0x7f800001
	s_xor_b32 exec_lo, exec_lo, s19
	s_cbranch_execnz .LBB4_3674
.LBB4_3551:                             ;   in Loop: Header=BB4_3307 Depth=3
	s_or_b32 exec_lo, exec_lo, s19
	s_and_saveexec_b32 s19, s16
	s_cbranch_execz .LBB4_3553
.LBB4_3552:                             ;   in Loop: Header=BB4_3307 Depth=3
	v_and_b32_e32 v26, 3, v98
	v_lshrrev_b16 v88, 2, v98
	v_ffbh_u32_e32 v27, v26
	v_and_b32_e32 v88, 31, v88
	v_min_u32_e32 v27, 32, v27
	v_cmp_eq_u32_e32 vcc_lo, 0, v88
	v_subrev_nc_u32_e32 v91, 29, v27
	v_sub_nc_u32_e32 v27, 30, v27
	v_lshlrev_b32_e32 v91, v91, v98
	v_lshlrev_b32_e32 v98, 24, v98
	v_cndmask_b32_e32 v27, v88, v27, vcc_lo
	v_and_b32_e32 v91, 3, v91
	v_and_b32_e32 v98, 0x80000000, v98
	v_lshl_add_u32 v27, v27, 23, 0x37800000
	v_cndmask_b32_e32 v26, v26, v91, vcc_lo
	v_lshlrev_b32_e32 v26, 21, v26
	v_or3_b32 v88, v98, v27, v26
.LBB4_3553:                             ;   in Loop: Header=BB4_3307 Depth=3
	s_or_b32 exec_lo, exec_lo, s19
	s_waitcnt vmcnt(3) lgkmcnt(3)
	v_cmp_gt_i16_sdwa s19, v96, v115 src0_sel:BYTE_0 src1_sel:DWORD
	s_mov_b32 s16, 0
	s_and_saveexec_b32 s23, s19
	s_xor_b32 s19, exec_lo, s23
	s_cbranch_execz .LBB4_3675
; %bb.3554:                             ;   in Loop: Header=BB4_3307 Depth=3
	v_cmp_eq_u16_sdwa s72, v96, v116 src0_sel:BYTE_0 src1_sel:DWORD
	s_mov_b32 s16, -1
	s_and_saveexec_b32 s23, s72
; %bb.3555:                             ;   in Loop: Header=BB4_3307 Depth=3
	s_xor_b32 s16, exec_lo, -1
; %bb.3556:                             ;   in Loop: Header=BB4_3307 Depth=3
	s_or_b32 exec_lo, exec_lo, s23
	s_and_b32 s16, s16, exec_lo
	s_or_saveexec_b32 s19, s19
	v_mov_b32_e32 v98, 0x7f800001
	s_xor_b32 exec_lo, exec_lo, s19
	s_cbranch_execnz .LBB4_3676
.LBB4_3557:                             ;   in Loop: Header=BB4_3307 Depth=3
	s_or_b32 exec_lo, exec_lo, s19
	s_and_saveexec_b32 s19, s16
	s_cbranch_execz .LBB4_3559
.LBB4_3558:                             ;   in Loop: Header=BB4_3307 Depth=3
	v_and_b32_e32 v26, 3, v96
	v_lshrrev_b16 v98, 2, v96
	v_ffbh_u32_e32 v27, v26
	v_and_b32_e32 v98, 31, v98
	v_min_u32_e32 v27, 32, v27
	v_cmp_eq_u32_e32 vcc_lo, 0, v98
	v_subrev_nc_u32_e32 v91, 29, v27
	v_sub_nc_u32_e32 v27, 30, v27
	v_lshlrev_b32_e32 v91, v91, v96
	v_lshlrev_b32_e32 v96, 24, v96
	v_cndmask_b32_e32 v27, v98, v27, vcc_lo
	v_and_b32_e32 v91, 3, v91
	v_and_b32_e32 v96, 0x80000000, v96
	v_lshl_add_u32 v27, v27, 23, 0x37800000
	v_cndmask_b32_e32 v26, v26, v91, vcc_lo
	v_lshlrev_b32_e32 v26, 21, v26
	v_or3_b32 v98, v96, v27, v26
.LBB4_3559:                             ;   in Loop: Header=BB4_3307 Depth=3
	s_or_b32 exec_lo, exec_lo, s19
	v_mul_f32_e32 v98, v88, v98
	v_mov_b32_e32 v96, 0x80
	s_mov_b32 s19, exec_lo
	v_and_b32_e32 v26, 0x7f800000, v98
	v_cmpx_ne_u32_e32 0x7f800000, v26
	s_cbranch_execz .LBB4_3567
; %bb.3560:                             ;   in Loop: Header=BB4_3307 Depth=3
	v_mov_b32_e32 v96, 0
	s_mov_b32 s23, exec_lo
	v_cmpx_ne_u32_e32 0, v98
	s_cbranch_execz .LBB4_3566
; %bb.3561:                             ;   in Loop: Header=BB4_3307 Depth=3
	v_bfe_u32 v26, v98, 23, 8
	v_and_b32_e32 v27, 0x7fffff, v98
	v_sub_nc_u32_e32 v96, 0x70, v26
	v_cmp_gt_u32_e32 vcc_lo, 0x71, v26
	v_or_b32_e32 v88, 0x800000, v27
	v_cndmask_b32_e32 v96, 0, v96, vcc_lo
	v_cmp_eq_u32_e32 vcc_lo, 0, v26
	v_add_nc_u32_e32 v26, 0xffffff91, v26
	v_cndmask_b32_e64 v96, v96, 0x6f, vcc_lo
	v_cndmask_b32_e32 v27, v88, v27, vcc_lo
	v_cndmask_b32_e64 v26, v26, 0xffffff92, vcc_lo
	v_lshl_add_u32 v91, 0x200000, v96, -1
	v_lshrrev_b32_e32 v88, v96, v27
	v_lshlrev_b32_e64 v105, v96, 0x100000
	v_and_b32_e32 v27, v91, v27
	v_bfe_u32 v94, v88, 21, 1
	v_cmp_eq_u32_e64 s16, v27, v105
	v_add_nc_u32_e32 v91, -1, v94
	v_lshrrev_b32_e32 v94, 23, v88
	v_cndmask_b32_e64 v27, 0, v91, s16
	v_add_nc_u32_e32 v91, v96, v26
	v_xor_b32_e32 v94, 1, v94
	s_mov_b32 s16, exec_lo
                                        ; implicit-def: $vgpr96
	v_add_nc_u32_e32 v27, v27, v88
	v_and_b32_e32 v26, 0x1fffff, v27
	v_add_nc_u32_e32 v88, v26, v88
	v_cmpx_ne_u32_e64 v91, v94
	s_xor_b32 s16, exec_lo, s16
; %bb.3562:                             ;   in Loop: Header=BB4_3307 Depth=3
	v_cmp_lt_u32_e32 vcc_lo, 0xffffff, v88
	v_sub_nc_u32_e32 v26, v91, v94
	v_cndmask_b32_e64 v27, 0, 1, vcc_lo
	v_add_co_ci_u32_e64 v96, null, 0, v26, vcc_lo
	v_lshrrev_b32_e32 v88, v27, v88
; %bb.3563:                             ;   in Loop: Header=BB4_3307 Depth=3
	s_andn2_saveexec_b32 s16, s16
; %bb.3564:                             ;   in Loop: Header=BB4_3307 Depth=3
	v_bfe_u32 v96, v88, 23, 1
; %bb.3565:                             ;   in Loop: Header=BB4_3307 Depth=3
	s_or_b32 exec_lo, exec_lo, s16
	v_lshrrev_b32_e32 v26, 21, v88
	v_cmp_gt_i32_e32 vcc_lo, 32, v96
	v_min_i32_e32 v27, 31, v96
	v_and_b32_sdwa v98, v98, v116 dst_sel:DWORD dst_unused:UNUSED_PAD src0_sel:BYTE_3 src1_sel:DWORD
	v_cndmask_b32_e32 v26, 3, v26, vcc_lo
	v_lshlrev_b32_e32 v27, 2, v27
	v_and_b32_e32 v88, 3, v26
	v_or_b32_e32 v26, v96, v26
	v_or3_b32 v27, v27, v98, v88
	v_cmp_ne_u32_e32 vcc_lo, 0, v26
	v_cndmask_b32_e32 v96, 0, v27, vcc_lo
.LBB4_3566:                             ;   in Loop: Header=BB4_3307 Depth=3
	s_or_b32 exec_lo, exec_lo, s23
.LBB4_3567:                             ;   in Loop: Header=BB4_3307 Depth=3
	s_or_b32 exec_lo, exec_lo, s19
	v_cmp_gt_i16_sdwa s19, v87, v115 src0_sel:BYTE_0 src1_sel:DWORD
	s_mov_b32 s16, 0
	s_and_saveexec_b32 s23, s19
	s_xor_b32 s19, exec_lo, s23
	s_cbranch_execz .LBB4_3677
; %bb.3568:                             ;   in Loop: Header=BB4_3307 Depth=3
	v_cmp_eq_u16_sdwa s72, v87, v116 src0_sel:BYTE_0 src1_sel:DWORD
	s_mov_b32 s16, -1
	s_and_saveexec_b32 s23, s72
; %bb.3569:                             ;   in Loop: Header=BB4_3307 Depth=3
	s_xor_b32 s16, exec_lo, -1
; %bb.3570:                             ;   in Loop: Header=BB4_3307 Depth=3
	s_or_b32 exec_lo, exec_lo, s23
	s_and_b32 s16, s16, exec_lo
	s_or_saveexec_b32 s19, s19
	v_mov_b32_e32 v98, 0x7f800001
	s_xor_b32 exec_lo, exec_lo, s19
	s_cbranch_execnz .LBB4_3678
.LBB4_3571:                             ;   in Loop: Header=BB4_3307 Depth=3
	s_or_b32 exec_lo, exec_lo, s19
	s_and_saveexec_b32 s19, s16
	s_cbranch_execz .LBB4_3573
.LBB4_3572:                             ;   in Loop: Header=BB4_3307 Depth=3
	v_and_b32_e32 v26, 3, v87
	v_lshrrev_b16 v98, 2, v87
	v_ffbh_u32_e32 v27, v26
	v_and_b32_e32 v98, 31, v98
	v_min_u32_e32 v27, 32, v27
	v_cmp_eq_u32_e32 vcc_lo, 0, v98
	v_subrev_nc_u32_e32 v88, 29, v27
	v_sub_nc_u32_e32 v27, 30, v27
	v_lshlrev_b32_e32 v88, v88, v87
	v_lshlrev_b32_e32 v87, 24, v87
	v_cndmask_b32_e32 v27, v98, v27, vcc_lo
	v_and_b32_e32 v88, 3, v88
	v_and_b32_e32 v87, 0x80000000, v87
	v_lshl_add_u32 v27, v27, 23, 0x37800000
	v_cndmask_b32_e32 v26, v26, v88, vcc_lo
	v_lshlrev_b32_e32 v26, 21, v26
	v_or3_b32 v98, v87, v27, v26
.LBB4_3573:                             ;   in Loop: Header=BB4_3307 Depth=3
	s_or_b32 exec_lo, exec_lo, s19
	s_waitcnt vmcnt(2) lgkmcnt(2)
	v_cmp_gt_i16_sdwa s19, v86, v115 src0_sel:BYTE_0 src1_sel:DWORD
	s_mov_b32 s16, 0
	s_and_saveexec_b32 s23, s19
	s_xor_b32 s19, exec_lo, s23
	s_cbranch_execz .LBB4_3679
; %bb.3574:                             ;   in Loop: Header=BB4_3307 Depth=3
	v_cmp_eq_u16_sdwa s72, v86, v116 src0_sel:BYTE_0 src1_sel:DWORD
	s_mov_b32 s16, -1
	s_and_saveexec_b32 s23, s72
; %bb.3575:                             ;   in Loop: Header=BB4_3307 Depth=3
	s_xor_b32 s16, exec_lo, -1
; %bb.3576:                             ;   in Loop: Header=BB4_3307 Depth=3
	s_or_b32 exec_lo, exec_lo, s23
	s_and_b32 s16, s16, exec_lo
	s_or_saveexec_b32 s19, s19
	v_mov_b32_e32 v87, 0x7f800001
	s_xor_b32 exec_lo, exec_lo, s19
	s_cbranch_execnz .LBB4_3680
.LBB4_3577:                             ;   in Loop: Header=BB4_3307 Depth=3
	s_or_b32 exec_lo, exec_lo, s19
	s_and_saveexec_b32 s19, s16
	s_cbranch_execz .LBB4_3579
.LBB4_3578:                             ;   in Loop: Header=BB4_3307 Depth=3
	v_and_b32_e32 v26, 3, v86
	v_lshrrev_b16 v87, 2, v86
	v_ffbh_u32_e32 v27, v26
	v_and_b32_e32 v87, 31, v87
	v_min_u32_e32 v27, 32, v27
	v_cmp_eq_u32_e32 vcc_lo, 0, v87
	v_subrev_nc_u32_e32 v88, 29, v27
	v_sub_nc_u32_e32 v27, 30, v27
	v_lshlrev_b32_e32 v88, v88, v86
	v_lshlrev_b32_e32 v86, 24, v86
	v_cndmask_b32_e32 v27, v87, v27, vcc_lo
	v_and_b32_e32 v88, 3, v88
	v_and_b32_e32 v86, 0x80000000, v86
	v_lshl_add_u32 v27, v27, 23, 0x37800000
	v_cndmask_b32_e32 v26, v26, v88, vcc_lo
	v_lshlrev_b32_e32 v26, 21, v26
	v_or3_b32 v87, v86, v27, v26
.LBB4_3579:                             ;   in Loop: Header=BB4_3307 Depth=3
	s_or_b32 exec_lo, exec_lo, s19
	v_mul_f32_e32 v87, v98, v87
	v_mov_b32_e32 v86, 0x80
	s_mov_b32 s19, exec_lo
	v_and_b32_e32 v26, 0x7f800000, v87
	v_cmpx_ne_u32_e32 0x7f800000, v26
	s_cbranch_execz .LBB4_3587
; %bb.3580:                             ;   in Loop: Header=BB4_3307 Depth=3
	v_mov_b32_e32 v86, 0
	s_mov_b32 s23, exec_lo
	v_cmpx_ne_u32_e32 0, v87
	s_cbranch_execz .LBB4_3586
; %bb.3581:                             ;   in Loop: Header=BB4_3307 Depth=3
	v_bfe_u32 v26, v87, 23, 8
	v_and_b32_e32 v27, 0x7fffff, v87
	v_sub_nc_u32_e32 v86, 0x70, v26
	v_cmp_gt_u32_e32 vcc_lo, 0x71, v26
	v_or_b32_e32 v98, 0x800000, v27
	v_cndmask_b32_e32 v86, 0, v86, vcc_lo
	v_cmp_eq_u32_e32 vcc_lo, 0, v26
	v_add_nc_u32_e32 v26, 0xffffff91, v26
	v_cndmask_b32_e64 v86, v86, 0x6f, vcc_lo
	v_cndmask_b32_e32 v27, v98, v27, vcc_lo
	v_cndmask_b32_e64 v26, v26, 0xffffff92, vcc_lo
	v_lshl_add_u32 v88, 0x200000, v86, -1
	v_lshrrev_b32_e32 v98, v86, v27
	v_lshlrev_b32_e64 v94, v86, 0x100000
	v_and_b32_e32 v27, v88, v27
	v_bfe_u32 v91, v98, 21, 1
	v_cmp_eq_u32_e64 s16, v27, v94
	v_add_nc_u32_e32 v88, -1, v91
	v_lshrrev_b32_e32 v91, 23, v98
	v_cndmask_b32_e64 v27, 0, v88, s16
	v_add_nc_u32_e32 v88, v86, v26
	v_xor_b32_e32 v91, 1, v91
	s_mov_b32 s16, exec_lo
                                        ; implicit-def: $vgpr86
	v_add_nc_u32_e32 v27, v27, v98
	v_and_b32_e32 v26, 0x1fffff, v27
	v_add_nc_u32_e32 v98, v26, v98
	v_cmpx_ne_u32_e64 v88, v91
	s_xor_b32 s16, exec_lo, s16
; %bb.3582:                             ;   in Loop: Header=BB4_3307 Depth=3
	v_cmp_lt_u32_e32 vcc_lo, 0xffffff, v98
	v_sub_nc_u32_e32 v26, v88, v91
	v_cndmask_b32_e64 v27, 0, 1, vcc_lo
	v_add_co_ci_u32_e64 v86, null, 0, v26, vcc_lo
	v_lshrrev_b32_e32 v98, v27, v98
; %bb.3583:                             ;   in Loop: Header=BB4_3307 Depth=3
	s_andn2_saveexec_b32 s16, s16
; %bb.3584:                             ;   in Loop: Header=BB4_3307 Depth=3
	v_bfe_u32 v86, v98, 23, 1
; %bb.3585:                             ;   in Loop: Header=BB4_3307 Depth=3
	s_or_b32 exec_lo, exec_lo, s16
	v_lshrrev_b32_e32 v26, 21, v98
	v_cmp_gt_i32_e32 vcc_lo, 32, v86
	v_min_i32_e32 v27, 31, v86
	v_and_b32_sdwa v87, v87, v116 dst_sel:DWORD dst_unused:UNUSED_PAD src0_sel:BYTE_3 src1_sel:DWORD
	v_cndmask_b32_e32 v26, 3, v26, vcc_lo
	v_lshlrev_b32_e32 v27, 2, v27
	v_and_b32_e32 v98, 3, v26
	v_or_b32_e32 v26, v86, v26
	v_or3_b32 v27, v27, v87, v98
	v_cmp_ne_u32_e32 vcc_lo, 0, v26
	v_cndmask_b32_e32 v86, 0, v27, vcc_lo
.LBB4_3586:                             ;   in Loop: Header=BB4_3307 Depth=3
	s_or_b32 exec_lo, exec_lo, s23
.LBB4_3587:                             ;   in Loop: Header=BB4_3307 Depth=3
	s_or_b32 exec_lo, exec_lo, s19
	v_cmp_gt_i16_sdwa s19, v84, v115 src0_sel:BYTE_0 src1_sel:DWORD
	s_mov_b32 s16, 0
	s_and_saveexec_b32 s23, s19
	s_xor_b32 s19, exec_lo, s23
	s_cbranch_execz .LBB4_3681
; %bb.3588:                             ;   in Loop: Header=BB4_3307 Depth=3
	v_cmp_eq_u16_sdwa s72, v84, v116 src0_sel:BYTE_0 src1_sel:DWORD
	s_mov_b32 s16, -1
	s_and_saveexec_b32 s23, s72
; %bb.3589:                             ;   in Loop: Header=BB4_3307 Depth=3
	s_xor_b32 s16, exec_lo, -1
; %bb.3590:                             ;   in Loop: Header=BB4_3307 Depth=3
	s_or_b32 exec_lo, exec_lo, s23
	s_and_b32 s16, s16, exec_lo
	s_or_saveexec_b32 s19, s19
	v_mov_b32_e32 v87, 0x7f800001
	s_xor_b32 exec_lo, exec_lo, s19
	s_cbranch_execnz .LBB4_3682
.LBB4_3591:                             ;   in Loop: Header=BB4_3307 Depth=3
	s_or_b32 exec_lo, exec_lo, s19
	s_and_saveexec_b32 s19, s16
	s_cbranch_execz .LBB4_3593
.LBB4_3592:                             ;   in Loop: Header=BB4_3307 Depth=3
	v_and_b32_e32 v26, 3, v84
	v_lshrrev_b16 v87, 2, v84
	v_ffbh_u32_e32 v27, v26
	v_and_b32_e32 v87, 31, v87
	v_min_u32_e32 v27, 32, v27
	v_cmp_eq_u32_e32 vcc_lo, 0, v87
	v_subrev_nc_u32_e32 v98, 29, v27
	v_sub_nc_u32_e32 v27, 30, v27
	v_lshlrev_b32_e32 v98, v98, v84
	v_lshlrev_b32_e32 v84, 24, v84
	v_cndmask_b32_e32 v27, v87, v27, vcc_lo
	v_and_b32_e32 v98, 3, v98
	v_and_b32_e32 v84, 0x80000000, v84
	v_lshl_add_u32 v27, v27, 23, 0x37800000
	v_cndmask_b32_e32 v26, v26, v98, vcc_lo
	v_lshlrev_b32_e32 v26, 21, v26
	v_or3_b32 v87, v84, v27, v26
.LBB4_3593:                             ;   in Loop: Header=BB4_3307 Depth=3
	s_or_b32 exec_lo, exec_lo, s19
	s_waitcnt vmcnt(1) lgkmcnt(1)
	v_cmp_gt_i16_sdwa s19, v83, v115 src0_sel:BYTE_0 src1_sel:DWORD
	s_mov_b32 s16, 0
	s_and_saveexec_b32 s23, s19
	s_xor_b32 s19, exec_lo, s23
	s_cbranch_execz .LBB4_3683
; %bb.3594:                             ;   in Loop: Header=BB4_3307 Depth=3
	v_cmp_eq_u16_sdwa s72, v83, v116 src0_sel:BYTE_0 src1_sel:DWORD
	s_mov_b32 s16, -1
	s_and_saveexec_b32 s23, s72
; %bb.3595:                             ;   in Loop: Header=BB4_3307 Depth=3
	s_xor_b32 s16, exec_lo, -1
; %bb.3596:                             ;   in Loop: Header=BB4_3307 Depth=3
	s_or_b32 exec_lo, exec_lo, s23
	s_and_b32 s16, s16, exec_lo
	s_or_saveexec_b32 s19, s19
	v_mov_b32_e32 v84, 0x7f800001
	s_xor_b32 exec_lo, exec_lo, s19
	s_cbranch_execnz .LBB4_3684
.LBB4_3597:                             ;   in Loop: Header=BB4_3307 Depth=3
	s_or_b32 exec_lo, exec_lo, s19
	s_and_saveexec_b32 s19, s16
	s_cbranch_execz .LBB4_3599
.LBB4_3598:                             ;   in Loop: Header=BB4_3307 Depth=3
	v_and_b32_e32 v26, 3, v83
	v_lshrrev_b16 v84, 2, v83
	v_ffbh_u32_e32 v27, v26
	v_and_b32_e32 v84, 31, v84
	v_min_u32_e32 v27, 32, v27
	v_cmp_eq_u32_e32 vcc_lo, 0, v84
	v_subrev_nc_u32_e32 v98, 29, v27
	v_sub_nc_u32_e32 v27, 30, v27
	v_lshlrev_b32_e32 v98, v98, v83
	v_lshlrev_b32_e32 v83, 24, v83
	v_cndmask_b32_e32 v27, v84, v27, vcc_lo
	v_and_b32_e32 v98, 3, v98
	v_and_b32_e32 v83, 0x80000000, v83
	v_lshl_add_u32 v27, v27, 23, 0x37800000
	v_cndmask_b32_e32 v26, v26, v98, vcc_lo
	v_lshlrev_b32_e32 v26, 21, v26
	v_or3_b32 v84, v83, v27, v26
.LBB4_3599:                             ;   in Loop: Header=BB4_3307 Depth=3
	s_or_b32 exec_lo, exec_lo, s19
	v_mul_f32_e32 v84, v87, v84
	v_mov_b32_e32 v83, 0x80
	s_mov_b32 s19, exec_lo
	v_and_b32_e32 v26, 0x7f800000, v84
	v_cmpx_ne_u32_e32 0x7f800000, v26
	s_cbranch_execz .LBB4_3607
; %bb.3600:                             ;   in Loop: Header=BB4_3307 Depth=3
	v_mov_b32_e32 v83, 0
	s_mov_b32 s23, exec_lo
	v_cmpx_ne_u32_e32 0, v84
	s_cbranch_execz .LBB4_3606
; %bb.3601:                             ;   in Loop: Header=BB4_3307 Depth=3
	v_bfe_u32 v26, v84, 23, 8
	v_and_b32_e32 v27, 0x7fffff, v84
	v_sub_nc_u32_e32 v83, 0x70, v26
	v_cmp_gt_u32_e32 vcc_lo, 0x71, v26
	v_or_b32_e32 v87, 0x800000, v27
	v_cndmask_b32_e32 v83, 0, v83, vcc_lo
	v_cmp_eq_u32_e32 vcc_lo, 0, v26
	v_add_nc_u32_e32 v26, 0xffffff91, v26
	v_cndmask_b32_e64 v83, v83, 0x6f, vcc_lo
	v_cndmask_b32_e32 v27, v87, v27, vcc_lo
	v_cndmask_b32_e64 v26, v26, 0xffffff92, vcc_lo
	v_lshl_add_u32 v98, 0x200000, v83, -1
	v_lshrrev_b32_e32 v87, v83, v27
	v_lshlrev_b32_e64 v91, v83, 0x100000
	v_and_b32_e32 v27, v98, v27
	v_bfe_u32 v88, v87, 21, 1
	v_cmp_eq_u32_e64 s16, v27, v91
	v_add_nc_u32_e32 v98, -1, v88
	v_lshrrev_b32_e32 v88, 23, v87
	v_cndmask_b32_e64 v27, 0, v98, s16
	v_add_nc_u32_e32 v98, v83, v26
	v_xor_b32_e32 v88, 1, v88
	s_mov_b32 s16, exec_lo
                                        ; implicit-def: $vgpr83
	v_add_nc_u32_e32 v27, v27, v87
	v_and_b32_e32 v26, 0x1fffff, v27
	v_add_nc_u32_e32 v87, v26, v87
	v_cmpx_ne_u32_e64 v98, v88
	s_xor_b32 s16, exec_lo, s16
; %bb.3602:                             ;   in Loop: Header=BB4_3307 Depth=3
	v_cmp_lt_u32_e32 vcc_lo, 0xffffff, v87
	v_sub_nc_u32_e32 v26, v98, v88
	v_cndmask_b32_e64 v27, 0, 1, vcc_lo
	v_add_co_ci_u32_e64 v83, null, 0, v26, vcc_lo
	v_lshrrev_b32_e32 v87, v27, v87
; %bb.3603:                             ;   in Loop: Header=BB4_3307 Depth=3
	s_andn2_saveexec_b32 s16, s16
; %bb.3604:                             ;   in Loop: Header=BB4_3307 Depth=3
	v_bfe_u32 v83, v87, 23, 1
; %bb.3605:                             ;   in Loop: Header=BB4_3307 Depth=3
	s_or_b32 exec_lo, exec_lo, s16
	v_lshrrev_b32_e32 v26, 21, v87
	v_cmp_gt_i32_e32 vcc_lo, 32, v83
	v_min_i32_e32 v27, 31, v83
	v_and_b32_sdwa v84, v84, v116 dst_sel:DWORD dst_unused:UNUSED_PAD src0_sel:BYTE_3 src1_sel:DWORD
	v_cndmask_b32_e32 v26, 3, v26, vcc_lo
	v_lshlrev_b32_e32 v27, 2, v27
	v_and_b32_e32 v87, 3, v26
	v_or_b32_e32 v26, v83, v26
	v_or3_b32 v27, v27, v84, v87
	v_cmp_ne_u32_e32 vcc_lo, 0, v26
	v_cndmask_b32_e32 v83, 0, v27, vcc_lo
.LBB4_3606:                             ;   in Loop: Header=BB4_3307 Depth=3
	s_or_b32 exec_lo, exec_lo, s23
.LBB4_3607:                             ;   in Loop: Header=BB4_3307 Depth=3
	s_or_b32 exec_lo, exec_lo, s19
	v_cmp_gt_i16_sdwa s19, v23, v115 src0_sel:BYTE_0 src1_sel:DWORD
	s_mov_b32 s16, 0
	s_and_saveexec_b32 s23, s19
	s_xor_b32 s19, exec_lo, s23
	s_cbranch_execz .LBB4_3685
; %bb.3608:                             ;   in Loop: Header=BB4_3307 Depth=3
	v_cmp_eq_u16_sdwa s72, v23, v116 src0_sel:BYTE_0 src1_sel:DWORD
	s_mov_b32 s16, -1
	s_and_saveexec_b32 s23, s72
; %bb.3609:                             ;   in Loop: Header=BB4_3307 Depth=3
	s_xor_b32 s16, exec_lo, -1
; %bb.3610:                             ;   in Loop: Header=BB4_3307 Depth=3
	s_or_b32 exec_lo, exec_lo, s23
	s_and_b32 s16, s16, exec_lo
	s_or_saveexec_b32 s19, s19
	v_mov_b32_e32 v84, 0x7f800001
	s_xor_b32 exec_lo, exec_lo, s19
	s_cbranch_execnz .LBB4_3686
.LBB4_3611:                             ;   in Loop: Header=BB4_3307 Depth=3
	s_or_b32 exec_lo, exec_lo, s19
	s_and_saveexec_b32 s19, s16
	s_cbranch_execz .LBB4_3613
.LBB4_3612:                             ;   in Loop: Header=BB4_3307 Depth=3
	v_and_b32_e32 v26, 3, v23
	v_lshrrev_b16 v84, 2, v23
	v_ffbh_u32_e32 v27, v26
	v_and_b32_e32 v84, 31, v84
	v_min_u32_e32 v27, 32, v27
	v_cmp_eq_u32_e32 vcc_lo, 0, v84
	v_subrev_nc_u32_e32 v87, 29, v27
	v_sub_nc_u32_e32 v27, 30, v27
	v_lshlrev_b32_e32 v87, v87, v23
	v_lshlrev_b32_e32 v23, 24, v23
	v_cndmask_b32_e32 v27, v84, v27, vcc_lo
	v_and_b32_e32 v87, 3, v87
	v_and_b32_e32 v23, 0x80000000, v23
	v_lshl_add_u32 v27, v27, 23, 0x37800000
	v_cndmask_b32_e32 v26, v26, v87, vcc_lo
	v_lshlrev_b32_e32 v26, 21, v26
	v_or3_b32 v84, v23, v27, v26
.LBB4_3613:                             ;   in Loop: Header=BB4_3307 Depth=3
	s_or_b32 exec_lo, exec_lo, s19
	s_waitcnt vmcnt(0) lgkmcnt(0)
	v_cmp_gt_i16_sdwa s19, v22, v115 src0_sel:BYTE_0 src1_sel:DWORD
	s_mov_b32 s16, 0
	s_and_saveexec_b32 s23, s19
	s_xor_b32 s19, exec_lo, s23
	s_cbranch_execz .LBB4_3687
; %bb.3614:                             ;   in Loop: Header=BB4_3307 Depth=3
	v_cmp_eq_u16_sdwa s72, v22, v116 src0_sel:BYTE_0 src1_sel:DWORD
	s_mov_b32 s16, -1
	s_and_saveexec_b32 s23, s72
; %bb.3615:                             ;   in Loop: Header=BB4_3307 Depth=3
	s_xor_b32 s16, exec_lo, -1
; %bb.3616:                             ;   in Loop: Header=BB4_3307 Depth=3
	s_or_b32 exec_lo, exec_lo, s23
	s_and_b32 s16, s16, exec_lo
	s_or_saveexec_b32 s19, s19
	v_mov_b32_e32 v23, 0x7f800001
	s_xor_b32 exec_lo, exec_lo, s19
	s_cbranch_execnz .LBB4_3688
.LBB4_3617:                             ;   in Loop: Header=BB4_3307 Depth=3
	s_or_b32 exec_lo, exec_lo, s19
	s_and_saveexec_b32 s19, s16
	s_cbranch_execz .LBB4_3619
.LBB4_3618:                             ;   in Loop: Header=BB4_3307 Depth=3
	v_and_b32_e32 v23, 3, v22
	v_lshrrev_b16 v27, 2, v22
	v_ffbh_u32_e32 v26, v23
	v_and_b32_e32 v27, 31, v27
	v_min_u32_e32 v26, 32, v26
	v_cmp_eq_u32_e32 vcc_lo, 0, v27
	v_subrev_nc_u32_e32 v87, 29, v26
	v_sub_nc_u32_e32 v26, 30, v26
	v_lshlrev_b32_e32 v87, v87, v22
	v_lshlrev_b32_e32 v22, 24, v22
	v_cndmask_b32_e32 v26, v27, v26, vcc_lo
	v_and_b32_e32 v87, 3, v87
	v_and_b32_e32 v22, 0x80000000, v22
	v_lshl_add_u32 v26, v26, 23, 0x37800000
	v_cndmask_b32_e32 v23, v23, v87, vcc_lo
	v_lshlrev_b32_e32 v23, 21, v23
	v_or3_b32 v23, v22, v26, v23
.LBB4_3619:                             ;   in Loop: Header=BB4_3307 Depth=3
	s_or_b32 exec_lo, exec_lo, s19
	v_mul_f32_e32 v22, v84, v23
	v_and_b32_e32 v23, 0x7f800000, v22
	v_cmp_ne_u32_e32 vcc_lo, 0x7f800000, v23
	v_mov_b32_e32 v23, 0x80
	s_and_saveexec_b32 s19, vcc_lo
	s_cbranch_execz .LBB4_3306
; %bb.3620:                             ;   in Loop: Header=BB4_3307 Depth=3
	v_mov_b32_e32 v23, 0
	s_mov_b32 s23, exec_lo
	v_cmpx_ne_u32_e32 0, v22
	s_cbranch_execz .LBB4_3305
; %bb.3621:                             ;   in Loop: Header=BB4_3307 Depth=3
	v_bfe_u32 v23, v22, 23, 8
	v_and_b32_e32 v26, 0x7fffff, v22
	v_sub_nc_u32_e32 v27, 0x70, v23
	v_cmp_gt_u32_e32 vcc_lo, 0x71, v23
	v_or_b32_e32 v84, 0x800000, v26
	v_cndmask_b32_e32 v27, 0, v27, vcc_lo
	v_cmp_eq_u32_e32 vcc_lo, 0, v23
	v_add_nc_u32_e32 v23, 0xffffff91, v23
	v_cndmask_b32_e64 v27, v27, 0x6f, vcc_lo
	v_cndmask_b32_e32 v26, v84, v26, vcc_lo
	v_cndmask_b32_e64 v23, v23, 0xffffff92, vcc_lo
	v_lshl_add_u32 v87, 0x200000, v27, -1
	v_lshrrev_b32_e32 v84, v27, v26
	v_lshlrev_b32_e64 v88, v27, 0x100000
	v_and_b32_e32 v26, v87, v26
	v_bfe_u32 v98, v84, 21, 1
	v_cmp_eq_u32_e64 s16, v26, v88
	v_add_nc_u32_e32 v87, -1, v98
	v_lshrrev_b32_e32 v98, 23, v84
	v_cndmask_b32_e64 v26, 0, v87, s16
	v_add_nc_u32_e32 v87, v27, v23
	v_xor_b32_e32 v98, 1, v98
	s_mov_b32 s16, exec_lo
	v_add_nc_u32_e32 v26, v26, v84
	v_and_b32_e32 v23, 0x1fffff, v26
	v_add_nc_u32_e32 v84, v23, v84
                                        ; implicit-def: $vgpr23
	v_cmpx_ne_u32_e64 v87, v98
	s_xor_b32 s16, exec_lo, s16
; %bb.3622:                             ;   in Loop: Header=BB4_3307 Depth=3
	v_cmp_lt_u32_e32 vcc_lo, 0xffffff, v84
	v_sub_nc_u32_e32 v23, v87, v98
	v_cndmask_b32_e64 v26, 0, 1, vcc_lo
	v_add_co_ci_u32_e64 v23, null, 0, v23, vcc_lo
	v_lshrrev_b32_e32 v84, v26, v84
; %bb.3623:                             ;   in Loop: Header=BB4_3307 Depth=3
	s_andn2_saveexec_b32 s16, s16
	s_cbranch_execz .LBB4_3304
; %bb.3624:                             ;   in Loop: Header=BB4_3307 Depth=3
	v_bfe_u32 v23, v84, 23, 1
	s_branch .LBB4_3304
.LBB4_3625:                             ;   in Loop: Header=BB4_3307 Depth=3
	s_or_saveexec_b32 s16, s16
	v_mov_b32_e32 v123, 0x7f800001
	s_xor_b32 exec_lo, exec_lo, s16
	s_cbranch_execz .LBB4_3311
.LBB4_3626:                             ;   in Loop: Header=BB4_3307 Depth=3
	v_cmp_ne_u16_e32 vcc_lo, 0, v124
	v_mov_b32_e32 v123, 0
	s_andn2_b32 s19, s19, exec_lo
	s_and_b32 s23, vcc_lo, exec_lo
	s_or_b32 s19, s19, s23
	s_or_b32 exec_lo, exec_lo, s16
	s_and_saveexec_b32 s16, s19
	s_cbranch_execnz .LBB4_3312
	s_branch .LBB4_3313
.LBB4_3627:                             ;   in Loop: Header=BB4_3307 Depth=3
	s_or_saveexec_b32 s16, s16
	v_mov_b32_e32 v124, 0x7f800001
	s_xor_b32 exec_lo, exec_lo, s16
	s_cbranch_execz .LBB4_3317
.LBB4_3628:                             ;   in Loop: Header=BB4_3307 Depth=3
	v_cmp_ne_u16_sdwa s23, v82, v2 src0_sel:BYTE_0 src1_sel:DWORD
	v_mov_b32_e32 v124, 0
	s_andn2_b32 s19, s19, exec_lo
	s_and_b32 s23, s23, exec_lo
	s_or_b32 s19, s19, s23
	s_or_b32 exec_lo, exec_lo, s16
	s_and_saveexec_b32 s16, s19
	s_cbranch_execnz .LBB4_3318
	s_branch .LBB4_3319
.LBB4_3629:                             ;   in Loop: Header=BB4_3307 Depth=3
	s_or_saveexec_b32 s19, s19
	v_mov_b32_e32 v123, 0x7f800001
	s_xor_b32 exec_lo, exec_lo, s19
	s_cbranch_execz .LBB4_3331
.LBB4_3630:                             ;   in Loop: Header=BB4_3307 Depth=3
	v_cmp_ne_u16_sdwa s23, v122, v2 src0_sel:BYTE_0 src1_sel:DWORD
	v_mov_b32_e32 v123, 0
	s_andn2_b32 s16, s16, exec_lo
	s_and_b32 s23, s23, exec_lo
	s_or_b32 s16, s16, s23
	s_or_b32 exec_lo, exec_lo, s19
	s_and_saveexec_b32 s19, s16
	s_cbranch_execnz .LBB4_3332
	s_branch .LBB4_3333
.LBB4_3631:                             ;   in Loop: Header=BB4_3307 Depth=3
	s_or_saveexec_b32 s19, s19
	v_mov_b32_e32 v122, 0x7f800001
	s_xor_b32 exec_lo, exec_lo, s19
	s_cbranch_execz .LBB4_3337
.LBB4_3632:                             ;   in Loop: Header=BB4_3307 Depth=3
	v_cmp_ne_u16_sdwa s23, v85, v2 src0_sel:BYTE_0 src1_sel:DWORD
	v_mov_b32_e32 v122, 0
	s_andn2_b32 s16, s16, exec_lo
	s_and_b32 s23, s23, exec_lo
	s_or_b32 s16, s16, s23
	s_or_b32 exec_lo, exec_lo, s19
	s_and_saveexec_b32 s19, s16
	s_cbranch_execnz .LBB4_3338
	s_branch .LBB4_3339
.LBB4_3633:                             ;   in Loop: Header=BB4_3307 Depth=3
	s_or_saveexec_b32 s19, s19
	v_mov_b32_e32 v122, 0x7f800001
	s_xor_b32 exec_lo, exec_lo, s19
	s_cbranch_execz .LBB4_3351
.LBB4_3634:                             ;   in Loop: Header=BB4_3307 Depth=3
	v_cmp_ne_u16_sdwa s23, v121, v2 src0_sel:BYTE_0 src1_sel:DWORD
	v_mov_b32_e32 v122, 0
	s_andn2_b32 s16, s16, exec_lo
	s_and_b32 s23, s23, exec_lo
	s_or_b32 s16, s16, s23
	s_or_b32 exec_lo, exec_lo, s19
	s_and_saveexec_b32 s19, s16
	s_cbranch_execnz .LBB4_3352
	s_branch .LBB4_3353
.LBB4_3635:                             ;   in Loop: Header=BB4_3307 Depth=3
	s_or_saveexec_b32 s19, s19
	v_mov_b32_e32 v121, 0x7f800001
	s_xor_b32 exec_lo, exec_lo, s19
	s_cbranch_execz .LBB4_3357
.LBB4_3636:                             ;   in Loop: Header=BB4_3307 Depth=3
	v_cmp_ne_u16_sdwa s23, v97, v2 src0_sel:BYTE_0 src1_sel:DWORD
	v_mov_b32_e32 v121, 0
	s_andn2_b32 s16, s16, exec_lo
	s_and_b32 s23, s23, exec_lo
	s_or_b32 s16, s16, s23
	s_or_b32 exec_lo, exec_lo, s19
	s_and_saveexec_b32 s19, s16
	s_cbranch_execnz .LBB4_3358
	s_branch .LBB4_3359
.LBB4_3637:                             ;   in Loop: Header=BB4_3307 Depth=3
	s_or_saveexec_b32 s19, s19
	v_mov_b32_e32 v121, 0x7f800001
	s_xor_b32 exec_lo, exec_lo, s19
	s_cbranch_execz .LBB4_3371
.LBB4_3638:                             ;   in Loop: Header=BB4_3307 Depth=3
	v_cmp_ne_u16_sdwa s23, v120, v2 src0_sel:BYTE_0 src1_sel:DWORD
	v_mov_b32_e32 v121, 0
	s_andn2_b32 s16, s16, exec_lo
	s_and_b32 s23, s23, exec_lo
	s_or_b32 s16, s16, s23
	s_or_b32 exec_lo, exec_lo, s19
	s_and_saveexec_b32 s19, s16
	s_cbranch_execnz .LBB4_3372
	s_branch .LBB4_3373
.LBB4_3639:                             ;   in Loop: Header=BB4_3307 Depth=3
	s_or_saveexec_b32 s19, s19
	v_mov_b32_e32 v120, 0x7f800001
	s_xor_b32 exec_lo, exec_lo, s19
	s_cbranch_execz .LBB4_3377
.LBB4_3640:                             ;   in Loop: Header=BB4_3307 Depth=3
	v_cmp_ne_u16_sdwa s23, v89, v2 src0_sel:BYTE_0 src1_sel:DWORD
	v_mov_b32_e32 v120, 0
	s_andn2_b32 s16, s16, exec_lo
	s_and_b32 s23, s23, exec_lo
	s_or_b32 s16, s16, s23
	s_or_b32 exec_lo, exec_lo, s19
	s_and_saveexec_b32 s19, s16
	s_cbranch_execnz .LBB4_3378
	s_branch .LBB4_3379
.LBB4_3641:                             ;   in Loop: Header=BB4_3307 Depth=3
	s_or_saveexec_b32 s19, s19
	v_mov_b32_e32 v120, 0x7f800001
	s_xor_b32 exec_lo, exec_lo, s19
	s_cbranch_execz .LBB4_3391
.LBB4_3642:                             ;   in Loop: Header=BB4_3307 Depth=3
	v_cmp_ne_u16_sdwa s23, v111, v2 src0_sel:BYTE_0 src1_sel:DWORD
	v_mov_b32_e32 v120, 0
	s_andn2_b32 s16, s16, exec_lo
	s_and_b32 s23, s23, exec_lo
	s_or_b32 s16, s16, s23
	s_or_b32 exec_lo, exec_lo, s19
	s_and_saveexec_b32 s19, s16
	s_cbranch_execnz .LBB4_3392
	s_branch .LBB4_3393
.LBB4_3643:                             ;   in Loop: Header=BB4_3307 Depth=3
	s_or_saveexec_b32 s19, s19
	v_mov_b32_e32 v111, 0x7f800001
	s_xor_b32 exec_lo, exec_lo, s19
	s_cbranch_execz .LBB4_3397
.LBB4_3644:                             ;   in Loop: Header=BB4_3307 Depth=3
	v_cmp_ne_u16_sdwa s23, v92, v2 src0_sel:BYTE_0 src1_sel:DWORD
	v_mov_b32_e32 v111, 0
	s_andn2_b32 s16, s16, exec_lo
	s_and_b32 s23, s23, exec_lo
	s_or_b32 s16, s16, s23
	s_or_b32 exec_lo, exec_lo, s19
	s_and_saveexec_b32 s19, s16
	s_cbranch_execnz .LBB4_3398
	s_branch .LBB4_3399
.LBB4_3645:                             ;   in Loop: Header=BB4_3307 Depth=3
	s_or_saveexec_b32 s19, s19
	v_mov_b32_e32 v111, 0x7f800001
	s_xor_b32 exec_lo, exec_lo, s19
	s_cbranch_execz .LBB4_3411
.LBB4_3646:                             ;   in Loop: Header=BB4_3307 Depth=3
	v_cmp_ne_u16_sdwa s23, v110, v2 src0_sel:BYTE_0 src1_sel:DWORD
	v_mov_b32_e32 v111, 0
	s_andn2_b32 s16, s16, exec_lo
	s_and_b32 s23, s23, exec_lo
	s_or_b32 s16, s16, s23
	s_or_b32 exec_lo, exec_lo, s19
	s_and_saveexec_b32 s19, s16
	s_cbranch_execnz .LBB4_3412
	s_branch .LBB4_3413
.LBB4_3647:                             ;   in Loop: Header=BB4_3307 Depth=3
	s_or_saveexec_b32 s19, s19
	v_mov_b32_e32 v110, 0x7f800001
	s_xor_b32 exec_lo, exec_lo, s19
	s_cbranch_execz .LBB4_3417
.LBB4_3648:                             ;   in Loop: Header=BB4_3307 Depth=3
	v_cmp_ne_u16_sdwa s23, v95, v2 src0_sel:BYTE_0 src1_sel:DWORD
	v_mov_b32_e32 v110, 0
	s_andn2_b32 s16, s16, exec_lo
	s_and_b32 s23, s23, exec_lo
	s_or_b32 s16, s16, s23
	s_or_b32 exec_lo, exec_lo, s19
	s_and_saveexec_b32 s19, s16
	s_cbranch_execnz .LBB4_3418
	s_branch .LBB4_3419
.LBB4_3649:                             ;   in Loop: Header=BB4_3307 Depth=3
	s_or_saveexec_b32 s19, s19
	v_mov_b32_e32 v110, 0x7f800001
	s_xor_b32 exec_lo, exec_lo, s19
	s_cbranch_execz .LBB4_3431
.LBB4_3650:                             ;   in Loop: Header=BB4_3307 Depth=3
	v_cmp_ne_u16_sdwa s23, v109, v2 src0_sel:BYTE_0 src1_sel:DWORD
	v_mov_b32_e32 v110, 0
	s_andn2_b32 s16, s16, exec_lo
	s_and_b32 s23, s23, exec_lo
	s_or_b32 s16, s16, s23
	s_or_b32 exec_lo, exec_lo, s19
	s_and_saveexec_b32 s19, s16
	s_cbranch_execnz .LBB4_3432
	s_branch .LBB4_3433
.LBB4_3651:                             ;   in Loop: Header=BB4_3307 Depth=3
	s_or_saveexec_b32 s19, s19
	v_mov_b32_e32 v109, 0x7f800001
	s_xor_b32 exec_lo, exec_lo, s19
	s_cbranch_execz .LBB4_3437
.LBB4_3652:                             ;   in Loop: Header=BB4_3307 Depth=3
	v_cmp_ne_u16_sdwa s23, v106, v2 src0_sel:BYTE_0 src1_sel:DWORD
	v_mov_b32_e32 v109, 0
	s_andn2_b32 s16, s16, exec_lo
	s_and_b32 s23, s23, exec_lo
	s_or_b32 s16, s16, s23
	s_or_b32 exec_lo, exec_lo, s19
	s_and_saveexec_b32 s19, s16
	s_cbranch_execnz .LBB4_3438
	s_branch .LBB4_3439
.LBB4_3653:                             ;   in Loop: Header=BB4_3307 Depth=3
	s_or_saveexec_b32 s19, s19
	v_mov_b32_e32 v109, 0x7f800001
	s_xor_b32 exec_lo, exec_lo, s19
	s_cbranch_execz .LBB4_3451
.LBB4_3654:                             ;   in Loop: Header=BB4_3307 Depth=3
	v_cmp_ne_u16_sdwa s23, v108, v2 src0_sel:BYTE_0 src1_sel:DWORD
	v_mov_b32_e32 v109, 0
	s_andn2_b32 s16, s16, exec_lo
	s_and_b32 s23, s23, exec_lo
	s_or_b32 s16, s16, s23
	s_or_b32 exec_lo, exec_lo, s19
	s_and_saveexec_b32 s19, s16
	s_cbranch_execnz .LBB4_3452
	s_branch .LBB4_3453
.LBB4_3655:                             ;   in Loop: Header=BB4_3307 Depth=3
	s_or_saveexec_b32 s19, s19
	v_mov_b32_e32 v108, 0x7f800001
	s_xor_b32 exec_lo, exec_lo, s19
	s_cbranch_execz .LBB4_3457
.LBB4_3656:                             ;   in Loop: Header=BB4_3307 Depth=3
	v_cmp_ne_u16_sdwa s23, v107, v2 src0_sel:BYTE_0 src1_sel:DWORD
	v_mov_b32_e32 v108, 0
	s_andn2_b32 s16, s16, exec_lo
	s_and_b32 s23, s23, exec_lo
	s_or_b32 s16, s16, s23
	s_or_b32 exec_lo, exec_lo, s19
	s_and_saveexec_b32 s19, s16
	s_cbranch_execnz .LBB4_3458
	s_branch .LBB4_3459
.LBB4_3657:                             ;   in Loop: Header=BB4_3307 Depth=3
	s_or_saveexec_b32 s19, s19
	v_mov_b32_e32 v108, 0x7f800001
	s_xor_b32 exec_lo, exec_lo, s19
	s_cbranch_execz .LBB4_3471
.LBB4_3658:                             ;   in Loop: Header=BB4_3307 Depth=3
	v_cmp_ne_u16_sdwa s23, v105, v2 src0_sel:BYTE_0 src1_sel:DWORD
	v_mov_b32_e32 v108, 0
	s_andn2_b32 s16, s16, exec_lo
	s_and_b32 s23, s23, exec_lo
	s_or_b32 s16, s16, s23
	s_or_b32 exec_lo, exec_lo, s19
	s_and_saveexec_b32 s19, s16
	s_cbranch_execnz .LBB4_3472
	s_branch .LBB4_3473
.LBB4_3659:                             ;   in Loop: Header=BB4_3307 Depth=3
	s_or_saveexec_b32 s19, s19
	v_mov_b32_e32 v105, 0x7f800001
	s_xor_b32 exec_lo, exec_lo, s19
	s_cbranch_execz .LBB4_3477
.LBB4_3660:                             ;   in Loop: Header=BB4_3307 Depth=3
	v_cmp_ne_u16_sdwa s23, v104, v2 src0_sel:BYTE_0 src1_sel:DWORD
	v_mov_b32_e32 v105, 0
	s_andn2_b32 s16, s16, exec_lo
	s_and_b32 s23, s23, exec_lo
	s_or_b32 s16, s16, s23
	s_or_b32 exec_lo, exec_lo, s19
	s_and_saveexec_b32 s19, s16
	s_cbranch_execnz .LBB4_3478
	s_branch .LBB4_3479
.LBB4_3661:                             ;   in Loop: Header=BB4_3307 Depth=3
	s_or_saveexec_b32 s19, s19
	v_mov_b32_e32 v105, 0x7f800001
	s_xor_b32 exec_lo, exec_lo, s19
	s_cbranch_execz .LBB4_3491
.LBB4_3662:                             ;   in Loop: Header=BB4_3307 Depth=3
	v_cmp_ne_u16_sdwa s23, v94, v2 src0_sel:BYTE_0 src1_sel:DWORD
	v_mov_b32_e32 v105, 0
	s_andn2_b32 s16, s16, exec_lo
	s_and_b32 s23, s23, exec_lo
	s_or_b32 s16, s16, s23
	s_or_b32 exec_lo, exec_lo, s19
	s_and_saveexec_b32 s19, s16
	s_cbranch_execnz .LBB4_3492
	s_branch .LBB4_3493
.LBB4_3663:                             ;   in Loop: Header=BB4_3307 Depth=3
	s_or_saveexec_b32 s19, s19
	v_mov_b32_e32 v94, 0x7f800001
	s_xor_b32 exec_lo, exec_lo, s19
	s_cbranch_execz .LBB4_3497
.LBB4_3664:                             ;   in Loop: Header=BB4_3307 Depth=3
	v_cmp_ne_u16_sdwa s23, v93, v2 src0_sel:BYTE_0 src1_sel:DWORD
	v_mov_b32_e32 v94, 0
	s_andn2_b32 s16, s16, exec_lo
	s_and_b32 s23, s23, exec_lo
	s_or_b32 s16, s16, s23
	s_or_b32 exec_lo, exec_lo, s19
	s_and_saveexec_b32 s19, s16
	s_cbranch_execnz .LBB4_3498
	s_branch .LBB4_3499
.LBB4_3665:                             ;   in Loop: Header=BB4_3307 Depth=3
	s_or_saveexec_b32 s19, s19
	v_mov_b32_e32 v94, 0x7f800001
	s_xor_b32 exec_lo, exec_lo, s19
	s_cbranch_execz .LBB4_3511
.LBB4_3666:                             ;   in Loop: Header=BB4_3307 Depth=3
	v_cmp_ne_u16_sdwa s23, v91, v2 src0_sel:BYTE_0 src1_sel:DWORD
	v_mov_b32_e32 v94, 0
	s_andn2_b32 s16, s16, exec_lo
	s_and_b32 s23, s23, exec_lo
	s_or_b32 s16, s16, s23
	s_or_b32 exec_lo, exec_lo, s19
	s_and_saveexec_b32 s19, s16
	s_cbranch_execnz .LBB4_3512
	s_branch .LBB4_3513
.LBB4_3667:                             ;   in Loop: Header=BB4_3307 Depth=3
	s_or_saveexec_b32 s19, s19
	v_mov_b32_e32 v91, 0x7f800001
	s_xor_b32 exec_lo, exec_lo, s19
	s_cbranch_execz .LBB4_3517
.LBB4_3668:                             ;   in Loop: Header=BB4_3307 Depth=3
	v_cmp_ne_u16_sdwa s23, v90, v2 src0_sel:BYTE_0 src1_sel:DWORD
	v_mov_b32_e32 v91, 0
	s_andn2_b32 s16, s16, exec_lo
	s_and_b32 s23, s23, exec_lo
	s_or_b32 s16, s16, s23
	s_or_b32 exec_lo, exec_lo, s19
	s_and_saveexec_b32 s19, s16
	s_cbranch_execnz .LBB4_3518
	s_branch .LBB4_3519
.LBB4_3669:                             ;   in Loop: Header=BB4_3307 Depth=3
	s_or_saveexec_b32 s19, s19
	v_mov_b32_e32 v91, 0x7f800001
	s_xor_b32 exec_lo, exec_lo, s19
	s_cbranch_execz .LBB4_3531
.LBB4_3670:                             ;   in Loop: Header=BB4_3307 Depth=3
	v_cmp_ne_u16_sdwa s23, v88, v2 src0_sel:BYTE_0 src1_sel:DWORD
	v_mov_b32_e32 v91, 0
	s_andn2_b32 s16, s16, exec_lo
	s_and_b32 s23, s23, exec_lo
	s_or_b32 s16, s16, s23
	s_or_b32 exec_lo, exec_lo, s19
	s_and_saveexec_b32 s19, s16
	s_cbranch_execnz .LBB4_3532
	s_branch .LBB4_3533
.LBB4_3671:                             ;   in Loop: Header=BB4_3307 Depth=3
	s_or_saveexec_b32 s19, s19
	v_mov_b32_e32 v88, 0x7f800001
	s_xor_b32 exec_lo, exec_lo, s19
	s_cbranch_execz .LBB4_3537
.LBB4_3672:                             ;   in Loop: Header=BB4_3307 Depth=3
	v_cmp_ne_u16_sdwa s23, v99, v2 src0_sel:BYTE_0 src1_sel:DWORD
	v_mov_b32_e32 v88, 0
	s_andn2_b32 s16, s16, exec_lo
	s_and_b32 s23, s23, exec_lo
	s_or_b32 s16, s16, s23
	s_or_b32 exec_lo, exec_lo, s19
	s_and_saveexec_b32 s19, s16
	s_cbranch_execnz .LBB4_3538
	s_branch .LBB4_3539
.LBB4_3673:                             ;   in Loop: Header=BB4_3307 Depth=3
	s_or_saveexec_b32 s19, s19
	v_mov_b32_e32 v88, 0x7f800001
	s_xor_b32 exec_lo, exec_lo, s19
	s_cbranch_execz .LBB4_3551
.LBB4_3674:                             ;   in Loop: Header=BB4_3307 Depth=3
	v_cmp_ne_u16_sdwa s23, v98, v2 src0_sel:BYTE_0 src1_sel:DWORD
	v_mov_b32_e32 v88, 0
	s_andn2_b32 s16, s16, exec_lo
	s_and_b32 s23, s23, exec_lo
	s_or_b32 s16, s16, s23
	s_or_b32 exec_lo, exec_lo, s19
	s_and_saveexec_b32 s19, s16
	s_cbranch_execnz .LBB4_3552
	s_branch .LBB4_3553
.LBB4_3675:                             ;   in Loop: Header=BB4_3307 Depth=3
	s_or_saveexec_b32 s19, s19
	v_mov_b32_e32 v98, 0x7f800001
	s_xor_b32 exec_lo, exec_lo, s19
	s_cbranch_execz .LBB4_3557
.LBB4_3676:                             ;   in Loop: Header=BB4_3307 Depth=3
	v_cmp_ne_u16_sdwa s23, v96, v2 src0_sel:BYTE_0 src1_sel:DWORD
	v_mov_b32_e32 v98, 0
	s_andn2_b32 s16, s16, exec_lo
	s_and_b32 s23, s23, exec_lo
	s_or_b32 s16, s16, s23
	s_or_b32 exec_lo, exec_lo, s19
	s_and_saveexec_b32 s19, s16
	s_cbranch_execnz .LBB4_3558
	s_branch .LBB4_3559
.LBB4_3677:                             ;   in Loop: Header=BB4_3307 Depth=3
	s_or_saveexec_b32 s19, s19
	v_mov_b32_e32 v98, 0x7f800001
	s_xor_b32 exec_lo, exec_lo, s19
	s_cbranch_execz .LBB4_3571
.LBB4_3678:                             ;   in Loop: Header=BB4_3307 Depth=3
	v_cmp_ne_u16_sdwa s23, v87, v2 src0_sel:BYTE_0 src1_sel:DWORD
	v_mov_b32_e32 v98, 0
	s_andn2_b32 s16, s16, exec_lo
	s_and_b32 s23, s23, exec_lo
	s_or_b32 s16, s16, s23
	s_or_b32 exec_lo, exec_lo, s19
	s_and_saveexec_b32 s19, s16
	s_cbranch_execnz .LBB4_3572
	s_branch .LBB4_3573
.LBB4_3679:                             ;   in Loop: Header=BB4_3307 Depth=3
	s_or_saveexec_b32 s19, s19
	v_mov_b32_e32 v87, 0x7f800001
	s_xor_b32 exec_lo, exec_lo, s19
	s_cbranch_execz .LBB4_3577
.LBB4_3680:                             ;   in Loop: Header=BB4_3307 Depth=3
	v_cmp_ne_u16_sdwa s23, v86, v2 src0_sel:BYTE_0 src1_sel:DWORD
	v_mov_b32_e32 v87, 0
	s_andn2_b32 s16, s16, exec_lo
	s_and_b32 s23, s23, exec_lo
	s_or_b32 s16, s16, s23
	s_or_b32 exec_lo, exec_lo, s19
	s_and_saveexec_b32 s19, s16
	s_cbranch_execnz .LBB4_3578
	s_branch .LBB4_3579
.LBB4_3681:                             ;   in Loop: Header=BB4_3307 Depth=3
	s_or_saveexec_b32 s19, s19
	v_mov_b32_e32 v87, 0x7f800001
	s_xor_b32 exec_lo, exec_lo, s19
	s_cbranch_execz .LBB4_3591
.LBB4_3682:                             ;   in Loop: Header=BB4_3307 Depth=3
	v_cmp_ne_u16_sdwa s23, v84, v2 src0_sel:BYTE_0 src1_sel:DWORD
	v_mov_b32_e32 v87, 0
	s_andn2_b32 s16, s16, exec_lo
	s_and_b32 s23, s23, exec_lo
	s_or_b32 s16, s16, s23
	s_or_b32 exec_lo, exec_lo, s19
	s_and_saveexec_b32 s19, s16
	s_cbranch_execnz .LBB4_3592
	s_branch .LBB4_3593
.LBB4_3683:                             ;   in Loop: Header=BB4_3307 Depth=3
	s_or_saveexec_b32 s19, s19
	v_mov_b32_e32 v84, 0x7f800001
	s_xor_b32 exec_lo, exec_lo, s19
	s_cbranch_execz .LBB4_3597
.LBB4_3684:                             ;   in Loop: Header=BB4_3307 Depth=3
	v_cmp_ne_u16_sdwa s23, v83, v2 src0_sel:BYTE_0 src1_sel:DWORD
	v_mov_b32_e32 v84, 0
	s_andn2_b32 s16, s16, exec_lo
	s_and_b32 s23, s23, exec_lo
	s_or_b32 s16, s16, s23
	s_or_b32 exec_lo, exec_lo, s19
	s_and_saveexec_b32 s19, s16
	s_cbranch_execnz .LBB4_3598
	s_branch .LBB4_3599
.LBB4_3685:                             ;   in Loop: Header=BB4_3307 Depth=3
	s_or_saveexec_b32 s19, s19
	v_mov_b32_e32 v84, 0x7f800001
	s_xor_b32 exec_lo, exec_lo, s19
	s_cbranch_execz .LBB4_3611
.LBB4_3686:                             ;   in Loop: Header=BB4_3307 Depth=3
	v_cmp_ne_u16_sdwa s23, v23, v2 src0_sel:BYTE_0 src1_sel:DWORD
	v_mov_b32_e32 v84, 0
	s_andn2_b32 s16, s16, exec_lo
	s_and_b32 s23, s23, exec_lo
	s_or_b32 s16, s16, s23
	s_or_b32 exec_lo, exec_lo, s19
	s_and_saveexec_b32 s19, s16
	s_cbranch_execnz .LBB4_3612
	s_branch .LBB4_3613
.LBB4_3687:                             ;   in Loop: Header=BB4_3307 Depth=3
	s_or_saveexec_b32 s19, s19
	v_mov_b32_e32 v23, 0x7f800001
	s_xor_b32 exec_lo, exec_lo, s19
	s_cbranch_execz .LBB4_3617
.LBB4_3688:                             ;   in Loop: Header=BB4_3307 Depth=3
	v_cmp_ne_u16_sdwa s23, v22, v2 src0_sel:BYTE_0 src1_sel:DWORD
	v_mov_b32_e32 v23, 0
	s_andn2_b32 s16, s16, exec_lo
	s_and_b32 s23, s23, exec_lo
	s_or_b32 s16, s16, s23
	s_or_b32 exec_lo, exec_lo, s19
	s_and_saveexec_b32 s19, s16
	s_cbranch_execnz .LBB4_3618
	s_branch .LBB4_3619
.LBB4_3689:                             ;   in Loop: Header=BB4_2055 Depth=2
	s_or_b32 exec_lo, exec_lo, s18
.LBB4_3690:                             ;   in Loop: Header=BB4_2055 Depth=2
	s_or_b32 exec_lo, exec_lo, s17
	v_lshlrev_b32_e32 v8, 9, v21
	v_cmp_ne_u32_e32 vcc_lo, v17, v8
	s_and_b32 exec_lo, exec_lo, vcc_lo
	s_cbranch_execz .LBB4_3720
; %bb.3691:                             ;   in Loop: Header=BB4_2055 Depth=2
	v_add_nc_u32_e32 v9, v18, v20
	v_lshlrev_b32_e32 v10, 5, v19
	v_and_b32_e32 v9, 0xffffffe0, v9
	v_sub_nc_u32_e32 v9, v18, v9
	v_sub_nc_u32_e32 v9, v9, v10
	v_add_nc_u32_e32 v8, v8, v9
	v_sub_nc_u32_e32 v17, v17, v8
	v_cmp_lt_i32_e32 vcc_lo, 0, v17
	s_and_b32 exec_lo, exec_lo, vcc_lo
	s_cbranch_execz .LBB4_3720
; %bb.3692:                             ;   in Loop: Header=BB4_2055 Depth=2
	s_trap 2
	ds_read_b128 v[9:12], v0
	v_add_nc_u32_e32 v13, v8, v16
	s_mov_b32 s23, 0
	v_ashrrev_i32_e32 v14, 31, v13
	s_waitcnt lgkmcnt(0)
	v_add_co_u32 v8, vcc_lo, v9, v13
	v_add_co_ci_u32_e64 v9, null, v10, v14, vcc_lo
	v_add_co_u32 v10, vcc_lo, v11, v13
	v_add_co_ci_u32_e64 v11, null, v12, v14, vcc_lo
	v_mov_b32_e32 v13, v9
	v_mov_b32_e32 v12, v8
	;; [unrolled: 1-line block ×4, first 2 shown]
.LBB4_3693:                             ;   Parent Loop BB4_47 Depth=1
                                        ;     Parent Loop BB4_2055 Depth=2
                                        ; =>    This Loop Header: Depth=3
                                        ;         Child Loop BB4_3714 Depth 4
	flat_load_ubyte v19, v[12:13] slc
	flat_load_ubyte v16, v[14:15] slc
	s_mov_b32 s16, 0
	s_mov_b32 s17, exec_lo
	s_waitcnt vmcnt(1) lgkmcnt(1)
	v_cmpx_lt_i16_e32 0x7f, v19
	s_xor_b32 s17, exec_lo, s17
	s_cbranch_execz .LBB4_3716
; %bb.3694:                             ;   in Loop: Header=BB4_3693 Depth=3
	s_mov_b32 s16, -1
	s_mov_b32 s18, exec_lo
	v_cmpx_eq_u16_e32 0x80, v19
; %bb.3695:                             ;   in Loop: Header=BB4_3693 Depth=3
	s_xor_b32 s16, exec_lo, -1
; %bb.3696:                             ;   in Loop: Header=BB4_3693 Depth=3
	s_or_b32 exec_lo, exec_lo, s18
	s_and_b32 s16, s16, exec_lo
	s_or_saveexec_b32 s17, s17
	v_mov_b32_e32 v18, 0x7f800001
	s_xor_b32 exec_lo, exec_lo, s17
	s_cbranch_execnz .LBB4_3717
.LBB4_3697:                             ;   in Loop: Header=BB4_3693 Depth=3
	s_or_b32 exec_lo, exec_lo, s17
	s_and_saveexec_b32 s17, s16
	s_cbranch_execz .LBB4_3699
.LBB4_3698:                             ;   in Loop: Header=BB4_3693 Depth=3
	v_and_b32_e32 v18, 0xffff, v19
	v_lshlrev_b32_e32 v19, 24, v19
	v_and_b32_e32 v20, 3, v18
	v_bfe_u32 v23, v18, 2, 5
	v_and_b32_e32 v19, 0x80000000, v19
	v_ffbh_u32_e32 v21, v20
	v_cmp_eq_u32_e32 vcc_lo, 0, v23
	v_min_u32_e32 v21, 32, v21
	v_subrev_nc_u32_e32 v22, 29, v21
	v_sub_nc_u32_e32 v21, 30, v21
	v_lshlrev_b32_e32 v18, v22, v18
	v_cndmask_b32_e32 v21, v23, v21, vcc_lo
	v_and_b32_e32 v18, 3, v18
	v_cndmask_b32_e32 v18, v20, v18, vcc_lo
	v_lshl_add_u32 v20, v21, 23, 0x37800000
	v_lshlrev_b32_e32 v18, 21, v18
	v_or3_b32 v18, v19, v20, v18
.LBB4_3699:                             ;   in Loop: Header=BB4_3693 Depth=3
	s_or_b32 exec_lo, exec_lo, s17
	s_waitcnt vmcnt(0) lgkmcnt(0)
	v_cmp_gt_i16_sdwa s17, v16, v115 src0_sel:BYTE_0 src1_sel:DWORD
	s_mov_b32 s16, 0
	s_and_saveexec_b32 s18, s17
	s_xor_b32 s17, exec_lo, s18
	s_cbranch_execz .LBB4_3718
; %bb.3700:                             ;   in Loop: Header=BB4_3693 Depth=3
	v_cmp_eq_u16_sdwa s19, v16, v116 src0_sel:BYTE_0 src1_sel:DWORD
	s_mov_b32 s16, -1
	s_and_saveexec_b32 s18, s19
; %bb.3701:                             ;   in Loop: Header=BB4_3693 Depth=3
	s_xor_b32 s16, exec_lo, -1
; %bb.3702:                             ;   in Loop: Header=BB4_3693 Depth=3
	s_or_b32 exec_lo, exec_lo, s18
	s_and_b32 s16, s16, exec_lo
	s_or_saveexec_b32 s17, s17
	v_mov_b32_e32 v19, 0x7f800001
	s_xor_b32 exec_lo, exec_lo, s17
	s_cbranch_execnz .LBB4_3719
.LBB4_3703:                             ;   in Loop: Header=BB4_3693 Depth=3
	s_or_b32 exec_lo, exec_lo, s17
	s_and_saveexec_b32 s17, s16
	s_cbranch_execz .LBB4_3705
.LBB4_3704:                             ;   in Loop: Header=BB4_3693 Depth=3
	v_and_b32_e32 v19, 3, v16
	v_lshrrev_b16 v21, 2, v16
	v_ffbh_u32_e32 v20, v19
	v_and_b32_e32 v21, 31, v21
	v_min_u32_e32 v20, 32, v20
	v_cmp_eq_u32_e32 vcc_lo, 0, v21
	v_subrev_nc_u32_e32 v22, 29, v20
	v_sub_nc_u32_e32 v20, 30, v20
	v_lshlrev_b32_e32 v22, v22, v16
	v_lshlrev_b32_e32 v16, 24, v16
	v_cndmask_b32_e32 v20, v21, v20, vcc_lo
	v_and_b32_e32 v22, 3, v22
	v_and_b32_e32 v16, 0x80000000, v16
	v_lshl_add_u32 v20, v20, 23, 0x37800000
	v_cndmask_b32_e32 v19, v19, v22, vcc_lo
	v_lshlrev_b32_e32 v19, 21, v19
	v_or3_b32 v19, v16, v20, v19
.LBB4_3705:                             ;   in Loop: Header=BB4_3693 Depth=3
	s_or_b32 exec_lo, exec_lo, s17
	v_mul_f32_e32 v16, v18, v19
	v_and_b32_e32 v18, 0x7f800000, v16
	v_cmp_ne_u32_e32 vcc_lo, 0x7f800000, v18
	v_mov_b32_e32 v18, 0x80
	s_and_saveexec_b32 s17, vcc_lo
	s_cbranch_execz .LBB4_3713
; %bb.3706:                             ;   in Loop: Header=BB4_3693 Depth=3
	v_mov_b32_e32 v18, 0
	s_mov_b32 s18, exec_lo
	v_cmpx_ne_u32_e32 0, v16
	s_cbranch_execz .LBB4_3712
; %bb.3707:                             ;   in Loop: Header=BB4_3693 Depth=3
	v_bfe_u32 v18, v16, 23, 8
	v_and_b32_e32 v19, 0x7fffff, v16
	v_sub_nc_u32_e32 v20, 0x70, v18
	v_cmp_gt_u32_e32 vcc_lo, 0x71, v18
	v_or_b32_e32 v21, 0x800000, v19
	v_cndmask_b32_e32 v20, 0, v20, vcc_lo
	v_cmp_eq_u32_e32 vcc_lo, 0, v18
	v_add_nc_u32_e32 v18, 0xffffff91, v18
	v_cndmask_b32_e64 v20, v20, 0x6f, vcc_lo
	v_cndmask_b32_e32 v19, v21, v19, vcc_lo
	v_cndmask_b32_e64 v18, v18, 0xffffff92, vcc_lo
	v_lshl_add_u32 v21, 0x200000, v20, -1
	v_lshrrev_b32_e32 v22, v20, v19
	v_lshlrev_b32_e64 v26, v20, 0x100000
	v_add_nc_u32_e32 v20, v20, v18
	v_and_b32_e32 v19, v21, v19
	v_bfe_u32 v23, v22, 21, 1
	v_cmp_eq_u32_e64 s16, v19, v26
	v_add_nc_u32_e32 v21, -1, v23
	v_cndmask_b32_e64 v19, 0, v21, s16
	v_lshrrev_b32_e32 v21, 23, v22
	s_mov_b32 s16, exec_lo
	v_add_nc_u32_e32 v19, v19, v22
	v_xor_b32_e32 v21, 1, v21
	v_and_b32_e32 v18, 0x1fffff, v19
	v_add_nc_u32_e32 v19, v18, v22
                                        ; implicit-def: $vgpr18
	v_cmpx_ne_u32_e64 v20, v21
	s_xor_b32 s16, exec_lo, s16
; %bb.3708:                             ;   in Loop: Header=BB4_3693 Depth=3
	v_cmp_lt_u32_e32 vcc_lo, 0xffffff, v19
	v_sub_nc_u32_e32 v18, v20, v21
	v_cndmask_b32_e64 v20, 0, 1, vcc_lo
	v_add_co_ci_u32_e64 v18, null, 0, v18, vcc_lo
	v_lshrrev_b32_e32 v19, v20, v19
; %bb.3709:                             ;   in Loop: Header=BB4_3693 Depth=3
	s_andn2_saveexec_b32 s16, s16
; %bb.3710:                             ;   in Loop: Header=BB4_3693 Depth=3
	v_bfe_u32 v18, v19, 23, 1
; %bb.3711:                             ;   in Loop: Header=BB4_3693 Depth=3
	s_or_b32 exec_lo, exec_lo, s16
	v_lshrrev_b32_e32 v19, 21, v19
	v_cmp_gt_i32_e32 vcc_lo, 32, v18
	v_min_i32_e32 v20, 31, v18
	v_and_b32_sdwa v16, v16, v116 dst_sel:DWORD dst_unused:UNUSED_PAD src0_sel:BYTE_3 src1_sel:DWORD
	v_cndmask_b32_e32 v19, 3, v19, vcc_lo
	v_lshlrev_b32_e32 v20, 2, v20
	v_and_b32_e32 v21, 3, v19
	v_or_b32_e32 v18, v18, v19
	v_or3_b32 v16, v20, v16, v21
	v_cmp_ne_u32_e32 vcc_lo, 0, v18
	v_cndmask_b32_e32 v18, 0, v16, vcc_lo
.LBB4_3712:                             ;   in Loop: Header=BB4_3693 Depth=3
	s_or_b32 exec_lo, exec_lo, s18
.LBB4_3713:                             ;   in Loop: Header=BB4_3693 Depth=3
	s_or_b32 exec_lo, exec_lo, s17
	s_mov_b64 s[18:19], 0
	s_mov_b32 s72, -1
	.p2align	6
.LBB4_3714:                             ;   Parent Loop BB4_47 Depth=1
                                        ;     Parent Loop BB4_2055 Depth=2
                                        ;       Parent Loop BB4_3693 Depth=3
                                        ; =>      This Inner Loop Header: Depth=4
	s_cmp_eq_u32 s18, 1
	s_cselect_b32 vcc_lo, -1, 0
	s_cmp_eq_u32 s18, 0
	v_cndmask_b32_e32 v19, v8, v10, vcc_lo
	v_cndmask_b32_e32 v20, v9, v11, vcc_lo
	s_mov_b64 s[18:19], 1
	v_add_co_u32 v16, s16, v19, 32
	v_add_co_ci_u32_e64 v21, null, 0, v20, s16
	s_cselect_b32 s16, -1, 0
	v_cndmask_b32_e32 v10, v10, v16, vcc_lo
	v_cndmask_b32_e64 v8, v8, v16, s16
	v_cndmask_b32_e32 v11, v11, v21, vcc_lo
	v_cndmask_b32_e64 v9, v9, v21, s16
	s_and_b32 s17, exec_lo, s72
	s_mov_b32 s72, 0
	s_mov_b32 vcc_lo, s17
	flat_store_byte v[19:20], v18 glc slc
	s_cbranch_vccnz .LBB4_3714
; %bb.3715:                             ;   in Loop: Header=BB4_3693 Depth=3
	v_add_co_u32 v12, vcc_lo, v12, v59
	v_sub_nc_u32_e32 v17, v17, v112
	v_add_co_ci_u32_e64 v13, null, v13, v60, vcc_lo
	v_add_co_u32 v14, vcc_lo, v14, v59
	v_add_co_ci_u32_e64 v15, null, v15, v60, vcc_lo
	v_add_co_u32 v8, vcc_lo, v8, v45
	v_add_co_ci_u32_e64 v9, null, v9, v47, vcc_lo
	v_cmp_gt_i32_e32 vcc_lo, 1, v17
	v_add_co_u32 v10, s16, v10, v45
	v_add_co_ci_u32_e64 v11, null, v11, v47, s16
	s_or_b32 s23, vcc_lo, s23
	s_andn2_b32 exec_lo, exec_lo, s23
	s_cbranch_execnz .LBB4_3693
	s_branch .LBB4_3720
.LBB4_3716:                             ;   in Loop: Header=BB4_3693 Depth=3
	s_or_saveexec_b32 s17, s17
	v_mov_b32_e32 v18, 0x7f800001
	s_xor_b32 exec_lo, exec_lo, s17
	s_cbranch_execz .LBB4_3697
.LBB4_3717:                             ;   in Loop: Header=BB4_3693 Depth=3
	v_cmp_ne_u16_e32 vcc_lo, 0, v19
	v_mov_b32_e32 v18, 0
	s_andn2_b32 s16, s16, exec_lo
	s_and_b32 s18, vcc_lo, exec_lo
	s_or_b32 s16, s16, s18
	s_or_b32 exec_lo, exec_lo, s17
	s_and_saveexec_b32 s17, s16
	s_cbranch_execnz .LBB4_3698
	s_branch .LBB4_3699
.LBB4_3718:                             ;   in Loop: Header=BB4_3693 Depth=3
	s_or_saveexec_b32 s17, s17
	v_mov_b32_e32 v19, 0x7f800001
	s_xor_b32 exec_lo, exec_lo, s17
	s_cbranch_execz .LBB4_3703
.LBB4_3719:                             ;   in Loop: Header=BB4_3693 Depth=3
	v_cmp_ne_u16_sdwa s18, v16, v2 src0_sel:BYTE_0 src1_sel:DWORD
	v_mov_b32_e32 v19, 0
	s_andn2_b32 s16, s16, exec_lo
	s_and_b32 s18, s18, exec_lo
	s_or_b32 s16, s16, s18
	s_or_b32 exec_lo, exec_lo, s17
	s_and_saveexec_b32 s17, s16
	s_cbranch_execnz .LBB4_3704
	s_branch .LBB4_3705
.LBB4_3720:                             ;   in Loop: Header=BB4_2055 Depth=2
	s_or_b32 exec_lo, exec_lo, s22
	s_mov_b32 s16, 0
.LBB4_3721:                             ;   in Loop: Header=BB4_2055 Depth=2
	s_and_b32 vcc_lo, exec_lo, s16
	s_cbranch_vccz .LBB4_5310
; %bb.3722:                             ;   in Loop: Header=BB4_2055 Depth=2
	s_mov_b32 s16, -1
	s_and_saveexec_b32 s17, s15
	s_cbranch_execz .LBB4_3724
; %bb.3723:                             ;   in Loop: Header=BB4_2055 Depth=2
	ds_read_b32 v8, v0 offset:720
	s_waitcnt lgkmcnt(0)
	v_and_b32_e32 v8, 15, v8
	v_cmp_eq_u32_e32 vcc_lo, 0, v8
	s_orn2_b32 s16, vcc_lo, exec_lo
.LBB4_3724:                             ;   in Loop: Header=BB4_2055 Depth=2
	s_or_b32 exec_lo, exec_lo, s17
	s_and_saveexec_b32 s17, s12
	s_cbranch_execz .LBB4_3726
; %bb.3725:                             ;   in Loop: Header=BB4_2055 Depth=2
	ds_read_b32 v8, v0 offset:784
	s_waitcnt lgkmcnt(0)
	v_and_b32_e32 v8, 15, v8
	v_cmp_eq_u32_e32 vcc_lo, 0, v8
	s_and_b32 s18, s16, vcc_lo
	s_andn2_b32 s16, s16, exec_lo
	s_and_b32 s18, s18, exec_lo
	s_or_b32 s16, s16, s18
.LBB4_3726:                             ;   in Loop: Header=BB4_2055 Depth=2
	s_or_b32 exec_lo, exec_lo, s17
	s_xor_b32 s16, s16, -1
	v_mov_b32_e32 v14, 0
	v_cndmask_b32_e64 v8, 0, 1, s16
	v_mov_b32_e32 v15, v79
	v_mov_b32_e32 v16, v0
	s_mov_b32 s16, -1
	v_cmp_ne_u32_e32 vcc_lo, 0, v8
	v_mov_b32_e32 v8, v56
	s_cbranch_vccz .LBB4_3728
; %bb.3727:                             ;   in Loop: Header=BB4_2055 Depth=2
	s_and_saveexec_b32 s17, s16
	s_cbranch_execnz .LBB4_4893
	s_branch .LBB4_5309
.LBB4_3728:                             ;   in Loop: Header=BB4_2055 Depth=2
	v_ashrrev_i32_e32 v8, 31, v79
	s_mov_b32 s17, exec_lo
	v_lshrrev_b32_e32 v8, 22, v8
	v_add_nc_u32_e32 v8, v79, v8
	v_ashrrev_i32_e32 v97, 10, v8
	v_sub_nc_u32_e32 v96, v97, v56
	v_cmpx_lt_i32_e32 0, v96
	s_cbranch_execz .LBB4_4500
; %bb.3729:                             ;   in Loop: Header=BB4_2055 Depth=2
	s_trap 2
	ds_read_b64 v[8:9], v0
	v_add_co_u32 v82, vcc_lo, v69, v72
	v_add_co_ci_u32_e64 v83, null, v70, v74, vcc_lo
	s_mov_b32 s18, 0
	s_waitcnt lgkmcnt(0)
	v_add_co_u32 v84, vcc_lo, v8, v72
	v_add_co_ci_u32_e64 v85, null, v9, v74, vcc_lo
	v_add_co_u32 v86, vcc_lo, v80, v72
	v_add_co_ci_u32_e64 v87, null, v81, v74, vcc_lo
	s_branch .LBB4_3733
.LBB4_3730:                             ;   in Loop: Header=BB4_3733 Depth=3
	s_or_b32 exec_lo, exec_lo, s16
	v_lshrrev_b32_e32 v111, 21, v111
	v_min_i32_e32 v120, 31, v15
	v_cmp_gt_i32_e32 vcc_lo, 32, v15
	v_and_b32_sdwa v11, v11, v116 dst_sel:DWORD dst_unused:UNUSED_PAD src0_sel:BYTE_3 src1_sel:DWORD
	v_lshlrev_b32_e32 v120, 2, v120
	v_cndmask_b32_e32 v111, 3, v111, vcc_lo
	v_and_b32_e32 v120, 0xfc, v120
	v_and_b32_e32 v121, 3, v111
	v_or_b32_e32 v15, v15, v111
	v_or3_b32 v11, v11, v120, v121
	v_cmp_ne_u32_e32 vcc_lo, 0, v15
	v_lshlrev_b32_e32 v11, 8, v11
	v_cndmask_b32_e32 v15, 0, v11, vcc_lo
.LBB4_3731:                             ;   in Loop: Header=BB4_3733 Depth=3
	s_or_b32 exec_lo, exec_lo, s22
.LBB4_3732:                             ;   in Loop: Header=BB4_3733 Depth=3
	s_or_b32 exec_lo, exec_lo, s19
	v_or_b32_sdwa v11, v17, v90 dst_sel:WORD_1 dst_unused:UNUSED_PAD src0_sel:DWORD src1_sel:DWORD
	v_or_b32_sdwa v16, v16, v88 dst_sel:WORD_1 dst_unused:UNUSED_PAD src0_sel:DWORD src1_sel:DWORD
	;; [unrolled: 1-line block ×5, first 2 shown]
	v_or3_b32 v17, v89, v20, v11
	v_or_b32_sdwa v11, v19, v94 dst_sel:WORD_1 dst_unused:UNUSED_PAD src0_sel:DWORD src1_sel:DWORD
	v_or_b32_sdwa v10, v10, v108 dst_sel:WORD_1 dst_unused:UNUSED_PAD src0_sel:DWORD src1_sel:DWORD
	v_or_b32_sdwa v15, v15, v110 dst_sel:WORD_1 dst_unused:UNUSED_PAD src0_sel:DWORD src1_sel:DWORD
	v_or3_b32 v16, v99, v98, v16
	v_or3_b32 v18, v91, v21, v18
	;; [unrolled: 1-line block ×3, first 2 shown]
	v_sub_nc_u32_e32 v96, v96, v103
	v_or3_b32 v9, v105, v12, v9
	v_or3_b32 v8, v95, v23, v8
	v_or3_b32 v10, v107, v13, v10
	v_or3_b32 v11, v109, v14, v15
	v_add_co_u32 v82, vcc_lo, v82, v44
	v_add_co_ci_u32_e64 v83, null, 0, v83, vcc_lo
	v_add_co_u32 v84, vcc_lo, v84, v44
	global_store_dwordx4 v[86:87], v[16:19], off glc slc
	global_store_dwordx4 v[86:87], v[8:11], off offset:512 glc slc
	v_add_co_ci_u32_e64 v85, null, 0, v85, vcc_lo
	v_cmp_gt_i32_e32 vcc_lo, 1, v96
	v_add_co_u32 v86, s16, v86, v44
	v_add_co_ci_u32_e64 v87, null, 0, v87, s16
	s_or_b32 s18, vcc_lo, s18
	s_andn2_b32 exec_lo, exec_lo, s18
	s_cbranch_execz .LBB4_4499
.LBB4_3733:                             ;   Parent Loop BB4_47 Depth=1
                                        ;     Parent Loop BB4_2055 Depth=2
                                        ; =>    This Inner Loop Header: Depth=3
	s_clause 0x1
	global_load_dwordx4 v[20:23], v[82:83], off slc
	global_load_dwordx4 v[12:15], v[82:83], off offset:512 slc
	s_clause 0x1
	global_load_dwordx4 v[16:19], v[84:85], off slc
	global_load_dwordx4 v[8:11], v[84:85], off offset:512 slc
	s_mov_b32 s16, 0
	s_waitcnt vmcnt(3)
	v_cmp_gt_i16_sdwa s19, v20, v115 src0_sel:BYTE_0 src1_sel:DWORD
	s_and_saveexec_b32 s22, s19
	s_xor_b32 s19, exec_lo, s22
	s_cbranch_execz .LBB4_4371
; %bb.3734:                             ;   in Loop: Header=BB4_3733 Depth=3
	v_cmp_eq_u16_sdwa s23, v20, v116 src0_sel:BYTE_0 src1_sel:DWORD
	s_mov_b32 s16, -1
	s_and_saveexec_b32 s22, s23
; %bb.3735:                             ;   in Loop: Header=BB4_3733 Depth=3
	s_xor_b32 s16, exec_lo, -1
; %bb.3736:                             ;   in Loop: Header=BB4_3733 Depth=3
	s_or_b32 exec_lo, exec_lo, s22
	s_and_b32 s16, s16, exec_lo
	s_or_saveexec_b32 s19, s19
	v_mov_b32_e32 v98, 0x7f800001
	s_xor_b32 exec_lo, exec_lo, s19
	s_cbranch_execnz .LBB4_4372
.LBB4_3737:                             ;   in Loop: Header=BB4_3733 Depth=3
	s_or_b32 exec_lo, exec_lo, s19
	s_and_saveexec_b32 s19, s16
	s_cbranch_execz .LBB4_3739
.LBB4_3738:                             ;   in Loop: Header=BB4_3733 Depth=3
	v_and_b32_e32 v98, 3, v20
	v_bfe_u32 v89, v20, 2, 5
	v_lshlrev_b32_e32 v90, 24, v20
	v_ffbh_u32_e32 v99, v98
	v_cmp_eq_u32_e32 vcc_lo, 0, v89
	v_min_u32_e32 v99, 32, v99
	v_subrev_nc_u32_e32 v88, 29, v99
	v_sub_nc_u32_e32 v99, 30, v99
	v_lshlrev_b32_e32 v88, v88, v20
	v_cndmask_b32_e32 v99, v89, v99, vcc_lo
	v_and_b32_e32 v88, 3, v88
	v_lshl_add_u32 v99, v99, 23, 0x37800000
	v_cndmask_b32_e32 v98, v98, v88, vcc_lo
	v_and_b32_e32 v88, 0x80000000, v90
	v_lshlrev_b32_e32 v98, 21, v98
	v_or3_b32 v98, v88, v99, v98
.LBB4_3739:                             ;   in Loop: Header=BB4_3733 Depth=3
	s_or_b32 exec_lo, exec_lo, s19
	s_waitcnt vmcnt(1)
	v_cmp_gt_i16_sdwa s19, v16, v115 src0_sel:BYTE_0 src1_sel:DWORD
	s_mov_b32 s16, 0
	s_and_saveexec_b32 s22, s19
	s_xor_b32 s19, exec_lo, s22
	s_cbranch_execz .LBB4_4373
; %bb.3740:                             ;   in Loop: Header=BB4_3733 Depth=3
	v_cmp_eq_u16_sdwa s23, v16, v116 src0_sel:BYTE_0 src1_sel:DWORD
	s_mov_b32 s16, -1
	s_and_saveexec_b32 s22, s23
; %bb.3741:                             ;   in Loop: Header=BB4_3733 Depth=3
	s_xor_b32 s16, exec_lo, -1
; %bb.3742:                             ;   in Loop: Header=BB4_3733 Depth=3
	s_or_b32 exec_lo, exec_lo, s22
	s_and_b32 s16, s16, exec_lo
	s_or_saveexec_b32 s19, s19
	v_mov_b32_e32 v99, 0x7f800001
	s_xor_b32 exec_lo, exec_lo, s19
	s_cbranch_execnz .LBB4_4374
.LBB4_3743:                             ;   in Loop: Header=BB4_3733 Depth=3
	s_or_b32 exec_lo, exec_lo, s19
	s_and_saveexec_b32 s19, s16
	s_cbranch_execz .LBB4_3745
.LBB4_3744:                             ;   in Loop: Header=BB4_3733 Depth=3
	v_and_b32_e32 v99, 3, v16
	v_bfe_u32 v90, v16, 2, 5
	v_lshlrev_b32_e32 v91, 24, v16
	v_ffbh_u32_e32 v88, v99
	v_cmp_eq_u32_e32 vcc_lo, 0, v90
	v_min_u32_e32 v88, 32, v88
	v_subrev_nc_u32_e32 v89, 29, v88
	v_sub_nc_u32_e32 v88, 30, v88
	v_lshlrev_b32_e32 v89, v89, v16
	v_cndmask_b32_e32 v88, v90, v88, vcc_lo
	v_and_b32_e32 v89, 3, v89
	v_lshl_add_u32 v88, v88, 23, 0x37800000
	v_cndmask_b32_e32 v99, v99, v89, vcc_lo
	v_and_b32_e32 v89, 0x80000000, v91
	v_lshlrev_b32_e32 v99, 21, v99
	v_or3_b32 v99, v89, v88, v99
.LBB4_3745:                             ;   in Loop: Header=BB4_3733 Depth=3
	s_or_b32 exec_lo, exec_lo, s19
	v_mul_f32_e32 v99, v98, v99
	v_and_b32_e32 v98, 0x7f800000, v99
	v_cmp_ne_u32_e32 vcc_lo, 0x7f800000, v98
	v_mov_b32_e32 v98, 0x80
	s_and_saveexec_b32 s19, vcc_lo
	s_cbranch_execz .LBB4_3753
; %bb.3746:                             ;   in Loop: Header=BB4_3733 Depth=3
	v_mov_b32_e32 v98, 0
	s_mov_b32 s22, exec_lo
	v_cmpx_ne_u32_e32 0, v99
	s_cbranch_execz .LBB4_3752
; %bb.3747:                             ;   in Loop: Header=BB4_3733 Depth=3
	v_bfe_u32 v98, v99, 23, 8
	v_and_b32_e32 v88, 0x7fffff, v99
	v_sub_nc_u32_e32 v89, 0x70, v98
	v_cmp_gt_u32_e32 vcc_lo, 0x71, v98
	v_or_b32_e32 v90, 0x800000, v88
	v_cndmask_b32_e32 v89, 0, v89, vcc_lo
	v_cmp_eq_u32_e32 vcc_lo, 0, v98
	v_add_nc_u32_e32 v98, 0xffffff91, v98
	v_cndmask_b32_e64 v89, v89, 0x6f, vcc_lo
	v_cndmask_b32_e32 v88, v90, v88, vcc_lo
	v_cndmask_b32_e64 v98, v98, 0xffffff92, vcc_lo
	v_lshl_add_u32 v90, 0x200000, v89, -1
	v_lshrrev_b32_e32 v91, v89, v88
	v_lshlrev_b32_e64 v93, v89, 0x100000
	v_add_nc_u32_e32 v89, v89, v98
	v_and_b32_e32 v88, v90, v88
	v_bfe_u32 v92, v91, 21, 1
	v_cmp_eq_u32_e64 s16, v88, v93
	v_add_nc_u32_e32 v90, -1, v92
	v_cndmask_b32_e64 v88, 0, v90, s16
	v_lshrrev_b32_e32 v90, 23, v91
	s_mov_b32 s16, exec_lo
	v_add_nc_u32_e32 v88, v88, v91
	v_xor_b32_e32 v90, 1, v90
	v_and_b32_e32 v98, 0x1fffff, v88
	v_add_nc_u32_e32 v88, v98, v91
                                        ; implicit-def: $vgpr98
	v_cmpx_ne_u32_e64 v89, v90
	s_xor_b32 s16, exec_lo, s16
; %bb.3748:                             ;   in Loop: Header=BB4_3733 Depth=3
	v_cmp_lt_u32_e32 vcc_lo, 0xffffff, v88
	v_sub_nc_u32_e32 v98, v89, v90
	v_cndmask_b32_e64 v89, 0, 1, vcc_lo
	v_add_co_ci_u32_e64 v98, null, 0, v98, vcc_lo
	v_lshrrev_b32_e32 v88, v89, v88
; %bb.3749:                             ;   in Loop: Header=BB4_3733 Depth=3
	s_andn2_saveexec_b32 s16, s16
; %bb.3750:                             ;   in Loop: Header=BB4_3733 Depth=3
	v_bfe_u32 v98, v88, 23, 1
; %bb.3751:                             ;   in Loop: Header=BB4_3733 Depth=3
	s_or_b32 exec_lo, exec_lo, s16
	v_lshrrev_b32_e32 v88, 21, v88
	v_min_i32_e32 v89, 31, v98
	v_cmp_gt_i32_e32 vcc_lo, 32, v98
	v_and_b32_sdwa v99, v99, v116 dst_sel:DWORD dst_unused:UNUSED_PAD src0_sel:BYTE_3 src1_sel:DWORD
	v_lshlrev_b32_e32 v89, 2, v89
	v_cndmask_b32_e32 v88, 3, v88, vcc_lo
	v_and_b32_e32 v89, 0xfc, v89
	v_and_b32_e32 v90, 3, v88
	v_or_b32_e32 v98, v98, v88
	v_or3_b32 v99, v89, v99, v90
	v_cmp_ne_u32_e32 vcc_lo, 0, v98
	v_cndmask_b32_e32 v98, 0, v99, vcc_lo
.LBB4_3752:                             ;   in Loop: Header=BB4_3733 Depth=3
	s_or_b32 exec_lo, exec_lo, s22
.LBB4_3753:                             ;   in Loop: Header=BB4_3733 Depth=3
	s_or_b32 exec_lo, exec_lo, s19
	v_cmp_gt_i16_sdwa s19, v20, v115 src0_sel:BYTE_1 src1_sel:DWORD
	s_mov_b32 s16, 0
	s_and_saveexec_b32 s22, s19
	s_xor_b32 s19, exec_lo, s22
	s_cbranch_execz .LBB4_4375
; %bb.3754:                             ;   in Loop: Header=BB4_3733 Depth=3
	v_cmp_eq_u16_sdwa s23, v20, v116 src0_sel:BYTE_1 src1_sel:DWORD
	s_mov_b32 s16, -1
	s_and_saveexec_b32 s22, s23
; %bb.3755:                             ;   in Loop: Header=BB4_3733 Depth=3
	s_xor_b32 s16, exec_lo, -1
; %bb.3756:                             ;   in Loop: Header=BB4_3733 Depth=3
	s_or_b32 exec_lo, exec_lo, s22
	s_and_b32 s16, s16, exec_lo
	s_or_saveexec_b32 s19, s19
	v_mov_b32_e32 v99, 0x7f800001
	s_xor_b32 exec_lo, exec_lo, s19
	s_cbranch_execnz .LBB4_4376
.LBB4_3757:                             ;   in Loop: Header=BB4_3733 Depth=3
	s_or_b32 exec_lo, exec_lo, s19
	s_and_saveexec_b32 s19, s16
	s_cbranch_execz .LBB4_3759
.LBB4_3758:                             ;   in Loop: Header=BB4_3733 Depth=3
	v_and_b32_sdwa v99, v117, v20 dst_sel:DWORD dst_unused:UNUSED_PAD src0_sel:DWORD src1_sel:BYTE_1
	v_and_b32_e32 v88, 3, v99
	v_bfe_u32 v91, v99, 2, 5
	v_ffbh_u32_e32 v89, v88
	v_cmp_eq_u32_e32 vcc_lo, 0, v91
	v_min_u32_e32 v89, 32, v89
	v_subrev_nc_u32_e32 v90, 29, v89
	v_sub_nc_u32_e32 v89, 30, v89
	v_lshlrev_b32_e32 v99, v90, v99
	v_lshlrev_b32_sdwa v90, v118, v20 dst_sel:DWORD dst_unused:UNUSED_PAD src0_sel:DWORD src1_sel:BYTE_1
	v_cndmask_b32_e32 v89, v91, v89, vcc_lo
	v_and_b32_e32 v99, 3, v99
	v_lshl_add_u32 v89, v89, 23, 0x37800000
	v_cndmask_b32_e32 v99, v88, v99, vcc_lo
	v_and_b32_e32 v88, 0x80000000, v90
	v_lshlrev_b32_e32 v99, 21, v99
	v_or3_b32 v99, v88, v89, v99
.LBB4_3759:                             ;   in Loop: Header=BB4_3733 Depth=3
	s_or_b32 exec_lo, exec_lo, s19
	v_cmp_gt_i16_sdwa s19, v16, v115 src0_sel:BYTE_1 src1_sel:DWORD
	s_mov_b32 s16, 0
	s_and_saveexec_b32 s22, s19
	s_xor_b32 s19, exec_lo, s22
	s_cbranch_execz .LBB4_4377
; %bb.3760:                             ;   in Loop: Header=BB4_3733 Depth=3
	v_cmp_eq_u16_sdwa s23, v16, v116 src0_sel:BYTE_1 src1_sel:DWORD
	s_mov_b32 s16, -1
	s_and_saveexec_b32 s22, s23
; %bb.3761:                             ;   in Loop: Header=BB4_3733 Depth=3
	s_xor_b32 s16, exec_lo, -1
; %bb.3762:                             ;   in Loop: Header=BB4_3733 Depth=3
	s_or_b32 exec_lo, exec_lo, s22
	s_and_b32 s16, s16, exec_lo
	s_or_saveexec_b32 s19, s19
	v_mov_b32_e32 v88, 0x7f800001
	s_xor_b32 exec_lo, exec_lo, s19
	s_cbranch_execnz .LBB4_4378
.LBB4_3763:                             ;   in Loop: Header=BB4_3733 Depth=3
	s_or_b32 exec_lo, exec_lo, s19
	s_and_saveexec_b32 s19, s16
	s_cbranch_execz .LBB4_3765
.LBB4_3764:                             ;   in Loop: Header=BB4_3733 Depth=3
	v_and_b32_sdwa v88, v117, v16 dst_sel:DWORD dst_unused:UNUSED_PAD src0_sel:DWORD src1_sel:BYTE_1
	v_and_b32_e32 v89, 3, v88
	v_bfe_u32 v92, v88, 2, 5
	v_ffbh_u32_e32 v90, v89
	v_cmp_eq_u32_e32 vcc_lo, 0, v92
	v_min_u32_e32 v90, 32, v90
	v_subrev_nc_u32_e32 v91, 29, v90
	v_sub_nc_u32_e32 v90, 30, v90
	v_lshlrev_b32_e32 v88, v91, v88
	v_lshlrev_b32_sdwa v91, v118, v16 dst_sel:DWORD dst_unused:UNUSED_PAD src0_sel:DWORD src1_sel:BYTE_1
	v_cndmask_b32_e32 v90, v92, v90, vcc_lo
	v_and_b32_e32 v88, 3, v88
	v_lshl_add_u32 v90, v90, 23, 0x37800000
	v_cndmask_b32_e32 v88, v89, v88, vcc_lo
	v_and_b32_e32 v89, 0x80000000, v91
	v_lshlrev_b32_e32 v88, 21, v88
	v_or3_b32 v88, v89, v90, v88
.LBB4_3765:                             ;   in Loop: Header=BB4_3733 Depth=3
	s_or_b32 exec_lo, exec_lo, s19
	v_mul_f32_e32 v88, v99, v88
	v_and_b32_e32 v99, 0x7f800000, v88
	v_cmp_ne_u32_e32 vcc_lo, 0x7f800000, v99
	v_mov_b32_e32 v99, 0x8000
	s_and_saveexec_b32 s19, vcc_lo
	s_cbranch_execz .LBB4_3773
; %bb.3766:                             ;   in Loop: Header=BB4_3733 Depth=3
	v_mov_b32_e32 v99, 0
	s_mov_b32 s22, exec_lo
	v_cmpx_ne_u32_e32 0, v88
	s_cbranch_execz .LBB4_3772
; %bb.3767:                             ;   in Loop: Header=BB4_3733 Depth=3
	v_bfe_u32 v99, v88, 23, 8
	v_and_b32_e32 v89, 0x7fffff, v88
	v_sub_nc_u32_e32 v90, 0x70, v99
	v_cmp_gt_u32_e32 vcc_lo, 0x71, v99
	v_or_b32_e32 v91, 0x800000, v89
	v_cndmask_b32_e32 v90, 0, v90, vcc_lo
	v_cmp_eq_u32_e32 vcc_lo, 0, v99
	v_add_nc_u32_e32 v99, 0xffffff91, v99
	v_cndmask_b32_e64 v90, v90, 0x6f, vcc_lo
	v_cndmask_b32_e32 v89, v91, v89, vcc_lo
	v_cndmask_b32_e64 v99, v99, 0xffffff92, vcc_lo
	v_lshl_add_u32 v91, 0x200000, v90, -1
	v_lshrrev_b32_e32 v92, v90, v89
	v_lshlrev_b32_e64 v94, v90, 0x100000
	v_add_nc_u32_e32 v90, v90, v99
	v_and_b32_e32 v89, v91, v89
	v_bfe_u32 v93, v92, 21, 1
	v_cmp_eq_u32_e64 s16, v89, v94
	v_add_nc_u32_e32 v91, -1, v93
	v_cndmask_b32_e64 v89, 0, v91, s16
	v_lshrrev_b32_e32 v91, 23, v92
	s_mov_b32 s16, exec_lo
	v_add_nc_u32_e32 v89, v89, v92
	v_xor_b32_e32 v91, 1, v91
	v_and_b32_e32 v99, 0x1fffff, v89
	v_add_nc_u32_e32 v89, v99, v92
                                        ; implicit-def: $vgpr99
	v_cmpx_ne_u32_e64 v90, v91
	s_xor_b32 s16, exec_lo, s16
; %bb.3768:                             ;   in Loop: Header=BB4_3733 Depth=3
	v_cmp_lt_u32_e32 vcc_lo, 0xffffff, v89
	v_sub_nc_u32_e32 v99, v90, v91
	v_cndmask_b32_e64 v90, 0, 1, vcc_lo
	v_add_co_ci_u32_e64 v99, null, 0, v99, vcc_lo
	v_lshrrev_b32_e32 v89, v90, v89
; %bb.3769:                             ;   in Loop: Header=BB4_3733 Depth=3
	s_andn2_saveexec_b32 s16, s16
; %bb.3770:                             ;   in Loop: Header=BB4_3733 Depth=3
	v_bfe_u32 v99, v89, 23, 1
; %bb.3771:                             ;   in Loop: Header=BB4_3733 Depth=3
	s_or_b32 exec_lo, exec_lo, s16
	v_lshrrev_b32_e32 v89, 21, v89
	v_min_i32_e32 v90, 31, v99
	v_cmp_gt_i32_e32 vcc_lo, 32, v99
	v_and_b32_sdwa v88, v88, v116 dst_sel:DWORD dst_unused:UNUSED_PAD src0_sel:BYTE_3 src1_sel:DWORD
	v_lshlrev_b32_e32 v90, 2, v90
	v_cndmask_b32_e32 v89, 3, v89, vcc_lo
	v_and_b32_e32 v90, 0xfc, v90
	v_and_b32_e32 v91, 3, v89
	v_or_b32_e32 v99, v99, v89
	v_or3_b32 v88, v88, v90, v91
	v_cmp_ne_u32_e32 vcc_lo, 0, v99
	v_lshlrev_b32_e32 v88, 8, v88
	v_cndmask_b32_e32 v99, 0, v88, vcc_lo
.LBB4_3772:                             ;   in Loop: Header=BB4_3733 Depth=3
	s_or_b32 exec_lo, exec_lo, s22
.LBB4_3773:                             ;   in Loop: Header=BB4_3733 Depth=3
	s_or_b32 exec_lo, exec_lo, s19
	v_and_b32_sdwa v89, v20, v119 dst_sel:DWORD dst_unused:UNUSED_PAD src0_sel:WORD_1 src1_sel:DWORD
	s_mov_b32 s16, 0
	s_mov_b32 s19, exec_lo
	v_cmpx_lt_i16_e32 0x7f, v89
	s_xor_b32 s19, exec_lo, s19
	s_cbranch_execz .LBB4_4379
; %bb.3774:                             ;   in Loop: Header=BB4_3733 Depth=3
	s_mov_b32 s16, -1
	s_mov_b32 s22, exec_lo
	v_cmpx_eq_u16_e32 0x80, v89
; %bb.3775:                             ;   in Loop: Header=BB4_3733 Depth=3
	s_xor_b32 s16, exec_lo, -1
; %bb.3776:                             ;   in Loop: Header=BB4_3733 Depth=3
	s_or_b32 exec_lo, exec_lo, s22
	s_and_b32 s16, s16, exec_lo
                                        ; implicit-def: $vgpr89
	s_or_saveexec_b32 s19, s19
	v_mov_b32_e32 v88, 0x7f800001
	s_xor_b32 exec_lo, exec_lo, s19
	s_cbranch_execnz .LBB4_4380
.LBB4_3777:                             ;   in Loop: Header=BB4_3733 Depth=3
	s_or_b32 exec_lo, exec_lo, s19
	s_and_saveexec_b32 s19, s16
	s_cbranch_execz .LBB4_3779
.LBB4_3778:                             ;   in Loop: Header=BB4_3733 Depth=3
	v_bfe_u32 v88, v20, 16, 2
	v_bfe_u32 v91, v20, 18, 5
	v_lshlrev_b32_e32 v92, 8, v20
	v_ffbh_u32_e32 v89, v88
	v_cmp_eq_u32_e32 vcc_lo, 0, v91
	v_min_u32_e32 v89, 32, v89
	v_subrev_nc_u32_e32 v90, 29, v89
	v_sub_nc_u32_e32 v89, 30, v89
	v_lshlrev_b32_sdwa v90, v90, v20 dst_sel:DWORD dst_unused:UNUSED_PAD src0_sel:DWORD src1_sel:WORD_1
	v_cndmask_b32_e32 v89, v91, v89, vcc_lo
	v_and_b32_e32 v90, 3, v90
	v_lshl_add_u32 v89, v89, 23, 0x37800000
	v_cndmask_b32_e32 v88, v88, v90, vcc_lo
	v_and_b32_e32 v90, 0x80000000, v92
	v_lshlrev_b32_e32 v88, 21, v88
	v_or3_b32 v88, v90, v89, v88
.LBB4_3779:                             ;   in Loop: Header=BB4_3733 Depth=3
	s_or_b32 exec_lo, exec_lo, s19
	v_and_b32_sdwa v90, v16, v119 dst_sel:DWORD dst_unused:UNUSED_PAD src0_sel:WORD_1 src1_sel:DWORD
	s_mov_b32 s16, 0
	s_mov_b32 s19, exec_lo
	v_cmpx_lt_i16_e32 0x7f, v90
	s_xor_b32 s19, exec_lo, s19
	s_cbranch_execz .LBB4_4381
; %bb.3780:                             ;   in Loop: Header=BB4_3733 Depth=3
	s_mov_b32 s16, -1
	s_mov_b32 s22, exec_lo
	v_cmpx_eq_u16_e32 0x80, v90
; %bb.3781:                             ;   in Loop: Header=BB4_3733 Depth=3
	s_xor_b32 s16, exec_lo, -1
; %bb.3782:                             ;   in Loop: Header=BB4_3733 Depth=3
	s_or_b32 exec_lo, exec_lo, s22
	s_and_b32 s16, s16, exec_lo
                                        ; implicit-def: $vgpr90
	s_or_saveexec_b32 s19, s19
	v_mov_b32_e32 v89, 0x7f800001
	s_xor_b32 exec_lo, exec_lo, s19
	s_cbranch_execnz .LBB4_4382
.LBB4_3783:                             ;   in Loop: Header=BB4_3733 Depth=3
	s_or_b32 exec_lo, exec_lo, s19
	s_and_saveexec_b32 s19, s16
	s_cbranch_execz .LBB4_3785
.LBB4_3784:                             ;   in Loop: Header=BB4_3733 Depth=3
	v_bfe_u32 v89, v16, 16, 2
	v_bfe_u32 v92, v16, 18, 5
	v_lshlrev_b32_e32 v93, 8, v16
	v_ffbh_u32_e32 v90, v89
	v_cmp_eq_u32_e32 vcc_lo, 0, v92
	v_min_u32_e32 v90, 32, v90
	v_subrev_nc_u32_e32 v91, 29, v90
	v_sub_nc_u32_e32 v90, 30, v90
	v_lshlrev_b32_sdwa v91, v91, v16 dst_sel:DWORD dst_unused:UNUSED_PAD src0_sel:DWORD src1_sel:WORD_1
	v_cndmask_b32_e32 v90, v92, v90, vcc_lo
	v_and_b32_e32 v91, 3, v91
	v_lshl_add_u32 v90, v90, 23, 0x37800000
	v_cndmask_b32_e32 v89, v89, v91, vcc_lo
	v_and_b32_e32 v91, 0x80000000, v93
	v_lshlrev_b32_e32 v89, 21, v89
	v_or3_b32 v89, v91, v90, v89
.LBB4_3785:                             ;   in Loop: Header=BB4_3733 Depth=3
	s_or_b32 exec_lo, exec_lo, s19
	v_mul_f32_e32 v89, v88, v89
	v_and_b32_e32 v88, 0x7f800000, v89
	v_cmp_ne_u32_e32 vcc_lo, 0x7f800000, v88
	v_mov_b32_e32 v88, 0x80
	s_and_saveexec_b32 s19, vcc_lo
	s_cbranch_execz .LBB4_3793
; %bb.3786:                             ;   in Loop: Header=BB4_3733 Depth=3
	v_mov_b32_e32 v88, 0
	s_mov_b32 s22, exec_lo
	v_cmpx_ne_u32_e32 0, v89
	s_cbranch_execz .LBB4_3792
; %bb.3787:                             ;   in Loop: Header=BB4_3733 Depth=3
	v_bfe_u32 v88, v89, 23, 8
	v_and_b32_e32 v90, 0x7fffff, v89
	v_sub_nc_u32_e32 v91, 0x70, v88
	v_cmp_gt_u32_e32 vcc_lo, 0x71, v88
	v_or_b32_e32 v92, 0x800000, v90
	v_cndmask_b32_e32 v91, 0, v91, vcc_lo
	v_cmp_eq_u32_e32 vcc_lo, 0, v88
	v_add_nc_u32_e32 v88, 0xffffff91, v88
	v_cndmask_b32_e64 v91, v91, 0x6f, vcc_lo
	v_cndmask_b32_e32 v90, v92, v90, vcc_lo
	v_cndmask_b32_e64 v88, v88, 0xffffff92, vcc_lo
	v_lshl_add_u32 v92, 0x200000, v91, -1
	v_lshrrev_b32_e32 v93, v91, v90
	v_lshlrev_b32_e64 v95, v91, 0x100000
	v_add_nc_u32_e32 v91, v91, v88
	v_and_b32_e32 v90, v92, v90
	v_bfe_u32 v94, v93, 21, 1
	v_cmp_eq_u32_e64 s16, v90, v95
	v_add_nc_u32_e32 v92, -1, v94
	v_cndmask_b32_e64 v90, 0, v92, s16
	v_lshrrev_b32_e32 v92, 23, v93
	s_mov_b32 s16, exec_lo
	v_add_nc_u32_e32 v90, v90, v93
	v_xor_b32_e32 v92, 1, v92
	v_and_b32_e32 v88, 0x1fffff, v90
	v_add_nc_u32_e32 v90, v88, v93
                                        ; implicit-def: $vgpr88
	v_cmpx_ne_u32_e64 v91, v92
	s_xor_b32 s16, exec_lo, s16
; %bb.3788:                             ;   in Loop: Header=BB4_3733 Depth=3
	v_cmp_lt_u32_e32 vcc_lo, 0xffffff, v90
	v_sub_nc_u32_e32 v88, v91, v92
	v_cndmask_b32_e64 v91, 0, 1, vcc_lo
	v_add_co_ci_u32_e64 v88, null, 0, v88, vcc_lo
	v_lshrrev_b32_e32 v90, v91, v90
; %bb.3789:                             ;   in Loop: Header=BB4_3733 Depth=3
	s_andn2_saveexec_b32 s16, s16
; %bb.3790:                             ;   in Loop: Header=BB4_3733 Depth=3
	v_bfe_u32 v88, v90, 23, 1
; %bb.3791:                             ;   in Loop: Header=BB4_3733 Depth=3
	s_or_b32 exec_lo, exec_lo, s16
	v_lshrrev_b32_e32 v90, 21, v90
	v_min_i32_e32 v91, 31, v88
	v_cmp_gt_i32_e32 vcc_lo, 32, v88
	v_and_b32_sdwa v89, v89, v116 dst_sel:DWORD dst_unused:UNUSED_PAD src0_sel:BYTE_3 src1_sel:DWORD
	v_lshlrev_b32_e32 v91, 2, v91
	v_cndmask_b32_e32 v90, 3, v90, vcc_lo
	v_and_b32_e32 v91, 0xfc, v91
	v_and_b32_e32 v92, 3, v90
	v_or_b32_e32 v88, v88, v90
	v_or3_b32 v89, v91, v89, v92
	v_cmp_ne_u32_e32 vcc_lo, 0, v88
	v_cndmask_b32_e32 v88, 0, v89, vcc_lo
.LBB4_3792:                             ;   in Loop: Header=BB4_3733 Depth=3
	s_or_b32 exec_lo, exec_lo, s22
.LBB4_3793:                             ;   in Loop: Header=BB4_3733 Depth=3
	s_or_b32 exec_lo, exec_lo, s19
	v_cmp_gt_i16_sdwa s19, v20, v115 src0_sel:BYTE_3 src1_sel:DWORD
	s_mov_b32 s16, 0
	s_and_saveexec_b32 s22, s19
	s_xor_b32 s19, exec_lo, s22
	s_cbranch_execz .LBB4_4383
; %bb.3794:                             ;   in Loop: Header=BB4_3733 Depth=3
	v_cmp_eq_u16_sdwa s23, v20, v116 src0_sel:BYTE_3 src1_sel:DWORD
	s_mov_b32 s16, -1
	s_and_saveexec_b32 s22, s23
; %bb.3795:                             ;   in Loop: Header=BB4_3733 Depth=3
	s_xor_b32 s16, exec_lo, -1
; %bb.3796:                             ;   in Loop: Header=BB4_3733 Depth=3
	s_or_b32 exec_lo, exec_lo, s22
	s_and_b32 s16, s16, exec_lo
	s_or_saveexec_b32 s19, s19
	v_mov_b32_e32 v89, 0x7f800001
	s_xor_b32 exec_lo, exec_lo, s19
	s_cbranch_execnz .LBB4_4384
.LBB4_3797:                             ;   in Loop: Header=BB4_3733 Depth=3
	s_or_b32 exec_lo, exec_lo, s19
	s_and_saveexec_b32 s19, s16
	s_cbranch_execz .LBB4_3799
.LBB4_3798:                             ;   in Loop: Header=BB4_3733 Depth=3
	v_bfe_u32 v89, v20, 24, 2
	v_bfe_u32 v92, v20, 26, 5
	v_ffbh_u32_e32 v90, v89
	v_cmp_eq_u32_e32 vcc_lo, 0, v92
	v_min_u32_e32 v90, 32, v90
	v_subrev_nc_u32_e32 v91, 29, v90
	v_sub_nc_u32_e32 v90, 30, v90
	v_lshlrev_b32_sdwa v91, v91, v20 dst_sel:DWORD dst_unused:UNUSED_PAD src0_sel:DWORD src1_sel:BYTE_3
	v_cndmask_b32_e32 v90, v92, v90, vcc_lo
	v_and_b32_e32 v20, 0x80000000, v20
	v_and_b32_e32 v91, 3, v91
	v_lshl_add_u32 v90, v90, 23, 0x37800000
	v_cndmask_b32_e32 v89, v89, v91, vcc_lo
	v_lshlrev_b32_e32 v89, 21, v89
	v_or3_b32 v89, v20, v90, v89
.LBB4_3799:                             ;   in Loop: Header=BB4_3733 Depth=3
	s_or_b32 exec_lo, exec_lo, s19
	v_cmp_gt_i16_sdwa s19, v16, v115 src0_sel:BYTE_3 src1_sel:DWORD
	s_mov_b32 s16, 0
	s_and_saveexec_b32 s22, s19
	s_xor_b32 s19, exec_lo, s22
	s_cbranch_execz .LBB4_4385
; %bb.3800:                             ;   in Loop: Header=BB4_3733 Depth=3
	v_cmp_eq_u16_sdwa s23, v16, v116 src0_sel:BYTE_3 src1_sel:DWORD
	s_mov_b32 s16, -1
	s_and_saveexec_b32 s22, s23
; %bb.3801:                             ;   in Loop: Header=BB4_3733 Depth=3
	s_xor_b32 s16, exec_lo, -1
; %bb.3802:                             ;   in Loop: Header=BB4_3733 Depth=3
	s_or_b32 exec_lo, exec_lo, s22
	s_and_b32 s16, s16, exec_lo
	s_or_saveexec_b32 s19, s19
	v_mov_b32_e32 v20, 0x7f800001
	s_xor_b32 exec_lo, exec_lo, s19
	s_cbranch_execnz .LBB4_4386
.LBB4_3803:                             ;   in Loop: Header=BB4_3733 Depth=3
	s_or_b32 exec_lo, exec_lo, s19
	s_and_saveexec_b32 s19, s16
	s_cbranch_execz .LBB4_3805
.LBB4_3804:                             ;   in Loop: Header=BB4_3733 Depth=3
	v_bfe_u32 v20, v16, 24, 2
	v_bfe_u32 v92, v16, 26, 5
	v_ffbh_u32_e32 v90, v20
	v_cmp_eq_u32_e32 vcc_lo, 0, v92
	v_min_u32_e32 v90, 32, v90
	v_subrev_nc_u32_e32 v91, 29, v90
	v_sub_nc_u32_e32 v90, 30, v90
	v_lshlrev_b32_sdwa v91, v91, v16 dst_sel:DWORD dst_unused:UNUSED_PAD src0_sel:DWORD src1_sel:BYTE_3
	v_cndmask_b32_e32 v90, v92, v90, vcc_lo
	v_and_b32_e32 v16, 0x80000000, v16
	v_and_b32_e32 v91, 3, v91
	v_lshl_add_u32 v90, v90, 23, 0x37800000
	v_cndmask_b32_e32 v20, v20, v91, vcc_lo
	v_lshlrev_b32_e32 v20, 21, v20
	v_or3_b32 v20, v16, v90, v20
.LBB4_3805:                             ;   in Loop: Header=BB4_3733 Depth=3
	s_or_b32 exec_lo, exec_lo, s19
	v_mul_f32_e32 v20, v89, v20
	v_and_b32_e32 v16, 0x7f800000, v20
	v_cmp_ne_u32_e32 vcc_lo, 0x7f800000, v16
	v_mov_b32_e32 v16, 0x8000
	s_and_saveexec_b32 s19, vcc_lo
	s_cbranch_execz .LBB4_3813
; %bb.3806:                             ;   in Loop: Header=BB4_3733 Depth=3
	v_mov_b32_e32 v16, 0
	s_mov_b32 s22, exec_lo
	v_cmpx_ne_u32_e32 0, v20
	s_cbranch_execz .LBB4_3812
; %bb.3807:                             ;   in Loop: Header=BB4_3733 Depth=3
	v_bfe_u32 v16, v20, 23, 8
	v_and_b32_e32 v89, 0x7fffff, v20
	v_sub_nc_u32_e32 v90, 0x70, v16
	v_cmp_gt_u32_e32 vcc_lo, 0x71, v16
	v_or_b32_e32 v91, 0x800000, v89
	v_cndmask_b32_e32 v90, 0, v90, vcc_lo
	v_cmp_eq_u32_e32 vcc_lo, 0, v16
	v_add_nc_u32_e32 v16, 0xffffff91, v16
	v_cndmask_b32_e64 v90, v90, 0x6f, vcc_lo
	v_cndmask_b32_e32 v89, v91, v89, vcc_lo
	v_cndmask_b32_e64 v16, v16, 0xffffff92, vcc_lo
	v_lshl_add_u32 v91, 0x200000, v90, -1
	v_lshrrev_b32_e32 v92, v90, v89
	v_lshlrev_b32_e64 v94, v90, 0x100000
	v_add_nc_u32_e32 v90, v90, v16
	v_and_b32_e32 v89, v91, v89
	v_bfe_u32 v93, v92, 21, 1
	v_cmp_eq_u32_e64 s16, v89, v94
	v_add_nc_u32_e32 v91, -1, v93
	v_cndmask_b32_e64 v89, 0, v91, s16
	v_lshrrev_b32_e32 v91, 23, v92
	s_mov_b32 s16, exec_lo
	v_add_nc_u32_e32 v89, v89, v92
	v_xor_b32_e32 v91, 1, v91
	v_and_b32_e32 v16, 0x1fffff, v89
	v_add_nc_u32_e32 v89, v16, v92
                                        ; implicit-def: $vgpr16
	v_cmpx_ne_u32_e64 v90, v91
	s_xor_b32 s16, exec_lo, s16
; %bb.3808:                             ;   in Loop: Header=BB4_3733 Depth=3
	v_cmp_lt_u32_e32 vcc_lo, 0xffffff, v89
	v_sub_nc_u32_e32 v16, v90, v91
	v_cndmask_b32_e64 v90, 0, 1, vcc_lo
	v_add_co_ci_u32_e64 v16, null, 0, v16, vcc_lo
	v_lshrrev_b32_e32 v89, v90, v89
; %bb.3809:                             ;   in Loop: Header=BB4_3733 Depth=3
	s_andn2_saveexec_b32 s16, s16
; %bb.3810:                             ;   in Loop: Header=BB4_3733 Depth=3
	v_bfe_u32 v16, v89, 23, 1
; %bb.3811:                             ;   in Loop: Header=BB4_3733 Depth=3
	s_or_b32 exec_lo, exec_lo, s16
	v_lshrrev_b32_e32 v89, 21, v89
	v_min_i32_e32 v90, 31, v16
	v_cmp_gt_i32_e32 vcc_lo, 32, v16
	v_and_b32_sdwa v20, v20, v116 dst_sel:DWORD dst_unused:UNUSED_PAD src0_sel:BYTE_3 src1_sel:DWORD
	v_lshlrev_b32_e32 v90, 2, v90
	v_cndmask_b32_e32 v89, 3, v89, vcc_lo
	v_and_b32_e32 v90, 0xfc, v90
	v_and_b32_e32 v91, 3, v89
	v_or_b32_e32 v16, v16, v89
	v_or3_b32 v20, v20, v90, v91
	v_cmp_ne_u32_e32 vcc_lo, 0, v16
	v_lshlrev_b32_e32 v20, 8, v20
	v_cndmask_b32_e32 v16, 0, v20, vcc_lo
.LBB4_3812:                             ;   in Loop: Header=BB4_3733 Depth=3
	s_or_b32 exec_lo, exec_lo, s22
.LBB4_3813:                             ;   in Loop: Header=BB4_3733 Depth=3
	s_or_b32 exec_lo, exec_lo, s19
	v_cmp_gt_i16_sdwa s19, v21, v115 src0_sel:BYTE_0 src1_sel:DWORD
	s_mov_b32 s16, 0
	s_and_saveexec_b32 s22, s19
	s_xor_b32 s19, exec_lo, s22
	s_cbranch_execz .LBB4_4387
; %bb.3814:                             ;   in Loop: Header=BB4_3733 Depth=3
	v_cmp_eq_u16_sdwa s23, v21, v116 src0_sel:BYTE_0 src1_sel:DWORD
	s_mov_b32 s16, -1
	s_and_saveexec_b32 s22, s23
; %bb.3815:                             ;   in Loop: Header=BB4_3733 Depth=3
	s_xor_b32 s16, exec_lo, -1
; %bb.3816:                             ;   in Loop: Header=BB4_3733 Depth=3
	s_or_b32 exec_lo, exec_lo, s22
	s_and_b32 s16, s16, exec_lo
	s_or_saveexec_b32 s19, s19
	v_mov_b32_e32 v20, 0x7f800001
	s_xor_b32 exec_lo, exec_lo, s19
	s_cbranch_execnz .LBB4_4388
.LBB4_3817:                             ;   in Loop: Header=BB4_3733 Depth=3
	s_or_b32 exec_lo, exec_lo, s19
	s_and_saveexec_b32 s19, s16
	s_cbranch_execz .LBB4_3819
.LBB4_3818:                             ;   in Loop: Header=BB4_3733 Depth=3
	v_and_b32_e32 v20, 3, v21
	v_bfe_u32 v91, v21, 2, 5
	v_lshlrev_b32_e32 v92, 24, v21
	v_ffbh_u32_e32 v89, v20
	v_cmp_eq_u32_e32 vcc_lo, 0, v91
	v_min_u32_e32 v89, 32, v89
	v_subrev_nc_u32_e32 v90, 29, v89
	v_sub_nc_u32_e32 v89, 30, v89
	v_lshlrev_b32_e32 v90, v90, v21
	v_cndmask_b32_e32 v89, v91, v89, vcc_lo
	v_and_b32_e32 v90, 3, v90
	v_lshl_add_u32 v89, v89, 23, 0x37800000
	v_cndmask_b32_e32 v20, v20, v90, vcc_lo
	v_and_b32_e32 v90, 0x80000000, v92
	v_lshlrev_b32_e32 v20, 21, v20
	v_or3_b32 v20, v90, v89, v20
.LBB4_3819:                             ;   in Loop: Header=BB4_3733 Depth=3
	s_or_b32 exec_lo, exec_lo, s19
	v_cmp_gt_i16_sdwa s19, v17, v115 src0_sel:BYTE_0 src1_sel:DWORD
	s_mov_b32 s16, 0
	s_and_saveexec_b32 s22, s19
	s_xor_b32 s19, exec_lo, s22
	s_cbranch_execz .LBB4_4389
; %bb.3820:                             ;   in Loop: Header=BB4_3733 Depth=3
	v_cmp_eq_u16_sdwa s23, v17, v116 src0_sel:BYTE_0 src1_sel:DWORD
	s_mov_b32 s16, -1
	s_and_saveexec_b32 s22, s23
; %bb.3821:                             ;   in Loop: Header=BB4_3733 Depth=3
	s_xor_b32 s16, exec_lo, -1
; %bb.3822:                             ;   in Loop: Header=BB4_3733 Depth=3
	s_or_b32 exec_lo, exec_lo, s22
	s_and_b32 s16, s16, exec_lo
	s_or_saveexec_b32 s19, s19
	v_mov_b32_e32 v89, 0x7f800001
	s_xor_b32 exec_lo, exec_lo, s19
	s_cbranch_execnz .LBB4_4390
.LBB4_3823:                             ;   in Loop: Header=BB4_3733 Depth=3
	s_or_b32 exec_lo, exec_lo, s19
	s_and_saveexec_b32 s19, s16
	s_cbranch_execz .LBB4_3825
.LBB4_3824:                             ;   in Loop: Header=BB4_3733 Depth=3
	v_and_b32_e32 v89, 3, v17
	v_bfe_u32 v92, v17, 2, 5
	v_lshlrev_b32_e32 v93, 24, v17
	v_ffbh_u32_e32 v90, v89
	v_cmp_eq_u32_e32 vcc_lo, 0, v92
	v_min_u32_e32 v90, 32, v90
	v_subrev_nc_u32_e32 v91, 29, v90
	v_sub_nc_u32_e32 v90, 30, v90
	v_lshlrev_b32_e32 v91, v91, v17
	v_cndmask_b32_e32 v90, v92, v90, vcc_lo
	v_and_b32_e32 v91, 3, v91
	v_lshl_add_u32 v90, v90, 23, 0x37800000
	v_cndmask_b32_e32 v89, v89, v91, vcc_lo
	v_and_b32_e32 v91, 0x80000000, v93
	v_lshlrev_b32_e32 v89, 21, v89
	v_or3_b32 v89, v91, v90, v89
.LBB4_3825:                             ;   in Loop: Header=BB4_3733 Depth=3
	s_or_b32 exec_lo, exec_lo, s19
	v_mul_f32_e32 v89, v20, v89
	v_and_b32_e32 v20, 0x7f800000, v89
	v_cmp_ne_u32_e32 vcc_lo, 0x7f800000, v20
	v_mov_b32_e32 v20, 0x80
	s_and_saveexec_b32 s19, vcc_lo
	s_cbranch_execz .LBB4_3833
; %bb.3826:                             ;   in Loop: Header=BB4_3733 Depth=3
	v_mov_b32_e32 v20, 0
	s_mov_b32 s22, exec_lo
	v_cmpx_ne_u32_e32 0, v89
	s_cbranch_execz .LBB4_3832
; %bb.3827:                             ;   in Loop: Header=BB4_3733 Depth=3
	v_bfe_u32 v20, v89, 23, 8
	v_and_b32_e32 v90, 0x7fffff, v89
	v_sub_nc_u32_e32 v91, 0x70, v20
	v_cmp_gt_u32_e32 vcc_lo, 0x71, v20
	v_or_b32_e32 v92, 0x800000, v90
	v_cndmask_b32_e32 v91, 0, v91, vcc_lo
	v_cmp_eq_u32_e32 vcc_lo, 0, v20
	v_add_nc_u32_e32 v20, 0xffffff91, v20
	v_cndmask_b32_e64 v91, v91, 0x6f, vcc_lo
	v_cndmask_b32_e32 v90, v92, v90, vcc_lo
	v_cndmask_b32_e64 v20, v20, 0xffffff92, vcc_lo
	v_lshl_add_u32 v92, 0x200000, v91, -1
	v_lshrrev_b32_e32 v93, v91, v90
	v_lshlrev_b32_e64 v95, v91, 0x100000
	v_add_nc_u32_e32 v91, v91, v20
	v_and_b32_e32 v90, v92, v90
	v_bfe_u32 v94, v93, 21, 1
	v_cmp_eq_u32_e64 s16, v90, v95
	v_add_nc_u32_e32 v92, -1, v94
	v_cndmask_b32_e64 v90, 0, v92, s16
	v_lshrrev_b32_e32 v92, 23, v93
	s_mov_b32 s16, exec_lo
	v_add_nc_u32_e32 v90, v90, v93
	v_xor_b32_e32 v92, 1, v92
	v_and_b32_e32 v20, 0x1fffff, v90
	v_add_nc_u32_e32 v90, v20, v93
                                        ; implicit-def: $vgpr20
	v_cmpx_ne_u32_e64 v91, v92
	s_xor_b32 s16, exec_lo, s16
; %bb.3828:                             ;   in Loop: Header=BB4_3733 Depth=3
	v_cmp_lt_u32_e32 vcc_lo, 0xffffff, v90
	v_sub_nc_u32_e32 v20, v91, v92
	v_cndmask_b32_e64 v91, 0, 1, vcc_lo
	v_add_co_ci_u32_e64 v20, null, 0, v20, vcc_lo
	v_lshrrev_b32_e32 v90, v91, v90
; %bb.3829:                             ;   in Loop: Header=BB4_3733 Depth=3
	s_andn2_saveexec_b32 s16, s16
; %bb.3830:                             ;   in Loop: Header=BB4_3733 Depth=3
	v_bfe_u32 v20, v90, 23, 1
; %bb.3831:                             ;   in Loop: Header=BB4_3733 Depth=3
	s_or_b32 exec_lo, exec_lo, s16
	v_lshrrev_b32_e32 v90, 21, v90
	v_min_i32_e32 v91, 31, v20
	v_cmp_gt_i32_e32 vcc_lo, 32, v20
	v_and_b32_sdwa v89, v89, v116 dst_sel:DWORD dst_unused:UNUSED_PAD src0_sel:BYTE_3 src1_sel:DWORD
	v_lshlrev_b32_e32 v91, 2, v91
	v_cndmask_b32_e32 v90, 3, v90, vcc_lo
	v_and_b32_e32 v91, 0xfc, v91
	v_and_b32_e32 v92, 3, v90
	v_or_b32_e32 v20, v20, v90
	v_or3_b32 v89, v91, v89, v92
	v_cmp_ne_u32_e32 vcc_lo, 0, v20
	v_cndmask_b32_e32 v20, 0, v89, vcc_lo
.LBB4_3832:                             ;   in Loop: Header=BB4_3733 Depth=3
	s_or_b32 exec_lo, exec_lo, s22
.LBB4_3833:                             ;   in Loop: Header=BB4_3733 Depth=3
	s_or_b32 exec_lo, exec_lo, s19
	v_cmp_gt_i16_sdwa s19, v21, v115 src0_sel:BYTE_1 src1_sel:DWORD
	s_mov_b32 s16, 0
	s_and_saveexec_b32 s22, s19
	s_xor_b32 s19, exec_lo, s22
	s_cbranch_execz .LBB4_4391
; %bb.3834:                             ;   in Loop: Header=BB4_3733 Depth=3
	v_cmp_eq_u16_sdwa s23, v21, v116 src0_sel:BYTE_1 src1_sel:DWORD
	s_mov_b32 s16, -1
	s_and_saveexec_b32 s22, s23
; %bb.3835:                             ;   in Loop: Header=BB4_3733 Depth=3
	s_xor_b32 s16, exec_lo, -1
; %bb.3836:                             ;   in Loop: Header=BB4_3733 Depth=3
	s_or_b32 exec_lo, exec_lo, s22
	s_and_b32 s16, s16, exec_lo
	s_or_saveexec_b32 s19, s19
	v_mov_b32_e32 v89, 0x7f800001
	s_xor_b32 exec_lo, exec_lo, s19
	s_cbranch_execnz .LBB4_4392
.LBB4_3837:                             ;   in Loop: Header=BB4_3733 Depth=3
	s_or_b32 exec_lo, exec_lo, s19
	s_and_saveexec_b32 s19, s16
	s_cbranch_execz .LBB4_3839
.LBB4_3838:                             ;   in Loop: Header=BB4_3733 Depth=3
	v_and_b32_sdwa v89, v117, v21 dst_sel:DWORD dst_unused:UNUSED_PAD src0_sel:DWORD src1_sel:BYTE_1
	v_and_b32_e32 v90, 3, v89
	v_bfe_u32 v93, v89, 2, 5
	v_ffbh_u32_e32 v91, v90
	v_cmp_eq_u32_e32 vcc_lo, 0, v93
	v_min_u32_e32 v91, 32, v91
	v_subrev_nc_u32_e32 v92, 29, v91
	v_sub_nc_u32_e32 v91, 30, v91
	v_lshlrev_b32_e32 v89, v92, v89
	v_lshlrev_b32_sdwa v92, v118, v21 dst_sel:DWORD dst_unused:UNUSED_PAD src0_sel:DWORD src1_sel:BYTE_1
	v_cndmask_b32_e32 v91, v93, v91, vcc_lo
	v_and_b32_e32 v89, 3, v89
	v_lshl_add_u32 v91, v91, 23, 0x37800000
	v_cndmask_b32_e32 v89, v90, v89, vcc_lo
	v_and_b32_e32 v90, 0x80000000, v92
	v_lshlrev_b32_e32 v89, 21, v89
	v_or3_b32 v89, v90, v91, v89
.LBB4_3839:                             ;   in Loop: Header=BB4_3733 Depth=3
	s_or_b32 exec_lo, exec_lo, s19
	v_cmp_gt_i16_sdwa s19, v17, v115 src0_sel:BYTE_1 src1_sel:DWORD
	s_mov_b32 s16, 0
	s_and_saveexec_b32 s22, s19
	s_xor_b32 s19, exec_lo, s22
	s_cbranch_execz .LBB4_4393
; %bb.3840:                             ;   in Loop: Header=BB4_3733 Depth=3
	v_cmp_eq_u16_sdwa s23, v17, v116 src0_sel:BYTE_1 src1_sel:DWORD
	s_mov_b32 s16, -1
	s_and_saveexec_b32 s22, s23
; %bb.3841:                             ;   in Loop: Header=BB4_3733 Depth=3
	s_xor_b32 s16, exec_lo, -1
; %bb.3842:                             ;   in Loop: Header=BB4_3733 Depth=3
	s_or_b32 exec_lo, exec_lo, s22
	s_and_b32 s16, s16, exec_lo
	s_or_saveexec_b32 s19, s19
	v_mov_b32_e32 v90, 0x7f800001
	s_xor_b32 exec_lo, exec_lo, s19
	s_cbranch_execnz .LBB4_4394
.LBB4_3843:                             ;   in Loop: Header=BB4_3733 Depth=3
	s_or_b32 exec_lo, exec_lo, s19
	s_and_saveexec_b32 s19, s16
	s_cbranch_execz .LBB4_3845
.LBB4_3844:                             ;   in Loop: Header=BB4_3733 Depth=3
	v_and_b32_sdwa v90, v117, v17 dst_sel:DWORD dst_unused:UNUSED_PAD src0_sel:DWORD src1_sel:BYTE_1
	v_and_b32_e32 v91, 3, v90
	v_bfe_u32 v94, v90, 2, 5
	v_ffbh_u32_e32 v92, v91
	v_cmp_eq_u32_e32 vcc_lo, 0, v94
	v_min_u32_e32 v92, 32, v92
	v_subrev_nc_u32_e32 v93, 29, v92
	v_sub_nc_u32_e32 v92, 30, v92
	v_lshlrev_b32_e32 v90, v93, v90
	v_lshlrev_b32_sdwa v93, v118, v17 dst_sel:DWORD dst_unused:UNUSED_PAD src0_sel:DWORD src1_sel:BYTE_1
	v_cndmask_b32_e32 v92, v94, v92, vcc_lo
	v_and_b32_e32 v90, 3, v90
	v_lshl_add_u32 v92, v92, 23, 0x37800000
	v_cndmask_b32_e32 v90, v91, v90, vcc_lo
	v_and_b32_e32 v91, 0x80000000, v93
	v_lshlrev_b32_e32 v90, 21, v90
	v_or3_b32 v90, v91, v92, v90
.LBB4_3845:                             ;   in Loop: Header=BB4_3733 Depth=3
	s_or_b32 exec_lo, exec_lo, s19
	v_mul_f32_e32 v90, v89, v90
	v_and_b32_e32 v89, 0x7f800000, v90
	v_cmp_ne_u32_e32 vcc_lo, 0x7f800000, v89
	v_mov_b32_e32 v89, 0x8000
	s_and_saveexec_b32 s19, vcc_lo
	s_cbranch_execz .LBB4_3853
; %bb.3846:                             ;   in Loop: Header=BB4_3733 Depth=3
	v_mov_b32_e32 v89, 0
	s_mov_b32 s22, exec_lo
	v_cmpx_ne_u32_e32 0, v90
	s_cbranch_execz .LBB4_3852
; %bb.3847:                             ;   in Loop: Header=BB4_3733 Depth=3
	v_bfe_u32 v89, v90, 23, 8
	v_and_b32_e32 v91, 0x7fffff, v90
	v_sub_nc_u32_e32 v92, 0x70, v89
	v_cmp_gt_u32_e32 vcc_lo, 0x71, v89
	v_or_b32_e32 v93, 0x800000, v91
	v_cndmask_b32_e32 v92, 0, v92, vcc_lo
	v_cmp_eq_u32_e32 vcc_lo, 0, v89
	v_add_nc_u32_e32 v89, 0xffffff91, v89
	v_cndmask_b32_e64 v92, v92, 0x6f, vcc_lo
	v_cndmask_b32_e32 v91, v93, v91, vcc_lo
	v_cndmask_b32_e64 v89, v89, 0xffffff92, vcc_lo
	v_lshl_add_u32 v93, 0x200000, v92, -1
	v_lshrrev_b32_e32 v94, v92, v91
	v_lshlrev_b32_e64 v104, v92, 0x100000
	v_add_nc_u32_e32 v92, v92, v89
	v_and_b32_e32 v91, v93, v91
	v_bfe_u32 v95, v94, 21, 1
	v_cmp_eq_u32_e64 s16, v91, v104
	v_add_nc_u32_e32 v93, -1, v95
	v_cndmask_b32_e64 v91, 0, v93, s16
	v_lshrrev_b32_e32 v93, 23, v94
	s_mov_b32 s16, exec_lo
	v_add_nc_u32_e32 v91, v91, v94
	v_xor_b32_e32 v93, 1, v93
	v_and_b32_e32 v89, 0x1fffff, v91
	v_add_nc_u32_e32 v91, v89, v94
                                        ; implicit-def: $vgpr89
	v_cmpx_ne_u32_e64 v92, v93
	s_xor_b32 s16, exec_lo, s16
; %bb.3848:                             ;   in Loop: Header=BB4_3733 Depth=3
	v_cmp_lt_u32_e32 vcc_lo, 0xffffff, v91
	v_sub_nc_u32_e32 v89, v92, v93
	v_cndmask_b32_e64 v92, 0, 1, vcc_lo
	v_add_co_ci_u32_e64 v89, null, 0, v89, vcc_lo
	v_lshrrev_b32_e32 v91, v92, v91
; %bb.3849:                             ;   in Loop: Header=BB4_3733 Depth=3
	s_andn2_saveexec_b32 s16, s16
; %bb.3850:                             ;   in Loop: Header=BB4_3733 Depth=3
	v_bfe_u32 v89, v91, 23, 1
; %bb.3851:                             ;   in Loop: Header=BB4_3733 Depth=3
	s_or_b32 exec_lo, exec_lo, s16
	v_lshrrev_b32_e32 v91, 21, v91
	v_min_i32_e32 v92, 31, v89
	v_cmp_gt_i32_e32 vcc_lo, 32, v89
	v_and_b32_sdwa v90, v90, v116 dst_sel:DWORD dst_unused:UNUSED_PAD src0_sel:BYTE_3 src1_sel:DWORD
	v_lshlrev_b32_e32 v92, 2, v92
	v_cndmask_b32_e32 v91, 3, v91, vcc_lo
	v_and_b32_e32 v92, 0xfc, v92
	v_and_b32_e32 v93, 3, v91
	v_or_b32_e32 v89, v89, v91
	v_or3_b32 v90, v90, v92, v93
	v_cmp_ne_u32_e32 vcc_lo, 0, v89
	v_lshlrev_b32_e32 v90, 8, v90
	v_cndmask_b32_e32 v89, 0, v90, vcc_lo
.LBB4_3852:                             ;   in Loop: Header=BB4_3733 Depth=3
	s_or_b32 exec_lo, exec_lo, s22
.LBB4_3853:                             ;   in Loop: Header=BB4_3733 Depth=3
	s_or_b32 exec_lo, exec_lo, s19
	v_and_b32_sdwa v91, v21, v119 dst_sel:DWORD dst_unused:UNUSED_PAD src0_sel:WORD_1 src1_sel:DWORD
	s_mov_b32 s16, 0
	s_mov_b32 s19, exec_lo
	v_cmpx_lt_i16_e32 0x7f, v91
	s_xor_b32 s19, exec_lo, s19
	s_cbranch_execz .LBB4_4395
; %bb.3854:                             ;   in Loop: Header=BB4_3733 Depth=3
	s_mov_b32 s16, -1
	s_mov_b32 s22, exec_lo
	v_cmpx_eq_u16_e32 0x80, v91
; %bb.3855:                             ;   in Loop: Header=BB4_3733 Depth=3
	s_xor_b32 s16, exec_lo, -1
; %bb.3856:                             ;   in Loop: Header=BB4_3733 Depth=3
	s_or_b32 exec_lo, exec_lo, s22
	s_and_b32 s16, s16, exec_lo
                                        ; implicit-def: $vgpr91
	s_or_saveexec_b32 s19, s19
	v_mov_b32_e32 v90, 0x7f800001
	s_xor_b32 exec_lo, exec_lo, s19
	s_cbranch_execnz .LBB4_4396
.LBB4_3857:                             ;   in Loop: Header=BB4_3733 Depth=3
	s_or_b32 exec_lo, exec_lo, s19
	s_and_saveexec_b32 s19, s16
	s_cbranch_execz .LBB4_3859
.LBB4_3858:                             ;   in Loop: Header=BB4_3733 Depth=3
	v_bfe_u32 v90, v21, 16, 2
	v_bfe_u32 v93, v21, 18, 5
	v_lshlrev_b32_e32 v94, 8, v21
	v_ffbh_u32_e32 v91, v90
	v_cmp_eq_u32_e32 vcc_lo, 0, v93
	v_min_u32_e32 v91, 32, v91
	v_subrev_nc_u32_e32 v92, 29, v91
	v_sub_nc_u32_e32 v91, 30, v91
	v_lshlrev_b32_sdwa v92, v92, v21 dst_sel:DWORD dst_unused:UNUSED_PAD src0_sel:DWORD src1_sel:WORD_1
	v_cndmask_b32_e32 v91, v93, v91, vcc_lo
	v_and_b32_e32 v92, 3, v92
	v_lshl_add_u32 v91, v91, 23, 0x37800000
	v_cndmask_b32_e32 v90, v90, v92, vcc_lo
	v_and_b32_e32 v92, 0x80000000, v94
	v_lshlrev_b32_e32 v90, 21, v90
	v_or3_b32 v90, v92, v91, v90
.LBB4_3859:                             ;   in Loop: Header=BB4_3733 Depth=3
	s_or_b32 exec_lo, exec_lo, s19
	v_and_b32_sdwa v92, v17, v119 dst_sel:DWORD dst_unused:UNUSED_PAD src0_sel:WORD_1 src1_sel:DWORD
	s_mov_b32 s16, 0
	s_mov_b32 s19, exec_lo
	v_cmpx_lt_i16_e32 0x7f, v92
	s_xor_b32 s19, exec_lo, s19
	s_cbranch_execz .LBB4_4397
; %bb.3860:                             ;   in Loop: Header=BB4_3733 Depth=3
	s_mov_b32 s16, -1
	s_mov_b32 s22, exec_lo
	v_cmpx_eq_u16_e32 0x80, v92
; %bb.3861:                             ;   in Loop: Header=BB4_3733 Depth=3
	s_xor_b32 s16, exec_lo, -1
; %bb.3862:                             ;   in Loop: Header=BB4_3733 Depth=3
	s_or_b32 exec_lo, exec_lo, s22
	s_and_b32 s16, s16, exec_lo
                                        ; implicit-def: $vgpr92
	s_or_saveexec_b32 s19, s19
	v_mov_b32_e32 v91, 0x7f800001
	s_xor_b32 exec_lo, exec_lo, s19
	s_cbranch_execnz .LBB4_4398
.LBB4_3863:                             ;   in Loop: Header=BB4_3733 Depth=3
	s_or_b32 exec_lo, exec_lo, s19
	s_and_saveexec_b32 s19, s16
	s_cbranch_execz .LBB4_3865
.LBB4_3864:                             ;   in Loop: Header=BB4_3733 Depth=3
	v_bfe_u32 v91, v17, 16, 2
	v_bfe_u32 v94, v17, 18, 5
	v_lshlrev_b32_e32 v95, 8, v17
	v_ffbh_u32_e32 v92, v91
	v_cmp_eq_u32_e32 vcc_lo, 0, v94
	v_min_u32_e32 v92, 32, v92
	v_subrev_nc_u32_e32 v93, 29, v92
	v_sub_nc_u32_e32 v92, 30, v92
	v_lshlrev_b32_sdwa v93, v93, v17 dst_sel:DWORD dst_unused:UNUSED_PAD src0_sel:DWORD src1_sel:WORD_1
	v_cndmask_b32_e32 v92, v94, v92, vcc_lo
	v_and_b32_e32 v93, 3, v93
	v_lshl_add_u32 v92, v92, 23, 0x37800000
	v_cndmask_b32_e32 v91, v91, v93, vcc_lo
	v_and_b32_e32 v93, 0x80000000, v95
	v_lshlrev_b32_e32 v91, 21, v91
	v_or3_b32 v91, v93, v92, v91
.LBB4_3865:                             ;   in Loop: Header=BB4_3733 Depth=3
	s_or_b32 exec_lo, exec_lo, s19
	v_mul_f32_e32 v91, v90, v91
	v_and_b32_e32 v90, 0x7f800000, v91
	v_cmp_ne_u32_e32 vcc_lo, 0x7f800000, v90
	v_mov_b32_e32 v90, 0x80
	s_and_saveexec_b32 s19, vcc_lo
	s_cbranch_execz .LBB4_3873
; %bb.3866:                             ;   in Loop: Header=BB4_3733 Depth=3
	v_mov_b32_e32 v90, 0
	s_mov_b32 s22, exec_lo
	v_cmpx_ne_u32_e32 0, v91
	s_cbranch_execz .LBB4_3872
; %bb.3867:                             ;   in Loop: Header=BB4_3733 Depth=3
	v_bfe_u32 v90, v91, 23, 8
	v_and_b32_e32 v92, 0x7fffff, v91
	v_sub_nc_u32_e32 v93, 0x70, v90
	v_cmp_gt_u32_e32 vcc_lo, 0x71, v90
	v_or_b32_e32 v94, 0x800000, v92
	v_cndmask_b32_e32 v93, 0, v93, vcc_lo
	v_cmp_eq_u32_e32 vcc_lo, 0, v90
	v_add_nc_u32_e32 v90, 0xffffff91, v90
	v_cndmask_b32_e64 v93, v93, 0x6f, vcc_lo
	v_cndmask_b32_e32 v92, v94, v92, vcc_lo
	v_cndmask_b32_e64 v90, v90, 0xffffff92, vcc_lo
	v_lshl_add_u32 v94, 0x200000, v93, -1
	v_lshrrev_b32_e32 v95, v93, v92
	v_lshlrev_b32_e64 v105, v93, 0x100000
	v_add_nc_u32_e32 v93, v93, v90
	v_and_b32_e32 v92, v94, v92
	v_bfe_u32 v104, v95, 21, 1
	v_cmp_eq_u32_e64 s16, v92, v105
	v_add_nc_u32_e32 v94, -1, v104
	v_cndmask_b32_e64 v92, 0, v94, s16
	v_lshrrev_b32_e32 v94, 23, v95
	s_mov_b32 s16, exec_lo
	v_add_nc_u32_e32 v92, v92, v95
	v_xor_b32_e32 v94, 1, v94
	v_and_b32_e32 v90, 0x1fffff, v92
	v_add_nc_u32_e32 v92, v90, v95
                                        ; implicit-def: $vgpr90
	v_cmpx_ne_u32_e64 v93, v94
	s_xor_b32 s16, exec_lo, s16
; %bb.3868:                             ;   in Loop: Header=BB4_3733 Depth=3
	v_cmp_lt_u32_e32 vcc_lo, 0xffffff, v92
	v_sub_nc_u32_e32 v90, v93, v94
	v_cndmask_b32_e64 v93, 0, 1, vcc_lo
	v_add_co_ci_u32_e64 v90, null, 0, v90, vcc_lo
	v_lshrrev_b32_e32 v92, v93, v92
; %bb.3869:                             ;   in Loop: Header=BB4_3733 Depth=3
	s_andn2_saveexec_b32 s16, s16
; %bb.3870:                             ;   in Loop: Header=BB4_3733 Depth=3
	v_bfe_u32 v90, v92, 23, 1
; %bb.3871:                             ;   in Loop: Header=BB4_3733 Depth=3
	s_or_b32 exec_lo, exec_lo, s16
	v_lshrrev_b32_e32 v92, 21, v92
	v_min_i32_e32 v93, 31, v90
	v_cmp_gt_i32_e32 vcc_lo, 32, v90
	v_and_b32_sdwa v91, v91, v116 dst_sel:DWORD dst_unused:UNUSED_PAD src0_sel:BYTE_3 src1_sel:DWORD
	v_lshlrev_b32_e32 v93, 2, v93
	v_cndmask_b32_e32 v92, 3, v92, vcc_lo
	v_and_b32_e32 v93, 0xfc, v93
	v_and_b32_e32 v94, 3, v92
	v_or_b32_e32 v90, v90, v92
	v_or3_b32 v91, v93, v91, v94
	v_cmp_ne_u32_e32 vcc_lo, 0, v90
	v_cndmask_b32_e32 v90, 0, v91, vcc_lo
.LBB4_3872:                             ;   in Loop: Header=BB4_3733 Depth=3
	s_or_b32 exec_lo, exec_lo, s22
.LBB4_3873:                             ;   in Loop: Header=BB4_3733 Depth=3
	s_or_b32 exec_lo, exec_lo, s19
	v_cmp_gt_i16_sdwa s19, v21, v115 src0_sel:BYTE_3 src1_sel:DWORD
	s_mov_b32 s16, 0
	s_and_saveexec_b32 s22, s19
	s_xor_b32 s19, exec_lo, s22
	s_cbranch_execz .LBB4_4399
; %bb.3874:                             ;   in Loop: Header=BB4_3733 Depth=3
	v_cmp_eq_u16_sdwa s23, v21, v116 src0_sel:BYTE_3 src1_sel:DWORD
	s_mov_b32 s16, -1
	s_and_saveexec_b32 s22, s23
; %bb.3875:                             ;   in Loop: Header=BB4_3733 Depth=3
	s_xor_b32 s16, exec_lo, -1
; %bb.3876:                             ;   in Loop: Header=BB4_3733 Depth=3
	s_or_b32 exec_lo, exec_lo, s22
	s_and_b32 s16, s16, exec_lo
	s_or_saveexec_b32 s19, s19
	v_mov_b32_e32 v91, 0x7f800001
	s_xor_b32 exec_lo, exec_lo, s19
	s_cbranch_execnz .LBB4_4400
.LBB4_3877:                             ;   in Loop: Header=BB4_3733 Depth=3
	s_or_b32 exec_lo, exec_lo, s19
	s_and_saveexec_b32 s19, s16
	s_cbranch_execz .LBB4_3879
.LBB4_3878:                             ;   in Loop: Header=BB4_3733 Depth=3
	v_bfe_u32 v91, v21, 24, 2
	v_bfe_u32 v94, v21, 26, 5
	v_ffbh_u32_e32 v92, v91
	v_cmp_eq_u32_e32 vcc_lo, 0, v94
	v_min_u32_e32 v92, 32, v92
	v_subrev_nc_u32_e32 v93, 29, v92
	v_sub_nc_u32_e32 v92, 30, v92
	v_lshlrev_b32_sdwa v93, v93, v21 dst_sel:DWORD dst_unused:UNUSED_PAD src0_sel:DWORD src1_sel:BYTE_3
	v_cndmask_b32_e32 v92, v94, v92, vcc_lo
	v_and_b32_e32 v21, 0x80000000, v21
	v_and_b32_e32 v93, 3, v93
	v_lshl_add_u32 v92, v92, 23, 0x37800000
	v_cndmask_b32_e32 v91, v91, v93, vcc_lo
	v_lshlrev_b32_e32 v91, 21, v91
	v_or3_b32 v91, v21, v92, v91
.LBB4_3879:                             ;   in Loop: Header=BB4_3733 Depth=3
	s_or_b32 exec_lo, exec_lo, s19
	v_cmp_gt_i16_sdwa s19, v17, v115 src0_sel:BYTE_3 src1_sel:DWORD
	s_mov_b32 s16, 0
	s_and_saveexec_b32 s22, s19
	s_xor_b32 s19, exec_lo, s22
	s_cbranch_execz .LBB4_4401
; %bb.3880:                             ;   in Loop: Header=BB4_3733 Depth=3
	v_cmp_eq_u16_sdwa s23, v17, v116 src0_sel:BYTE_3 src1_sel:DWORD
	s_mov_b32 s16, -1
	s_and_saveexec_b32 s22, s23
; %bb.3881:                             ;   in Loop: Header=BB4_3733 Depth=3
	s_xor_b32 s16, exec_lo, -1
; %bb.3882:                             ;   in Loop: Header=BB4_3733 Depth=3
	s_or_b32 exec_lo, exec_lo, s22
	s_and_b32 s16, s16, exec_lo
	s_or_saveexec_b32 s19, s19
	v_mov_b32_e32 v21, 0x7f800001
	s_xor_b32 exec_lo, exec_lo, s19
	s_cbranch_execnz .LBB4_4402
.LBB4_3883:                             ;   in Loop: Header=BB4_3733 Depth=3
	s_or_b32 exec_lo, exec_lo, s19
	s_and_saveexec_b32 s19, s16
	s_cbranch_execz .LBB4_3885
.LBB4_3884:                             ;   in Loop: Header=BB4_3733 Depth=3
	v_bfe_u32 v21, v17, 24, 2
	v_bfe_u32 v94, v17, 26, 5
	v_ffbh_u32_e32 v92, v21
	v_cmp_eq_u32_e32 vcc_lo, 0, v94
	v_min_u32_e32 v92, 32, v92
	v_subrev_nc_u32_e32 v93, 29, v92
	v_sub_nc_u32_e32 v92, 30, v92
	v_lshlrev_b32_sdwa v93, v93, v17 dst_sel:DWORD dst_unused:UNUSED_PAD src0_sel:DWORD src1_sel:BYTE_3
	v_cndmask_b32_e32 v92, v94, v92, vcc_lo
	v_and_b32_e32 v17, 0x80000000, v17
	v_and_b32_e32 v93, 3, v93
	v_lshl_add_u32 v92, v92, 23, 0x37800000
	v_cndmask_b32_e32 v21, v21, v93, vcc_lo
	v_lshlrev_b32_e32 v21, 21, v21
	v_or3_b32 v21, v17, v92, v21
.LBB4_3885:                             ;   in Loop: Header=BB4_3733 Depth=3
	s_or_b32 exec_lo, exec_lo, s19
	v_mul_f32_e32 v21, v91, v21
	v_and_b32_e32 v17, 0x7f800000, v21
	v_cmp_ne_u32_e32 vcc_lo, 0x7f800000, v17
	v_mov_b32_e32 v17, 0x8000
	s_and_saveexec_b32 s19, vcc_lo
	s_cbranch_execz .LBB4_3893
; %bb.3886:                             ;   in Loop: Header=BB4_3733 Depth=3
	v_mov_b32_e32 v17, 0
	s_mov_b32 s22, exec_lo
	v_cmpx_ne_u32_e32 0, v21
	s_cbranch_execz .LBB4_3892
; %bb.3887:                             ;   in Loop: Header=BB4_3733 Depth=3
	v_bfe_u32 v17, v21, 23, 8
	v_and_b32_e32 v91, 0x7fffff, v21
	v_sub_nc_u32_e32 v92, 0x70, v17
	v_cmp_gt_u32_e32 vcc_lo, 0x71, v17
	v_or_b32_e32 v93, 0x800000, v91
	v_cndmask_b32_e32 v92, 0, v92, vcc_lo
	v_cmp_eq_u32_e32 vcc_lo, 0, v17
	v_add_nc_u32_e32 v17, 0xffffff91, v17
	v_cndmask_b32_e64 v92, v92, 0x6f, vcc_lo
	v_cndmask_b32_e32 v91, v93, v91, vcc_lo
	v_cndmask_b32_e64 v17, v17, 0xffffff92, vcc_lo
	v_lshl_add_u32 v93, 0x200000, v92, -1
	v_lshrrev_b32_e32 v94, v92, v91
	v_lshlrev_b32_e64 v104, v92, 0x100000
	v_add_nc_u32_e32 v92, v92, v17
	v_and_b32_e32 v91, v93, v91
	v_bfe_u32 v95, v94, 21, 1
	v_cmp_eq_u32_e64 s16, v91, v104
	v_add_nc_u32_e32 v93, -1, v95
	v_cndmask_b32_e64 v91, 0, v93, s16
	v_lshrrev_b32_e32 v93, 23, v94
	s_mov_b32 s16, exec_lo
	v_add_nc_u32_e32 v91, v91, v94
	v_xor_b32_e32 v93, 1, v93
	v_and_b32_e32 v17, 0x1fffff, v91
	v_add_nc_u32_e32 v91, v17, v94
                                        ; implicit-def: $vgpr17
	v_cmpx_ne_u32_e64 v92, v93
	s_xor_b32 s16, exec_lo, s16
; %bb.3888:                             ;   in Loop: Header=BB4_3733 Depth=3
	v_cmp_lt_u32_e32 vcc_lo, 0xffffff, v91
	v_sub_nc_u32_e32 v17, v92, v93
	v_cndmask_b32_e64 v92, 0, 1, vcc_lo
	v_add_co_ci_u32_e64 v17, null, 0, v17, vcc_lo
	v_lshrrev_b32_e32 v91, v92, v91
; %bb.3889:                             ;   in Loop: Header=BB4_3733 Depth=3
	s_andn2_saveexec_b32 s16, s16
; %bb.3890:                             ;   in Loop: Header=BB4_3733 Depth=3
	v_bfe_u32 v17, v91, 23, 1
; %bb.3891:                             ;   in Loop: Header=BB4_3733 Depth=3
	s_or_b32 exec_lo, exec_lo, s16
	v_lshrrev_b32_e32 v91, 21, v91
	v_min_i32_e32 v92, 31, v17
	v_cmp_gt_i32_e32 vcc_lo, 32, v17
	v_and_b32_sdwa v21, v21, v116 dst_sel:DWORD dst_unused:UNUSED_PAD src0_sel:BYTE_3 src1_sel:DWORD
	v_lshlrev_b32_e32 v92, 2, v92
	v_cndmask_b32_e32 v91, 3, v91, vcc_lo
	v_and_b32_e32 v92, 0xfc, v92
	v_and_b32_e32 v93, 3, v91
	v_or_b32_e32 v17, v17, v91
	v_or3_b32 v21, v21, v92, v93
	v_cmp_ne_u32_e32 vcc_lo, 0, v17
	v_lshlrev_b32_e32 v21, 8, v21
	v_cndmask_b32_e32 v17, 0, v21, vcc_lo
.LBB4_3892:                             ;   in Loop: Header=BB4_3733 Depth=3
	s_or_b32 exec_lo, exec_lo, s22
.LBB4_3893:                             ;   in Loop: Header=BB4_3733 Depth=3
	s_or_b32 exec_lo, exec_lo, s19
	v_cmp_gt_i16_sdwa s19, v22, v115 src0_sel:BYTE_0 src1_sel:DWORD
	s_mov_b32 s16, 0
	s_and_saveexec_b32 s22, s19
	s_xor_b32 s19, exec_lo, s22
	s_cbranch_execz .LBB4_4403
; %bb.3894:                             ;   in Loop: Header=BB4_3733 Depth=3
	v_cmp_eq_u16_sdwa s23, v22, v116 src0_sel:BYTE_0 src1_sel:DWORD
	s_mov_b32 s16, -1
	s_and_saveexec_b32 s22, s23
; %bb.3895:                             ;   in Loop: Header=BB4_3733 Depth=3
	s_xor_b32 s16, exec_lo, -1
; %bb.3896:                             ;   in Loop: Header=BB4_3733 Depth=3
	s_or_b32 exec_lo, exec_lo, s22
	s_and_b32 s16, s16, exec_lo
	s_or_saveexec_b32 s19, s19
	v_mov_b32_e32 v21, 0x7f800001
	s_xor_b32 exec_lo, exec_lo, s19
	s_cbranch_execnz .LBB4_4404
.LBB4_3897:                             ;   in Loop: Header=BB4_3733 Depth=3
	s_or_b32 exec_lo, exec_lo, s19
	s_and_saveexec_b32 s19, s16
	s_cbranch_execz .LBB4_3899
.LBB4_3898:                             ;   in Loop: Header=BB4_3733 Depth=3
	v_and_b32_e32 v21, 3, v22
	v_bfe_u32 v93, v22, 2, 5
	v_lshlrev_b32_e32 v94, 24, v22
	v_ffbh_u32_e32 v91, v21
	v_cmp_eq_u32_e32 vcc_lo, 0, v93
	v_min_u32_e32 v91, 32, v91
	v_subrev_nc_u32_e32 v92, 29, v91
	v_sub_nc_u32_e32 v91, 30, v91
	v_lshlrev_b32_e32 v92, v92, v22
	v_cndmask_b32_e32 v91, v93, v91, vcc_lo
	v_and_b32_e32 v92, 3, v92
	v_lshl_add_u32 v91, v91, 23, 0x37800000
	v_cndmask_b32_e32 v21, v21, v92, vcc_lo
	v_and_b32_e32 v92, 0x80000000, v94
	v_lshlrev_b32_e32 v21, 21, v21
	v_or3_b32 v21, v92, v91, v21
.LBB4_3899:                             ;   in Loop: Header=BB4_3733 Depth=3
	s_or_b32 exec_lo, exec_lo, s19
	v_cmp_gt_i16_sdwa s19, v18, v115 src0_sel:BYTE_0 src1_sel:DWORD
	s_mov_b32 s16, 0
	s_and_saveexec_b32 s22, s19
	s_xor_b32 s19, exec_lo, s22
	s_cbranch_execz .LBB4_4405
; %bb.3900:                             ;   in Loop: Header=BB4_3733 Depth=3
	v_cmp_eq_u16_sdwa s23, v18, v116 src0_sel:BYTE_0 src1_sel:DWORD
	s_mov_b32 s16, -1
	s_and_saveexec_b32 s22, s23
; %bb.3901:                             ;   in Loop: Header=BB4_3733 Depth=3
	s_xor_b32 s16, exec_lo, -1
; %bb.3902:                             ;   in Loop: Header=BB4_3733 Depth=3
	s_or_b32 exec_lo, exec_lo, s22
	s_and_b32 s16, s16, exec_lo
	s_or_saveexec_b32 s19, s19
	v_mov_b32_e32 v91, 0x7f800001
	s_xor_b32 exec_lo, exec_lo, s19
	s_cbranch_execnz .LBB4_4406
.LBB4_3903:                             ;   in Loop: Header=BB4_3733 Depth=3
	s_or_b32 exec_lo, exec_lo, s19
	s_and_saveexec_b32 s19, s16
	s_cbranch_execz .LBB4_3905
.LBB4_3904:                             ;   in Loop: Header=BB4_3733 Depth=3
	v_and_b32_e32 v91, 3, v18
	v_bfe_u32 v94, v18, 2, 5
	v_lshlrev_b32_e32 v95, 24, v18
	v_ffbh_u32_e32 v92, v91
	v_cmp_eq_u32_e32 vcc_lo, 0, v94
	v_min_u32_e32 v92, 32, v92
	v_subrev_nc_u32_e32 v93, 29, v92
	v_sub_nc_u32_e32 v92, 30, v92
	v_lshlrev_b32_e32 v93, v93, v18
	v_cndmask_b32_e32 v92, v94, v92, vcc_lo
	v_and_b32_e32 v93, 3, v93
	v_lshl_add_u32 v92, v92, 23, 0x37800000
	v_cndmask_b32_e32 v91, v91, v93, vcc_lo
	v_and_b32_e32 v93, 0x80000000, v95
	v_lshlrev_b32_e32 v91, 21, v91
	v_or3_b32 v91, v93, v92, v91
.LBB4_3905:                             ;   in Loop: Header=BB4_3733 Depth=3
	s_or_b32 exec_lo, exec_lo, s19
	v_mul_f32_e32 v91, v21, v91
	v_and_b32_e32 v21, 0x7f800000, v91
	v_cmp_ne_u32_e32 vcc_lo, 0x7f800000, v21
	v_mov_b32_e32 v21, 0x80
	s_and_saveexec_b32 s19, vcc_lo
	s_cbranch_execz .LBB4_3913
; %bb.3906:                             ;   in Loop: Header=BB4_3733 Depth=3
	v_mov_b32_e32 v21, 0
	s_mov_b32 s22, exec_lo
	v_cmpx_ne_u32_e32 0, v91
	s_cbranch_execz .LBB4_3912
; %bb.3907:                             ;   in Loop: Header=BB4_3733 Depth=3
	v_bfe_u32 v21, v91, 23, 8
	v_and_b32_e32 v92, 0x7fffff, v91
	v_sub_nc_u32_e32 v93, 0x70, v21
	v_cmp_gt_u32_e32 vcc_lo, 0x71, v21
	v_or_b32_e32 v94, 0x800000, v92
	v_cndmask_b32_e32 v93, 0, v93, vcc_lo
	v_cmp_eq_u32_e32 vcc_lo, 0, v21
	v_add_nc_u32_e32 v21, 0xffffff91, v21
	v_cndmask_b32_e64 v93, v93, 0x6f, vcc_lo
	v_cndmask_b32_e32 v92, v94, v92, vcc_lo
	v_cndmask_b32_e64 v21, v21, 0xffffff92, vcc_lo
	v_lshl_add_u32 v94, 0x200000, v93, -1
	v_lshrrev_b32_e32 v95, v93, v92
	v_lshlrev_b32_e64 v105, v93, 0x100000
	v_add_nc_u32_e32 v93, v93, v21
	v_and_b32_e32 v92, v94, v92
	v_bfe_u32 v104, v95, 21, 1
	v_cmp_eq_u32_e64 s16, v92, v105
	v_add_nc_u32_e32 v94, -1, v104
	v_cndmask_b32_e64 v92, 0, v94, s16
	v_lshrrev_b32_e32 v94, 23, v95
	s_mov_b32 s16, exec_lo
	v_add_nc_u32_e32 v92, v92, v95
	v_xor_b32_e32 v94, 1, v94
	v_and_b32_e32 v21, 0x1fffff, v92
	v_add_nc_u32_e32 v92, v21, v95
                                        ; implicit-def: $vgpr21
	v_cmpx_ne_u32_e64 v93, v94
	s_xor_b32 s16, exec_lo, s16
; %bb.3908:                             ;   in Loop: Header=BB4_3733 Depth=3
	v_cmp_lt_u32_e32 vcc_lo, 0xffffff, v92
	v_sub_nc_u32_e32 v21, v93, v94
	v_cndmask_b32_e64 v93, 0, 1, vcc_lo
	v_add_co_ci_u32_e64 v21, null, 0, v21, vcc_lo
	v_lshrrev_b32_e32 v92, v93, v92
; %bb.3909:                             ;   in Loop: Header=BB4_3733 Depth=3
	s_andn2_saveexec_b32 s16, s16
; %bb.3910:                             ;   in Loop: Header=BB4_3733 Depth=3
	v_bfe_u32 v21, v92, 23, 1
; %bb.3911:                             ;   in Loop: Header=BB4_3733 Depth=3
	s_or_b32 exec_lo, exec_lo, s16
	v_lshrrev_b32_e32 v92, 21, v92
	v_min_i32_e32 v93, 31, v21
	v_cmp_gt_i32_e32 vcc_lo, 32, v21
	v_and_b32_sdwa v91, v91, v116 dst_sel:DWORD dst_unused:UNUSED_PAD src0_sel:BYTE_3 src1_sel:DWORD
	v_lshlrev_b32_e32 v93, 2, v93
	v_cndmask_b32_e32 v92, 3, v92, vcc_lo
	v_and_b32_e32 v93, 0xfc, v93
	v_and_b32_e32 v94, 3, v92
	v_or_b32_e32 v21, v21, v92
	v_or3_b32 v91, v93, v91, v94
	v_cmp_ne_u32_e32 vcc_lo, 0, v21
	v_cndmask_b32_e32 v21, 0, v91, vcc_lo
.LBB4_3912:                             ;   in Loop: Header=BB4_3733 Depth=3
	s_or_b32 exec_lo, exec_lo, s22
.LBB4_3913:                             ;   in Loop: Header=BB4_3733 Depth=3
	s_or_b32 exec_lo, exec_lo, s19
	v_cmp_gt_i16_sdwa s19, v22, v115 src0_sel:BYTE_1 src1_sel:DWORD
	s_mov_b32 s16, 0
	s_and_saveexec_b32 s22, s19
	s_xor_b32 s19, exec_lo, s22
	s_cbranch_execz .LBB4_4407
; %bb.3914:                             ;   in Loop: Header=BB4_3733 Depth=3
	v_cmp_eq_u16_sdwa s23, v22, v116 src0_sel:BYTE_1 src1_sel:DWORD
	s_mov_b32 s16, -1
	s_and_saveexec_b32 s22, s23
; %bb.3915:                             ;   in Loop: Header=BB4_3733 Depth=3
	s_xor_b32 s16, exec_lo, -1
; %bb.3916:                             ;   in Loop: Header=BB4_3733 Depth=3
	s_or_b32 exec_lo, exec_lo, s22
	s_and_b32 s16, s16, exec_lo
	s_or_saveexec_b32 s19, s19
	v_mov_b32_e32 v91, 0x7f800001
	s_xor_b32 exec_lo, exec_lo, s19
	s_cbranch_execnz .LBB4_4408
.LBB4_3917:                             ;   in Loop: Header=BB4_3733 Depth=3
	s_or_b32 exec_lo, exec_lo, s19
	s_and_saveexec_b32 s19, s16
	s_cbranch_execz .LBB4_3919
.LBB4_3918:                             ;   in Loop: Header=BB4_3733 Depth=3
	v_and_b32_sdwa v91, v117, v22 dst_sel:DWORD dst_unused:UNUSED_PAD src0_sel:DWORD src1_sel:BYTE_1
	v_and_b32_e32 v92, 3, v91
	v_bfe_u32 v95, v91, 2, 5
	v_ffbh_u32_e32 v93, v92
	v_cmp_eq_u32_e32 vcc_lo, 0, v95
	v_min_u32_e32 v93, 32, v93
	v_subrev_nc_u32_e32 v94, 29, v93
	v_sub_nc_u32_e32 v93, 30, v93
	v_lshlrev_b32_e32 v91, v94, v91
	v_lshlrev_b32_sdwa v94, v118, v22 dst_sel:DWORD dst_unused:UNUSED_PAD src0_sel:DWORD src1_sel:BYTE_1
	v_cndmask_b32_e32 v93, v95, v93, vcc_lo
	v_and_b32_e32 v91, 3, v91
	v_lshl_add_u32 v93, v93, 23, 0x37800000
	v_cndmask_b32_e32 v91, v92, v91, vcc_lo
	v_and_b32_e32 v92, 0x80000000, v94
	v_lshlrev_b32_e32 v91, 21, v91
	v_or3_b32 v91, v92, v93, v91
.LBB4_3919:                             ;   in Loop: Header=BB4_3733 Depth=3
	s_or_b32 exec_lo, exec_lo, s19
	v_cmp_gt_i16_sdwa s19, v18, v115 src0_sel:BYTE_1 src1_sel:DWORD
	s_mov_b32 s16, 0
	s_and_saveexec_b32 s22, s19
	s_xor_b32 s19, exec_lo, s22
	s_cbranch_execz .LBB4_4409
; %bb.3920:                             ;   in Loop: Header=BB4_3733 Depth=3
	v_cmp_eq_u16_sdwa s23, v18, v116 src0_sel:BYTE_1 src1_sel:DWORD
	s_mov_b32 s16, -1
	s_and_saveexec_b32 s22, s23
; %bb.3921:                             ;   in Loop: Header=BB4_3733 Depth=3
	s_xor_b32 s16, exec_lo, -1
; %bb.3922:                             ;   in Loop: Header=BB4_3733 Depth=3
	s_or_b32 exec_lo, exec_lo, s22
	s_and_b32 s16, s16, exec_lo
	s_or_saveexec_b32 s19, s19
	v_mov_b32_e32 v92, 0x7f800001
	s_xor_b32 exec_lo, exec_lo, s19
	s_cbranch_execnz .LBB4_4410
.LBB4_3923:                             ;   in Loop: Header=BB4_3733 Depth=3
	s_or_b32 exec_lo, exec_lo, s19
	s_and_saveexec_b32 s19, s16
	s_cbranch_execz .LBB4_3925
.LBB4_3924:                             ;   in Loop: Header=BB4_3733 Depth=3
	v_and_b32_sdwa v92, v117, v18 dst_sel:DWORD dst_unused:UNUSED_PAD src0_sel:DWORD src1_sel:BYTE_1
	v_and_b32_e32 v93, 3, v92
	v_bfe_u32 v104, v92, 2, 5
	v_ffbh_u32_e32 v94, v93
	v_cmp_eq_u32_e32 vcc_lo, 0, v104
	v_min_u32_e32 v94, 32, v94
	v_subrev_nc_u32_e32 v95, 29, v94
	v_sub_nc_u32_e32 v94, 30, v94
	v_lshlrev_b32_e32 v92, v95, v92
	v_lshlrev_b32_sdwa v95, v118, v18 dst_sel:DWORD dst_unused:UNUSED_PAD src0_sel:DWORD src1_sel:BYTE_1
	v_cndmask_b32_e32 v94, v104, v94, vcc_lo
	v_and_b32_e32 v92, 3, v92
	v_lshl_add_u32 v94, v94, 23, 0x37800000
	v_cndmask_b32_e32 v92, v93, v92, vcc_lo
	v_and_b32_e32 v93, 0x80000000, v95
	v_lshlrev_b32_e32 v92, 21, v92
	v_or3_b32 v92, v93, v94, v92
.LBB4_3925:                             ;   in Loop: Header=BB4_3733 Depth=3
	s_or_b32 exec_lo, exec_lo, s19
	v_mul_f32_e32 v92, v91, v92
	v_and_b32_e32 v91, 0x7f800000, v92
	v_cmp_ne_u32_e32 vcc_lo, 0x7f800000, v91
	v_mov_b32_e32 v91, 0x8000
	s_and_saveexec_b32 s19, vcc_lo
	s_cbranch_execz .LBB4_3933
; %bb.3926:                             ;   in Loop: Header=BB4_3733 Depth=3
	v_mov_b32_e32 v91, 0
	s_mov_b32 s22, exec_lo
	v_cmpx_ne_u32_e32 0, v92
	s_cbranch_execz .LBB4_3932
; %bb.3927:                             ;   in Loop: Header=BB4_3733 Depth=3
	v_bfe_u32 v91, v92, 23, 8
	v_and_b32_e32 v93, 0x7fffff, v92
	v_sub_nc_u32_e32 v94, 0x70, v91
	v_cmp_gt_u32_e32 vcc_lo, 0x71, v91
	v_or_b32_e32 v95, 0x800000, v93
	v_cndmask_b32_e32 v94, 0, v94, vcc_lo
	v_cmp_eq_u32_e32 vcc_lo, 0, v91
	v_add_nc_u32_e32 v91, 0xffffff91, v91
	v_cndmask_b32_e64 v94, v94, 0x6f, vcc_lo
	v_cndmask_b32_e32 v93, v95, v93, vcc_lo
	v_cndmask_b32_e64 v91, v91, 0xffffff92, vcc_lo
	v_lshl_add_u32 v95, 0x200000, v94, -1
	v_lshrrev_b32_e32 v104, v94, v93
	v_lshlrev_b32_e64 v106, v94, 0x100000
	v_add_nc_u32_e32 v94, v94, v91
	v_and_b32_e32 v93, v95, v93
	v_bfe_u32 v105, v104, 21, 1
	v_cmp_eq_u32_e64 s16, v93, v106
	v_add_nc_u32_e32 v95, -1, v105
	v_cndmask_b32_e64 v93, 0, v95, s16
	v_lshrrev_b32_e32 v95, 23, v104
	s_mov_b32 s16, exec_lo
	v_add_nc_u32_e32 v93, v93, v104
	v_xor_b32_e32 v95, 1, v95
	v_and_b32_e32 v91, 0x1fffff, v93
	v_add_nc_u32_e32 v93, v91, v104
                                        ; implicit-def: $vgpr91
	v_cmpx_ne_u32_e64 v94, v95
	s_xor_b32 s16, exec_lo, s16
; %bb.3928:                             ;   in Loop: Header=BB4_3733 Depth=3
	v_cmp_lt_u32_e32 vcc_lo, 0xffffff, v93
	v_sub_nc_u32_e32 v91, v94, v95
	v_cndmask_b32_e64 v94, 0, 1, vcc_lo
	v_add_co_ci_u32_e64 v91, null, 0, v91, vcc_lo
	v_lshrrev_b32_e32 v93, v94, v93
; %bb.3929:                             ;   in Loop: Header=BB4_3733 Depth=3
	s_andn2_saveexec_b32 s16, s16
; %bb.3930:                             ;   in Loop: Header=BB4_3733 Depth=3
	v_bfe_u32 v91, v93, 23, 1
; %bb.3931:                             ;   in Loop: Header=BB4_3733 Depth=3
	s_or_b32 exec_lo, exec_lo, s16
	v_lshrrev_b32_e32 v93, 21, v93
	v_min_i32_e32 v94, 31, v91
	v_cmp_gt_i32_e32 vcc_lo, 32, v91
	v_and_b32_sdwa v92, v92, v116 dst_sel:DWORD dst_unused:UNUSED_PAD src0_sel:BYTE_3 src1_sel:DWORD
	v_lshlrev_b32_e32 v94, 2, v94
	v_cndmask_b32_e32 v93, 3, v93, vcc_lo
	v_and_b32_e32 v94, 0xfc, v94
	v_and_b32_e32 v95, 3, v93
	v_or_b32_e32 v91, v91, v93
	v_or3_b32 v92, v92, v94, v95
	v_cmp_ne_u32_e32 vcc_lo, 0, v91
	v_lshlrev_b32_e32 v92, 8, v92
	v_cndmask_b32_e32 v91, 0, v92, vcc_lo
.LBB4_3932:                             ;   in Loop: Header=BB4_3733 Depth=3
	s_or_b32 exec_lo, exec_lo, s22
.LBB4_3933:                             ;   in Loop: Header=BB4_3733 Depth=3
	s_or_b32 exec_lo, exec_lo, s19
	v_and_b32_sdwa v93, v22, v119 dst_sel:DWORD dst_unused:UNUSED_PAD src0_sel:WORD_1 src1_sel:DWORD
	s_mov_b32 s16, 0
	s_mov_b32 s19, exec_lo
	v_cmpx_lt_i16_e32 0x7f, v93
	s_xor_b32 s19, exec_lo, s19
	s_cbranch_execz .LBB4_4411
; %bb.3934:                             ;   in Loop: Header=BB4_3733 Depth=3
	s_mov_b32 s16, -1
	s_mov_b32 s22, exec_lo
	v_cmpx_eq_u16_e32 0x80, v93
; %bb.3935:                             ;   in Loop: Header=BB4_3733 Depth=3
	s_xor_b32 s16, exec_lo, -1
; %bb.3936:                             ;   in Loop: Header=BB4_3733 Depth=3
	s_or_b32 exec_lo, exec_lo, s22
	s_and_b32 s16, s16, exec_lo
                                        ; implicit-def: $vgpr93
	s_or_saveexec_b32 s19, s19
	v_mov_b32_e32 v92, 0x7f800001
	s_xor_b32 exec_lo, exec_lo, s19
	s_cbranch_execnz .LBB4_4412
.LBB4_3937:                             ;   in Loop: Header=BB4_3733 Depth=3
	s_or_b32 exec_lo, exec_lo, s19
	s_and_saveexec_b32 s19, s16
	s_cbranch_execz .LBB4_3939
.LBB4_3938:                             ;   in Loop: Header=BB4_3733 Depth=3
	v_bfe_u32 v92, v22, 16, 2
	v_bfe_u32 v95, v22, 18, 5
	v_lshlrev_b32_e32 v104, 8, v22
	v_ffbh_u32_e32 v93, v92
	v_cmp_eq_u32_e32 vcc_lo, 0, v95
	v_min_u32_e32 v93, 32, v93
	v_subrev_nc_u32_e32 v94, 29, v93
	v_sub_nc_u32_e32 v93, 30, v93
	v_lshlrev_b32_sdwa v94, v94, v22 dst_sel:DWORD dst_unused:UNUSED_PAD src0_sel:DWORD src1_sel:WORD_1
	v_cndmask_b32_e32 v93, v95, v93, vcc_lo
	v_and_b32_e32 v94, 3, v94
	v_lshl_add_u32 v93, v93, 23, 0x37800000
	v_cndmask_b32_e32 v92, v92, v94, vcc_lo
	v_and_b32_e32 v94, 0x80000000, v104
	v_lshlrev_b32_e32 v92, 21, v92
	v_or3_b32 v92, v94, v93, v92
.LBB4_3939:                             ;   in Loop: Header=BB4_3733 Depth=3
	s_or_b32 exec_lo, exec_lo, s19
	v_and_b32_sdwa v94, v18, v119 dst_sel:DWORD dst_unused:UNUSED_PAD src0_sel:WORD_1 src1_sel:DWORD
	s_mov_b32 s16, 0
	s_mov_b32 s19, exec_lo
	v_cmpx_lt_i16_e32 0x7f, v94
	s_xor_b32 s19, exec_lo, s19
	s_cbranch_execz .LBB4_4413
; %bb.3940:                             ;   in Loop: Header=BB4_3733 Depth=3
	s_mov_b32 s16, -1
	s_mov_b32 s22, exec_lo
	v_cmpx_eq_u16_e32 0x80, v94
; %bb.3941:                             ;   in Loop: Header=BB4_3733 Depth=3
	s_xor_b32 s16, exec_lo, -1
; %bb.3942:                             ;   in Loop: Header=BB4_3733 Depth=3
	s_or_b32 exec_lo, exec_lo, s22
	s_and_b32 s16, s16, exec_lo
                                        ; implicit-def: $vgpr94
	s_or_saveexec_b32 s19, s19
	v_mov_b32_e32 v93, 0x7f800001
	s_xor_b32 exec_lo, exec_lo, s19
	s_cbranch_execnz .LBB4_4414
.LBB4_3943:                             ;   in Loop: Header=BB4_3733 Depth=3
	s_or_b32 exec_lo, exec_lo, s19
	s_and_saveexec_b32 s19, s16
	s_cbranch_execz .LBB4_3945
.LBB4_3944:                             ;   in Loop: Header=BB4_3733 Depth=3
	v_bfe_u32 v93, v18, 16, 2
	v_bfe_u32 v104, v18, 18, 5
	v_lshlrev_b32_e32 v105, 8, v18
	v_ffbh_u32_e32 v94, v93
	v_cmp_eq_u32_e32 vcc_lo, 0, v104
	v_min_u32_e32 v94, 32, v94
	v_subrev_nc_u32_e32 v95, 29, v94
	v_sub_nc_u32_e32 v94, 30, v94
	v_lshlrev_b32_sdwa v95, v95, v18 dst_sel:DWORD dst_unused:UNUSED_PAD src0_sel:DWORD src1_sel:WORD_1
	v_cndmask_b32_e32 v94, v104, v94, vcc_lo
	v_and_b32_e32 v95, 3, v95
	v_lshl_add_u32 v94, v94, 23, 0x37800000
	v_cndmask_b32_e32 v93, v93, v95, vcc_lo
	v_and_b32_e32 v95, 0x80000000, v105
	v_lshlrev_b32_e32 v93, 21, v93
	v_or3_b32 v93, v95, v94, v93
.LBB4_3945:                             ;   in Loop: Header=BB4_3733 Depth=3
	s_or_b32 exec_lo, exec_lo, s19
	v_mul_f32_e32 v93, v92, v93
	v_and_b32_e32 v92, 0x7f800000, v93
	v_cmp_ne_u32_e32 vcc_lo, 0x7f800000, v92
	v_mov_b32_e32 v92, 0x80
	s_and_saveexec_b32 s19, vcc_lo
	s_cbranch_execz .LBB4_3953
; %bb.3946:                             ;   in Loop: Header=BB4_3733 Depth=3
	v_mov_b32_e32 v92, 0
	s_mov_b32 s22, exec_lo
	v_cmpx_ne_u32_e32 0, v93
	s_cbranch_execz .LBB4_3952
; %bb.3947:                             ;   in Loop: Header=BB4_3733 Depth=3
	v_bfe_u32 v92, v93, 23, 8
	v_and_b32_e32 v94, 0x7fffff, v93
	v_sub_nc_u32_e32 v95, 0x70, v92
	v_cmp_gt_u32_e32 vcc_lo, 0x71, v92
	v_or_b32_e32 v104, 0x800000, v94
	v_cndmask_b32_e32 v95, 0, v95, vcc_lo
	v_cmp_eq_u32_e32 vcc_lo, 0, v92
	v_add_nc_u32_e32 v92, 0xffffff91, v92
	v_cndmask_b32_e64 v95, v95, 0x6f, vcc_lo
	v_cndmask_b32_e32 v94, v104, v94, vcc_lo
	v_cndmask_b32_e64 v92, v92, 0xffffff92, vcc_lo
	v_lshl_add_u32 v104, 0x200000, v95, -1
	v_lshrrev_b32_e32 v105, v95, v94
	v_lshlrev_b32_e64 v107, v95, 0x100000
	v_add_nc_u32_e32 v95, v95, v92
	v_and_b32_e32 v94, v104, v94
	v_bfe_u32 v106, v105, 21, 1
	v_cmp_eq_u32_e64 s16, v94, v107
	v_add_nc_u32_e32 v104, -1, v106
	v_cndmask_b32_e64 v94, 0, v104, s16
	v_lshrrev_b32_e32 v104, 23, v105
	s_mov_b32 s16, exec_lo
	v_add_nc_u32_e32 v94, v94, v105
	v_xor_b32_e32 v104, 1, v104
	v_and_b32_e32 v92, 0x1fffff, v94
	v_add_nc_u32_e32 v94, v92, v105
                                        ; implicit-def: $vgpr92
	v_cmpx_ne_u32_e64 v95, v104
	s_xor_b32 s16, exec_lo, s16
; %bb.3948:                             ;   in Loop: Header=BB4_3733 Depth=3
	v_cmp_lt_u32_e32 vcc_lo, 0xffffff, v94
	v_sub_nc_u32_e32 v92, v95, v104
	v_cndmask_b32_e64 v95, 0, 1, vcc_lo
	v_add_co_ci_u32_e64 v92, null, 0, v92, vcc_lo
	v_lshrrev_b32_e32 v94, v95, v94
; %bb.3949:                             ;   in Loop: Header=BB4_3733 Depth=3
	s_andn2_saveexec_b32 s16, s16
; %bb.3950:                             ;   in Loop: Header=BB4_3733 Depth=3
	v_bfe_u32 v92, v94, 23, 1
; %bb.3951:                             ;   in Loop: Header=BB4_3733 Depth=3
	s_or_b32 exec_lo, exec_lo, s16
	v_lshrrev_b32_e32 v94, 21, v94
	v_min_i32_e32 v95, 31, v92
	v_cmp_gt_i32_e32 vcc_lo, 32, v92
	v_and_b32_sdwa v93, v93, v116 dst_sel:DWORD dst_unused:UNUSED_PAD src0_sel:BYTE_3 src1_sel:DWORD
	v_lshlrev_b32_e32 v95, 2, v95
	v_cndmask_b32_e32 v94, 3, v94, vcc_lo
	v_and_b32_e32 v95, 0xfc, v95
	v_and_b32_e32 v104, 3, v94
	v_or_b32_e32 v92, v92, v94
	v_or3_b32 v93, v95, v93, v104
	v_cmp_ne_u32_e32 vcc_lo, 0, v92
	v_cndmask_b32_e32 v92, 0, v93, vcc_lo
.LBB4_3952:                             ;   in Loop: Header=BB4_3733 Depth=3
	s_or_b32 exec_lo, exec_lo, s22
.LBB4_3953:                             ;   in Loop: Header=BB4_3733 Depth=3
	s_or_b32 exec_lo, exec_lo, s19
	v_cmp_gt_i16_sdwa s19, v22, v115 src0_sel:BYTE_3 src1_sel:DWORD
	s_mov_b32 s16, 0
	s_and_saveexec_b32 s22, s19
	s_xor_b32 s19, exec_lo, s22
	s_cbranch_execz .LBB4_4415
; %bb.3954:                             ;   in Loop: Header=BB4_3733 Depth=3
	v_cmp_eq_u16_sdwa s23, v22, v116 src0_sel:BYTE_3 src1_sel:DWORD
	s_mov_b32 s16, -1
	s_and_saveexec_b32 s22, s23
; %bb.3955:                             ;   in Loop: Header=BB4_3733 Depth=3
	s_xor_b32 s16, exec_lo, -1
; %bb.3956:                             ;   in Loop: Header=BB4_3733 Depth=3
	s_or_b32 exec_lo, exec_lo, s22
	s_and_b32 s16, s16, exec_lo
	s_or_saveexec_b32 s19, s19
	v_mov_b32_e32 v93, 0x7f800001
	s_xor_b32 exec_lo, exec_lo, s19
	s_cbranch_execnz .LBB4_4416
.LBB4_3957:                             ;   in Loop: Header=BB4_3733 Depth=3
	s_or_b32 exec_lo, exec_lo, s19
	s_and_saveexec_b32 s19, s16
	s_cbranch_execz .LBB4_3959
.LBB4_3958:                             ;   in Loop: Header=BB4_3733 Depth=3
	v_bfe_u32 v93, v22, 24, 2
	v_bfe_u32 v104, v22, 26, 5
	v_ffbh_u32_e32 v94, v93
	v_cmp_eq_u32_e32 vcc_lo, 0, v104
	v_min_u32_e32 v94, 32, v94
	v_subrev_nc_u32_e32 v95, 29, v94
	v_sub_nc_u32_e32 v94, 30, v94
	v_lshlrev_b32_sdwa v95, v95, v22 dst_sel:DWORD dst_unused:UNUSED_PAD src0_sel:DWORD src1_sel:BYTE_3
	v_cndmask_b32_e32 v94, v104, v94, vcc_lo
	v_and_b32_e32 v22, 0x80000000, v22
	v_and_b32_e32 v95, 3, v95
	v_lshl_add_u32 v94, v94, 23, 0x37800000
	v_cndmask_b32_e32 v93, v93, v95, vcc_lo
	v_lshlrev_b32_e32 v93, 21, v93
	v_or3_b32 v93, v22, v94, v93
.LBB4_3959:                             ;   in Loop: Header=BB4_3733 Depth=3
	s_or_b32 exec_lo, exec_lo, s19
	v_cmp_gt_i16_sdwa s19, v18, v115 src0_sel:BYTE_3 src1_sel:DWORD
	s_mov_b32 s16, 0
	s_and_saveexec_b32 s22, s19
	s_xor_b32 s19, exec_lo, s22
	s_cbranch_execz .LBB4_4417
; %bb.3960:                             ;   in Loop: Header=BB4_3733 Depth=3
	v_cmp_eq_u16_sdwa s23, v18, v116 src0_sel:BYTE_3 src1_sel:DWORD
	s_mov_b32 s16, -1
	s_and_saveexec_b32 s22, s23
; %bb.3961:                             ;   in Loop: Header=BB4_3733 Depth=3
	s_xor_b32 s16, exec_lo, -1
; %bb.3962:                             ;   in Loop: Header=BB4_3733 Depth=3
	s_or_b32 exec_lo, exec_lo, s22
	s_and_b32 s16, s16, exec_lo
	s_or_saveexec_b32 s19, s19
	v_mov_b32_e32 v22, 0x7f800001
	s_xor_b32 exec_lo, exec_lo, s19
	s_cbranch_execnz .LBB4_4418
.LBB4_3963:                             ;   in Loop: Header=BB4_3733 Depth=3
	s_or_b32 exec_lo, exec_lo, s19
	s_and_saveexec_b32 s19, s16
	s_cbranch_execz .LBB4_3965
.LBB4_3964:                             ;   in Loop: Header=BB4_3733 Depth=3
	v_bfe_u32 v22, v18, 24, 2
	v_bfe_u32 v104, v18, 26, 5
	v_ffbh_u32_e32 v94, v22
	v_cmp_eq_u32_e32 vcc_lo, 0, v104
	v_min_u32_e32 v94, 32, v94
	v_subrev_nc_u32_e32 v95, 29, v94
	v_sub_nc_u32_e32 v94, 30, v94
	v_lshlrev_b32_sdwa v95, v95, v18 dst_sel:DWORD dst_unused:UNUSED_PAD src0_sel:DWORD src1_sel:BYTE_3
	v_cndmask_b32_e32 v94, v104, v94, vcc_lo
	v_and_b32_e32 v18, 0x80000000, v18
	v_and_b32_e32 v95, 3, v95
	v_lshl_add_u32 v94, v94, 23, 0x37800000
	v_cndmask_b32_e32 v22, v22, v95, vcc_lo
	v_lshlrev_b32_e32 v22, 21, v22
	v_or3_b32 v22, v18, v94, v22
.LBB4_3965:                             ;   in Loop: Header=BB4_3733 Depth=3
	s_or_b32 exec_lo, exec_lo, s19
	v_mul_f32_e32 v22, v93, v22
	v_and_b32_e32 v18, 0x7f800000, v22
	v_cmp_ne_u32_e32 vcc_lo, 0x7f800000, v18
	v_mov_b32_e32 v18, 0x8000
	s_and_saveexec_b32 s19, vcc_lo
	s_cbranch_execz .LBB4_3973
; %bb.3966:                             ;   in Loop: Header=BB4_3733 Depth=3
	v_mov_b32_e32 v18, 0
	s_mov_b32 s22, exec_lo
	v_cmpx_ne_u32_e32 0, v22
	s_cbranch_execz .LBB4_3972
; %bb.3967:                             ;   in Loop: Header=BB4_3733 Depth=3
	v_bfe_u32 v18, v22, 23, 8
	v_and_b32_e32 v93, 0x7fffff, v22
	v_sub_nc_u32_e32 v94, 0x70, v18
	v_cmp_gt_u32_e32 vcc_lo, 0x71, v18
	v_or_b32_e32 v95, 0x800000, v93
	v_cndmask_b32_e32 v94, 0, v94, vcc_lo
	v_cmp_eq_u32_e32 vcc_lo, 0, v18
	v_add_nc_u32_e32 v18, 0xffffff91, v18
	v_cndmask_b32_e64 v94, v94, 0x6f, vcc_lo
	v_cndmask_b32_e32 v93, v95, v93, vcc_lo
	v_cndmask_b32_e64 v18, v18, 0xffffff92, vcc_lo
	v_lshl_add_u32 v95, 0x200000, v94, -1
	v_lshrrev_b32_e32 v104, v94, v93
	v_lshlrev_b32_e64 v106, v94, 0x100000
	v_add_nc_u32_e32 v94, v94, v18
	v_and_b32_e32 v93, v95, v93
	v_bfe_u32 v105, v104, 21, 1
	v_cmp_eq_u32_e64 s16, v93, v106
	v_add_nc_u32_e32 v95, -1, v105
	v_cndmask_b32_e64 v93, 0, v95, s16
	v_lshrrev_b32_e32 v95, 23, v104
	s_mov_b32 s16, exec_lo
	v_add_nc_u32_e32 v93, v93, v104
	v_xor_b32_e32 v95, 1, v95
	v_and_b32_e32 v18, 0x1fffff, v93
	v_add_nc_u32_e32 v93, v18, v104
                                        ; implicit-def: $vgpr18
	v_cmpx_ne_u32_e64 v94, v95
	s_xor_b32 s16, exec_lo, s16
; %bb.3968:                             ;   in Loop: Header=BB4_3733 Depth=3
	v_cmp_lt_u32_e32 vcc_lo, 0xffffff, v93
	v_sub_nc_u32_e32 v18, v94, v95
	v_cndmask_b32_e64 v94, 0, 1, vcc_lo
	v_add_co_ci_u32_e64 v18, null, 0, v18, vcc_lo
	v_lshrrev_b32_e32 v93, v94, v93
; %bb.3969:                             ;   in Loop: Header=BB4_3733 Depth=3
	s_andn2_saveexec_b32 s16, s16
; %bb.3970:                             ;   in Loop: Header=BB4_3733 Depth=3
	v_bfe_u32 v18, v93, 23, 1
; %bb.3971:                             ;   in Loop: Header=BB4_3733 Depth=3
	s_or_b32 exec_lo, exec_lo, s16
	v_lshrrev_b32_e32 v93, 21, v93
	v_min_i32_e32 v94, 31, v18
	v_cmp_gt_i32_e32 vcc_lo, 32, v18
	v_and_b32_sdwa v22, v22, v116 dst_sel:DWORD dst_unused:UNUSED_PAD src0_sel:BYTE_3 src1_sel:DWORD
	v_lshlrev_b32_e32 v94, 2, v94
	v_cndmask_b32_e32 v93, 3, v93, vcc_lo
	v_and_b32_e32 v94, 0xfc, v94
	v_and_b32_e32 v95, 3, v93
	v_or_b32_e32 v18, v18, v93
	v_or3_b32 v22, v22, v94, v95
	v_cmp_ne_u32_e32 vcc_lo, 0, v18
	v_lshlrev_b32_e32 v22, 8, v22
	v_cndmask_b32_e32 v18, 0, v22, vcc_lo
.LBB4_3972:                             ;   in Loop: Header=BB4_3733 Depth=3
	s_or_b32 exec_lo, exec_lo, s22
.LBB4_3973:                             ;   in Loop: Header=BB4_3733 Depth=3
	s_or_b32 exec_lo, exec_lo, s19
	v_cmp_gt_i16_sdwa s19, v23, v115 src0_sel:BYTE_0 src1_sel:DWORD
	s_mov_b32 s16, 0
	s_and_saveexec_b32 s22, s19
	s_xor_b32 s19, exec_lo, s22
	s_cbranch_execz .LBB4_4419
; %bb.3974:                             ;   in Loop: Header=BB4_3733 Depth=3
	v_cmp_eq_u16_sdwa s23, v23, v116 src0_sel:BYTE_0 src1_sel:DWORD
	s_mov_b32 s16, -1
	s_and_saveexec_b32 s22, s23
; %bb.3975:                             ;   in Loop: Header=BB4_3733 Depth=3
	s_xor_b32 s16, exec_lo, -1
; %bb.3976:                             ;   in Loop: Header=BB4_3733 Depth=3
	s_or_b32 exec_lo, exec_lo, s22
	s_and_b32 s16, s16, exec_lo
	s_or_saveexec_b32 s19, s19
	v_mov_b32_e32 v22, 0x7f800001
	s_xor_b32 exec_lo, exec_lo, s19
	s_cbranch_execnz .LBB4_4420
.LBB4_3977:                             ;   in Loop: Header=BB4_3733 Depth=3
	s_or_b32 exec_lo, exec_lo, s19
	s_and_saveexec_b32 s19, s16
	s_cbranch_execz .LBB4_3979
.LBB4_3978:                             ;   in Loop: Header=BB4_3733 Depth=3
	v_and_b32_e32 v22, 3, v23
	v_bfe_u32 v95, v23, 2, 5
	v_lshlrev_b32_e32 v104, 24, v23
	v_ffbh_u32_e32 v93, v22
	v_cmp_eq_u32_e32 vcc_lo, 0, v95
	v_min_u32_e32 v93, 32, v93
	v_subrev_nc_u32_e32 v94, 29, v93
	v_sub_nc_u32_e32 v93, 30, v93
	v_lshlrev_b32_e32 v94, v94, v23
	v_cndmask_b32_e32 v93, v95, v93, vcc_lo
	v_and_b32_e32 v94, 3, v94
	v_lshl_add_u32 v93, v93, 23, 0x37800000
	v_cndmask_b32_e32 v22, v22, v94, vcc_lo
	v_and_b32_e32 v94, 0x80000000, v104
	v_lshlrev_b32_e32 v22, 21, v22
	v_or3_b32 v22, v94, v93, v22
.LBB4_3979:                             ;   in Loop: Header=BB4_3733 Depth=3
	s_or_b32 exec_lo, exec_lo, s19
	v_cmp_gt_i16_sdwa s19, v19, v115 src0_sel:BYTE_0 src1_sel:DWORD
	s_mov_b32 s16, 0
	s_and_saveexec_b32 s22, s19
	s_xor_b32 s19, exec_lo, s22
	s_cbranch_execz .LBB4_4421
; %bb.3980:                             ;   in Loop: Header=BB4_3733 Depth=3
	v_cmp_eq_u16_sdwa s23, v19, v116 src0_sel:BYTE_0 src1_sel:DWORD
	s_mov_b32 s16, -1
	s_and_saveexec_b32 s22, s23
; %bb.3981:                             ;   in Loop: Header=BB4_3733 Depth=3
	s_xor_b32 s16, exec_lo, -1
; %bb.3982:                             ;   in Loop: Header=BB4_3733 Depth=3
	s_or_b32 exec_lo, exec_lo, s22
	s_and_b32 s16, s16, exec_lo
	s_or_saveexec_b32 s19, s19
	v_mov_b32_e32 v93, 0x7f800001
	s_xor_b32 exec_lo, exec_lo, s19
	s_cbranch_execnz .LBB4_4422
.LBB4_3983:                             ;   in Loop: Header=BB4_3733 Depth=3
	s_or_b32 exec_lo, exec_lo, s19
	s_and_saveexec_b32 s19, s16
	s_cbranch_execz .LBB4_3985
.LBB4_3984:                             ;   in Loop: Header=BB4_3733 Depth=3
	v_and_b32_e32 v93, 3, v19
	v_bfe_u32 v104, v19, 2, 5
	v_lshlrev_b32_e32 v105, 24, v19
	v_ffbh_u32_e32 v94, v93
	v_cmp_eq_u32_e32 vcc_lo, 0, v104
	v_min_u32_e32 v94, 32, v94
	v_subrev_nc_u32_e32 v95, 29, v94
	v_sub_nc_u32_e32 v94, 30, v94
	v_lshlrev_b32_e32 v95, v95, v19
	v_cndmask_b32_e32 v94, v104, v94, vcc_lo
	v_and_b32_e32 v95, 3, v95
	v_lshl_add_u32 v94, v94, 23, 0x37800000
	v_cndmask_b32_e32 v93, v93, v95, vcc_lo
	v_and_b32_e32 v95, 0x80000000, v105
	v_lshlrev_b32_e32 v93, 21, v93
	v_or3_b32 v93, v95, v94, v93
.LBB4_3985:                             ;   in Loop: Header=BB4_3733 Depth=3
	s_or_b32 exec_lo, exec_lo, s19
	v_mul_f32_e32 v93, v22, v93
	v_and_b32_e32 v22, 0x7f800000, v93
	v_cmp_ne_u32_e32 vcc_lo, 0x7f800000, v22
	v_mov_b32_e32 v22, 0x80
	s_and_saveexec_b32 s19, vcc_lo
	s_cbranch_execz .LBB4_3993
; %bb.3986:                             ;   in Loop: Header=BB4_3733 Depth=3
	v_mov_b32_e32 v22, 0
	s_mov_b32 s22, exec_lo
	v_cmpx_ne_u32_e32 0, v93
	s_cbranch_execz .LBB4_3992
; %bb.3987:                             ;   in Loop: Header=BB4_3733 Depth=3
	v_bfe_u32 v22, v93, 23, 8
	v_and_b32_e32 v94, 0x7fffff, v93
	v_sub_nc_u32_e32 v95, 0x70, v22
	v_cmp_gt_u32_e32 vcc_lo, 0x71, v22
	v_or_b32_e32 v104, 0x800000, v94
	v_cndmask_b32_e32 v95, 0, v95, vcc_lo
	v_cmp_eq_u32_e32 vcc_lo, 0, v22
	v_add_nc_u32_e32 v22, 0xffffff91, v22
	v_cndmask_b32_e64 v95, v95, 0x6f, vcc_lo
	v_cndmask_b32_e32 v94, v104, v94, vcc_lo
	v_cndmask_b32_e64 v22, v22, 0xffffff92, vcc_lo
	v_lshl_add_u32 v104, 0x200000, v95, -1
	v_lshrrev_b32_e32 v105, v95, v94
	v_lshlrev_b32_e64 v107, v95, 0x100000
	v_add_nc_u32_e32 v95, v95, v22
	v_and_b32_e32 v94, v104, v94
	v_bfe_u32 v106, v105, 21, 1
	v_cmp_eq_u32_e64 s16, v94, v107
	v_add_nc_u32_e32 v104, -1, v106
	v_cndmask_b32_e64 v94, 0, v104, s16
	v_lshrrev_b32_e32 v104, 23, v105
	s_mov_b32 s16, exec_lo
	v_add_nc_u32_e32 v94, v94, v105
	v_xor_b32_e32 v104, 1, v104
	v_and_b32_e32 v22, 0x1fffff, v94
	v_add_nc_u32_e32 v94, v22, v105
                                        ; implicit-def: $vgpr22
	v_cmpx_ne_u32_e64 v95, v104
	s_xor_b32 s16, exec_lo, s16
; %bb.3988:                             ;   in Loop: Header=BB4_3733 Depth=3
	v_cmp_lt_u32_e32 vcc_lo, 0xffffff, v94
	v_sub_nc_u32_e32 v22, v95, v104
	v_cndmask_b32_e64 v95, 0, 1, vcc_lo
	v_add_co_ci_u32_e64 v22, null, 0, v22, vcc_lo
	v_lshrrev_b32_e32 v94, v95, v94
; %bb.3989:                             ;   in Loop: Header=BB4_3733 Depth=3
	s_andn2_saveexec_b32 s16, s16
; %bb.3990:                             ;   in Loop: Header=BB4_3733 Depth=3
	v_bfe_u32 v22, v94, 23, 1
; %bb.3991:                             ;   in Loop: Header=BB4_3733 Depth=3
	s_or_b32 exec_lo, exec_lo, s16
	v_lshrrev_b32_e32 v94, 21, v94
	v_min_i32_e32 v95, 31, v22
	v_cmp_gt_i32_e32 vcc_lo, 32, v22
	v_and_b32_sdwa v93, v93, v116 dst_sel:DWORD dst_unused:UNUSED_PAD src0_sel:BYTE_3 src1_sel:DWORD
	v_lshlrev_b32_e32 v95, 2, v95
	v_cndmask_b32_e32 v94, 3, v94, vcc_lo
	v_and_b32_e32 v95, 0xfc, v95
	v_and_b32_e32 v104, 3, v94
	v_or_b32_e32 v22, v22, v94
	v_or3_b32 v93, v95, v93, v104
	v_cmp_ne_u32_e32 vcc_lo, 0, v22
	v_cndmask_b32_e32 v22, 0, v93, vcc_lo
.LBB4_3992:                             ;   in Loop: Header=BB4_3733 Depth=3
	s_or_b32 exec_lo, exec_lo, s22
.LBB4_3993:                             ;   in Loop: Header=BB4_3733 Depth=3
	s_or_b32 exec_lo, exec_lo, s19
	v_cmp_gt_i16_sdwa s19, v23, v115 src0_sel:BYTE_1 src1_sel:DWORD
	s_mov_b32 s16, 0
	s_and_saveexec_b32 s22, s19
	s_xor_b32 s19, exec_lo, s22
	s_cbranch_execz .LBB4_4423
; %bb.3994:                             ;   in Loop: Header=BB4_3733 Depth=3
	v_cmp_eq_u16_sdwa s23, v23, v116 src0_sel:BYTE_1 src1_sel:DWORD
	s_mov_b32 s16, -1
	s_and_saveexec_b32 s22, s23
; %bb.3995:                             ;   in Loop: Header=BB4_3733 Depth=3
	s_xor_b32 s16, exec_lo, -1
; %bb.3996:                             ;   in Loop: Header=BB4_3733 Depth=3
	s_or_b32 exec_lo, exec_lo, s22
	s_and_b32 s16, s16, exec_lo
	s_or_saveexec_b32 s19, s19
	v_mov_b32_e32 v93, 0x7f800001
	s_xor_b32 exec_lo, exec_lo, s19
	s_cbranch_execnz .LBB4_4424
.LBB4_3997:                             ;   in Loop: Header=BB4_3733 Depth=3
	s_or_b32 exec_lo, exec_lo, s19
	s_and_saveexec_b32 s19, s16
	s_cbranch_execz .LBB4_3999
.LBB4_3998:                             ;   in Loop: Header=BB4_3733 Depth=3
	v_and_b32_sdwa v93, v117, v23 dst_sel:DWORD dst_unused:UNUSED_PAD src0_sel:DWORD src1_sel:BYTE_1
	v_and_b32_e32 v94, 3, v93
	v_bfe_u32 v105, v93, 2, 5
	v_ffbh_u32_e32 v95, v94
	v_cmp_eq_u32_e32 vcc_lo, 0, v105
	v_min_u32_e32 v95, 32, v95
	v_subrev_nc_u32_e32 v104, 29, v95
	v_sub_nc_u32_e32 v95, 30, v95
	v_lshlrev_b32_e32 v93, v104, v93
	v_lshlrev_b32_sdwa v104, v118, v23 dst_sel:DWORD dst_unused:UNUSED_PAD src0_sel:DWORD src1_sel:BYTE_1
	v_cndmask_b32_e32 v95, v105, v95, vcc_lo
	v_and_b32_e32 v93, 3, v93
	v_lshl_add_u32 v95, v95, 23, 0x37800000
	v_cndmask_b32_e32 v93, v94, v93, vcc_lo
	v_and_b32_e32 v94, 0x80000000, v104
	v_lshlrev_b32_e32 v93, 21, v93
	v_or3_b32 v93, v94, v95, v93
.LBB4_3999:                             ;   in Loop: Header=BB4_3733 Depth=3
	s_or_b32 exec_lo, exec_lo, s19
	v_cmp_gt_i16_sdwa s19, v19, v115 src0_sel:BYTE_1 src1_sel:DWORD
	s_mov_b32 s16, 0
	s_and_saveexec_b32 s22, s19
	s_xor_b32 s19, exec_lo, s22
	s_cbranch_execz .LBB4_4425
; %bb.4000:                             ;   in Loop: Header=BB4_3733 Depth=3
	v_cmp_eq_u16_sdwa s23, v19, v116 src0_sel:BYTE_1 src1_sel:DWORD
	s_mov_b32 s16, -1
	s_and_saveexec_b32 s22, s23
; %bb.4001:                             ;   in Loop: Header=BB4_3733 Depth=3
	s_xor_b32 s16, exec_lo, -1
; %bb.4002:                             ;   in Loop: Header=BB4_3733 Depth=3
	s_or_b32 exec_lo, exec_lo, s22
	s_and_b32 s16, s16, exec_lo
	s_or_saveexec_b32 s19, s19
	v_mov_b32_e32 v94, 0x7f800001
	s_xor_b32 exec_lo, exec_lo, s19
	s_cbranch_execnz .LBB4_4426
.LBB4_4003:                             ;   in Loop: Header=BB4_3733 Depth=3
	s_or_b32 exec_lo, exec_lo, s19
	s_and_saveexec_b32 s19, s16
	s_cbranch_execz .LBB4_4005
.LBB4_4004:                             ;   in Loop: Header=BB4_3733 Depth=3
	v_and_b32_sdwa v94, v117, v19 dst_sel:DWORD dst_unused:UNUSED_PAD src0_sel:DWORD src1_sel:BYTE_1
	v_and_b32_e32 v95, 3, v94
	v_bfe_u32 v106, v94, 2, 5
	v_ffbh_u32_e32 v104, v95
	v_cmp_eq_u32_e32 vcc_lo, 0, v106
	v_min_u32_e32 v104, 32, v104
	v_subrev_nc_u32_e32 v105, 29, v104
	v_sub_nc_u32_e32 v104, 30, v104
	v_lshlrev_b32_e32 v94, v105, v94
	v_lshlrev_b32_sdwa v105, v118, v19 dst_sel:DWORD dst_unused:UNUSED_PAD src0_sel:DWORD src1_sel:BYTE_1
	v_cndmask_b32_e32 v104, v106, v104, vcc_lo
	v_and_b32_e32 v94, 3, v94
	v_lshl_add_u32 v104, v104, 23, 0x37800000
	v_cndmask_b32_e32 v94, v95, v94, vcc_lo
	v_and_b32_e32 v95, 0x80000000, v105
	v_lshlrev_b32_e32 v94, 21, v94
	v_or3_b32 v94, v95, v104, v94
.LBB4_4005:                             ;   in Loop: Header=BB4_3733 Depth=3
	s_or_b32 exec_lo, exec_lo, s19
	v_mul_f32_e32 v94, v93, v94
	v_and_b32_e32 v93, 0x7f800000, v94
	v_cmp_ne_u32_e32 vcc_lo, 0x7f800000, v93
	v_mov_b32_e32 v93, 0x8000
	s_and_saveexec_b32 s19, vcc_lo
	s_cbranch_execz .LBB4_4013
; %bb.4006:                             ;   in Loop: Header=BB4_3733 Depth=3
	v_mov_b32_e32 v93, 0
	s_mov_b32 s22, exec_lo
	v_cmpx_ne_u32_e32 0, v94
	s_cbranch_execz .LBB4_4012
; %bb.4007:                             ;   in Loop: Header=BB4_3733 Depth=3
	v_bfe_u32 v93, v94, 23, 8
	v_and_b32_e32 v95, 0x7fffff, v94
	v_sub_nc_u32_e32 v104, 0x70, v93
	v_cmp_gt_u32_e32 vcc_lo, 0x71, v93
	v_or_b32_e32 v105, 0x800000, v95
	v_cndmask_b32_e32 v104, 0, v104, vcc_lo
	v_cmp_eq_u32_e32 vcc_lo, 0, v93
	v_add_nc_u32_e32 v93, 0xffffff91, v93
	v_cndmask_b32_e64 v104, v104, 0x6f, vcc_lo
	v_cndmask_b32_e32 v95, v105, v95, vcc_lo
	v_cndmask_b32_e64 v93, v93, 0xffffff92, vcc_lo
	v_lshl_add_u32 v105, 0x200000, v104, -1
	v_lshrrev_b32_e32 v106, v104, v95
	v_lshlrev_b32_e64 v108, v104, 0x100000
	v_add_nc_u32_e32 v104, v104, v93
	v_and_b32_e32 v95, v105, v95
	v_bfe_u32 v107, v106, 21, 1
	v_cmp_eq_u32_e64 s16, v95, v108
	v_add_nc_u32_e32 v105, -1, v107
	v_cndmask_b32_e64 v95, 0, v105, s16
	v_lshrrev_b32_e32 v105, 23, v106
	s_mov_b32 s16, exec_lo
	v_add_nc_u32_e32 v95, v95, v106
	v_xor_b32_e32 v105, 1, v105
	v_and_b32_e32 v93, 0x1fffff, v95
	v_add_nc_u32_e32 v95, v93, v106
                                        ; implicit-def: $vgpr93
	v_cmpx_ne_u32_e64 v104, v105
	s_xor_b32 s16, exec_lo, s16
; %bb.4008:                             ;   in Loop: Header=BB4_3733 Depth=3
	v_cmp_lt_u32_e32 vcc_lo, 0xffffff, v95
	v_sub_nc_u32_e32 v93, v104, v105
	v_cndmask_b32_e64 v104, 0, 1, vcc_lo
	v_add_co_ci_u32_e64 v93, null, 0, v93, vcc_lo
	v_lshrrev_b32_e32 v95, v104, v95
; %bb.4009:                             ;   in Loop: Header=BB4_3733 Depth=3
	s_andn2_saveexec_b32 s16, s16
; %bb.4010:                             ;   in Loop: Header=BB4_3733 Depth=3
	v_bfe_u32 v93, v95, 23, 1
; %bb.4011:                             ;   in Loop: Header=BB4_3733 Depth=3
	s_or_b32 exec_lo, exec_lo, s16
	v_lshrrev_b32_e32 v95, 21, v95
	v_min_i32_e32 v104, 31, v93
	v_cmp_gt_i32_e32 vcc_lo, 32, v93
	v_and_b32_sdwa v94, v94, v116 dst_sel:DWORD dst_unused:UNUSED_PAD src0_sel:BYTE_3 src1_sel:DWORD
	v_lshlrev_b32_e32 v104, 2, v104
	v_cndmask_b32_e32 v95, 3, v95, vcc_lo
	v_and_b32_e32 v104, 0xfc, v104
	v_and_b32_e32 v105, 3, v95
	v_or_b32_e32 v93, v93, v95
	v_or3_b32 v94, v94, v104, v105
	v_cmp_ne_u32_e32 vcc_lo, 0, v93
	v_lshlrev_b32_e32 v94, 8, v94
	v_cndmask_b32_e32 v93, 0, v94, vcc_lo
.LBB4_4012:                             ;   in Loop: Header=BB4_3733 Depth=3
	s_or_b32 exec_lo, exec_lo, s22
.LBB4_4013:                             ;   in Loop: Header=BB4_3733 Depth=3
	s_or_b32 exec_lo, exec_lo, s19
	v_and_b32_sdwa v95, v23, v119 dst_sel:DWORD dst_unused:UNUSED_PAD src0_sel:WORD_1 src1_sel:DWORD
	s_mov_b32 s16, 0
	s_mov_b32 s19, exec_lo
	v_cmpx_lt_i16_e32 0x7f, v95
	s_xor_b32 s19, exec_lo, s19
	s_cbranch_execz .LBB4_4427
; %bb.4014:                             ;   in Loop: Header=BB4_3733 Depth=3
	s_mov_b32 s16, -1
	s_mov_b32 s22, exec_lo
	v_cmpx_eq_u16_e32 0x80, v95
; %bb.4015:                             ;   in Loop: Header=BB4_3733 Depth=3
	s_xor_b32 s16, exec_lo, -1
; %bb.4016:                             ;   in Loop: Header=BB4_3733 Depth=3
	s_or_b32 exec_lo, exec_lo, s22
	s_and_b32 s16, s16, exec_lo
                                        ; implicit-def: $vgpr95
	s_or_saveexec_b32 s19, s19
	v_mov_b32_e32 v94, 0x7f800001
	s_xor_b32 exec_lo, exec_lo, s19
	s_cbranch_execnz .LBB4_4428
.LBB4_4017:                             ;   in Loop: Header=BB4_3733 Depth=3
	s_or_b32 exec_lo, exec_lo, s19
	s_and_saveexec_b32 s19, s16
	s_cbranch_execz .LBB4_4019
.LBB4_4018:                             ;   in Loop: Header=BB4_3733 Depth=3
	v_bfe_u32 v94, v23, 16, 2
	v_bfe_u32 v105, v23, 18, 5
	v_lshlrev_b32_e32 v106, 8, v23
	v_ffbh_u32_e32 v95, v94
	v_cmp_eq_u32_e32 vcc_lo, 0, v105
	v_min_u32_e32 v95, 32, v95
	v_subrev_nc_u32_e32 v104, 29, v95
	v_sub_nc_u32_e32 v95, 30, v95
	v_lshlrev_b32_sdwa v104, v104, v23 dst_sel:DWORD dst_unused:UNUSED_PAD src0_sel:DWORD src1_sel:WORD_1
	v_cndmask_b32_e32 v95, v105, v95, vcc_lo
	v_and_b32_e32 v104, 3, v104
	v_lshl_add_u32 v95, v95, 23, 0x37800000
	v_cndmask_b32_e32 v94, v94, v104, vcc_lo
	v_and_b32_e32 v104, 0x80000000, v106
	v_lshlrev_b32_e32 v94, 21, v94
	v_or3_b32 v94, v104, v95, v94
.LBB4_4019:                             ;   in Loop: Header=BB4_3733 Depth=3
	s_or_b32 exec_lo, exec_lo, s19
	v_and_b32_sdwa v104, v19, v119 dst_sel:DWORD dst_unused:UNUSED_PAD src0_sel:WORD_1 src1_sel:DWORD
	s_mov_b32 s16, 0
	s_mov_b32 s19, exec_lo
	v_cmpx_lt_i16_e32 0x7f, v104
	s_xor_b32 s19, exec_lo, s19
	s_cbranch_execz .LBB4_4429
; %bb.4020:                             ;   in Loop: Header=BB4_3733 Depth=3
	s_mov_b32 s16, -1
	s_mov_b32 s22, exec_lo
	v_cmpx_eq_u16_e32 0x80, v104
; %bb.4021:                             ;   in Loop: Header=BB4_3733 Depth=3
	s_xor_b32 s16, exec_lo, -1
; %bb.4022:                             ;   in Loop: Header=BB4_3733 Depth=3
	s_or_b32 exec_lo, exec_lo, s22
	s_and_b32 s16, s16, exec_lo
                                        ; implicit-def: $vgpr104
	s_or_saveexec_b32 s19, s19
	v_mov_b32_e32 v95, 0x7f800001
	s_xor_b32 exec_lo, exec_lo, s19
	s_cbranch_execnz .LBB4_4430
.LBB4_4023:                             ;   in Loop: Header=BB4_3733 Depth=3
	s_or_b32 exec_lo, exec_lo, s19
	s_and_saveexec_b32 s19, s16
	s_cbranch_execz .LBB4_4025
.LBB4_4024:                             ;   in Loop: Header=BB4_3733 Depth=3
	v_bfe_u32 v95, v19, 16, 2
	v_bfe_u32 v106, v19, 18, 5
	v_lshlrev_b32_e32 v107, 8, v19
	v_ffbh_u32_e32 v104, v95
	v_cmp_eq_u32_e32 vcc_lo, 0, v106
	v_min_u32_e32 v104, 32, v104
	v_subrev_nc_u32_e32 v105, 29, v104
	v_sub_nc_u32_e32 v104, 30, v104
	v_lshlrev_b32_sdwa v105, v105, v19 dst_sel:DWORD dst_unused:UNUSED_PAD src0_sel:DWORD src1_sel:WORD_1
	v_cndmask_b32_e32 v104, v106, v104, vcc_lo
	v_and_b32_e32 v105, 3, v105
	v_lshl_add_u32 v104, v104, 23, 0x37800000
	v_cndmask_b32_e32 v95, v95, v105, vcc_lo
	v_and_b32_e32 v105, 0x80000000, v107
	v_lshlrev_b32_e32 v95, 21, v95
	v_or3_b32 v95, v105, v104, v95
.LBB4_4025:                             ;   in Loop: Header=BB4_3733 Depth=3
	s_or_b32 exec_lo, exec_lo, s19
	v_mul_f32_e32 v95, v94, v95
	v_and_b32_e32 v94, 0x7f800000, v95
	v_cmp_ne_u32_e32 vcc_lo, 0x7f800000, v94
	v_mov_b32_e32 v94, 0x80
	s_and_saveexec_b32 s19, vcc_lo
	s_cbranch_execz .LBB4_4033
; %bb.4026:                             ;   in Loop: Header=BB4_3733 Depth=3
	v_mov_b32_e32 v94, 0
	s_mov_b32 s22, exec_lo
	v_cmpx_ne_u32_e32 0, v95
	s_cbranch_execz .LBB4_4032
; %bb.4027:                             ;   in Loop: Header=BB4_3733 Depth=3
	v_bfe_u32 v94, v95, 23, 8
	v_and_b32_e32 v104, 0x7fffff, v95
	v_sub_nc_u32_e32 v105, 0x70, v94
	v_cmp_gt_u32_e32 vcc_lo, 0x71, v94
	v_or_b32_e32 v106, 0x800000, v104
	v_cndmask_b32_e32 v105, 0, v105, vcc_lo
	v_cmp_eq_u32_e32 vcc_lo, 0, v94
	v_add_nc_u32_e32 v94, 0xffffff91, v94
	v_cndmask_b32_e64 v105, v105, 0x6f, vcc_lo
	v_cndmask_b32_e32 v104, v106, v104, vcc_lo
	v_cndmask_b32_e64 v94, v94, 0xffffff92, vcc_lo
	v_lshl_add_u32 v106, 0x200000, v105, -1
	v_lshrrev_b32_e32 v107, v105, v104
	v_lshlrev_b32_e64 v109, v105, 0x100000
	v_add_nc_u32_e32 v105, v105, v94
	v_and_b32_e32 v104, v106, v104
	v_bfe_u32 v108, v107, 21, 1
	v_cmp_eq_u32_e64 s16, v104, v109
	v_add_nc_u32_e32 v106, -1, v108
	v_cndmask_b32_e64 v104, 0, v106, s16
	v_lshrrev_b32_e32 v106, 23, v107
	s_mov_b32 s16, exec_lo
	v_add_nc_u32_e32 v104, v104, v107
	v_xor_b32_e32 v106, 1, v106
	v_and_b32_e32 v94, 0x1fffff, v104
	v_add_nc_u32_e32 v104, v94, v107
                                        ; implicit-def: $vgpr94
	v_cmpx_ne_u32_e64 v105, v106
	s_xor_b32 s16, exec_lo, s16
; %bb.4028:                             ;   in Loop: Header=BB4_3733 Depth=3
	v_cmp_lt_u32_e32 vcc_lo, 0xffffff, v104
	v_sub_nc_u32_e32 v94, v105, v106
	v_cndmask_b32_e64 v105, 0, 1, vcc_lo
	v_add_co_ci_u32_e64 v94, null, 0, v94, vcc_lo
	v_lshrrev_b32_e32 v104, v105, v104
; %bb.4029:                             ;   in Loop: Header=BB4_3733 Depth=3
	s_andn2_saveexec_b32 s16, s16
; %bb.4030:                             ;   in Loop: Header=BB4_3733 Depth=3
	v_bfe_u32 v94, v104, 23, 1
; %bb.4031:                             ;   in Loop: Header=BB4_3733 Depth=3
	s_or_b32 exec_lo, exec_lo, s16
	v_lshrrev_b32_e32 v104, 21, v104
	v_min_i32_e32 v105, 31, v94
	v_cmp_gt_i32_e32 vcc_lo, 32, v94
	v_and_b32_sdwa v95, v95, v116 dst_sel:DWORD dst_unused:UNUSED_PAD src0_sel:BYTE_3 src1_sel:DWORD
	v_lshlrev_b32_e32 v105, 2, v105
	v_cndmask_b32_e32 v104, 3, v104, vcc_lo
	v_and_b32_e32 v105, 0xfc, v105
	v_and_b32_e32 v106, 3, v104
	v_or_b32_e32 v94, v94, v104
	v_or3_b32 v95, v105, v95, v106
	v_cmp_ne_u32_e32 vcc_lo, 0, v94
	v_cndmask_b32_e32 v94, 0, v95, vcc_lo
.LBB4_4032:                             ;   in Loop: Header=BB4_3733 Depth=3
	s_or_b32 exec_lo, exec_lo, s22
.LBB4_4033:                             ;   in Loop: Header=BB4_3733 Depth=3
	s_or_b32 exec_lo, exec_lo, s19
	v_cmp_gt_i16_sdwa s19, v23, v115 src0_sel:BYTE_3 src1_sel:DWORD
	s_mov_b32 s16, 0
	s_and_saveexec_b32 s22, s19
	s_xor_b32 s19, exec_lo, s22
	s_cbranch_execz .LBB4_4431
; %bb.4034:                             ;   in Loop: Header=BB4_3733 Depth=3
	v_cmp_eq_u16_sdwa s23, v23, v116 src0_sel:BYTE_3 src1_sel:DWORD
	s_mov_b32 s16, -1
	s_and_saveexec_b32 s22, s23
; %bb.4035:                             ;   in Loop: Header=BB4_3733 Depth=3
	s_xor_b32 s16, exec_lo, -1
; %bb.4036:                             ;   in Loop: Header=BB4_3733 Depth=3
	s_or_b32 exec_lo, exec_lo, s22
	s_and_b32 s16, s16, exec_lo
	s_or_saveexec_b32 s19, s19
	v_mov_b32_e32 v95, 0x7f800001
	s_xor_b32 exec_lo, exec_lo, s19
	s_cbranch_execnz .LBB4_4432
.LBB4_4037:                             ;   in Loop: Header=BB4_3733 Depth=3
	s_or_b32 exec_lo, exec_lo, s19
	s_and_saveexec_b32 s19, s16
	s_cbranch_execz .LBB4_4039
.LBB4_4038:                             ;   in Loop: Header=BB4_3733 Depth=3
	v_bfe_u32 v95, v23, 24, 2
	v_bfe_u32 v106, v23, 26, 5
	v_ffbh_u32_e32 v104, v95
	v_cmp_eq_u32_e32 vcc_lo, 0, v106
	v_min_u32_e32 v104, 32, v104
	v_subrev_nc_u32_e32 v105, 29, v104
	v_sub_nc_u32_e32 v104, 30, v104
	v_lshlrev_b32_sdwa v105, v105, v23 dst_sel:DWORD dst_unused:UNUSED_PAD src0_sel:DWORD src1_sel:BYTE_3
	v_cndmask_b32_e32 v104, v106, v104, vcc_lo
	v_and_b32_e32 v23, 0x80000000, v23
	v_and_b32_e32 v105, 3, v105
	v_lshl_add_u32 v104, v104, 23, 0x37800000
	v_cndmask_b32_e32 v95, v95, v105, vcc_lo
	v_lshlrev_b32_e32 v95, 21, v95
	v_or3_b32 v95, v23, v104, v95
.LBB4_4039:                             ;   in Loop: Header=BB4_3733 Depth=3
	s_or_b32 exec_lo, exec_lo, s19
	v_cmp_gt_i16_sdwa s19, v19, v115 src0_sel:BYTE_3 src1_sel:DWORD
	s_mov_b32 s16, 0
	s_and_saveexec_b32 s22, s19
	s_xor_b32 s19, exec_lo, s22
	s_cbranch_execz .LBB4_4433
; %bb.4040:                             ;   in Loop: Header=BB4_3733 Depth=3
	v_cmp_eq_u16_sdwa s23, v19, v116 src0_sel:BYTE_3 src1_sel:DWORD
	s_mov_b32 s16, -1
	s_and_saveexec_b32 s22, s23
; %bb.4041:                             ;   in Loop: Header=BB4_3733 Depth=3
	s_xor_b32 s16, exec_lo, -1
; %bb.4042:                             ;   in Loop: Header=BB4_3733 Depth=3
	s_or_b32 exec_lo, exec_lo, s22
	s_and_b32 s16, s16, exec_lo
	s_or_saveexec_b32 s19, s19
	v_mov_b32_e32 v23, 0x7f800001
	s_xor_b32 exec_lo, exec_lo, s19
	s_cbranch_execnz .LBB4_4434
.LBB4_4043:                             ;   in Loop: Header=BB4_3733 Depth=3
	s_or_b32 exec_lo, exec_lo, s19
	s_and_saveexec_b32 s19, s16
	s_cbranch_execz .LBB4_4045
.LBB4_4044:                             ;   in Loop: Header=BB4_3733 Depth=3
	v_bfe_u32 v23, v19, 24, 2
	v_bfe_u32 v106, v19, 26, 5
	v_ffbh_u32_e32 v104, v23
	v_cmp_eq_u32_e32 vcc_lo, 0, v106
	v_min_u32_e32 v104, 32, v104
	v_subrev_nc_u32_e32 v105, 29, v104
	v_sub_nc_u32_e32 v104, 30, v104
	v_lshlrev_b32_sdwa v105, v105, v19 dst_sel:DWORD dst_unused:UNUSED_PAD src0_sel:DWORD src1_sel:BYTE_3
	v_cndmask_b32_e32 v104, v106, v104, vcc_lo
	v_and_b32_e32 v19, 0x80000000, v19
	v_and_b32_e32 v105, 3, v105
	v_lshl_add_u32 v104, v104, 23, 0x37800000
	v_cndmask_b32_e32 v23, v23, v105, vcc_lo
	v_lshlrev_b32_e32 v23, 21, v23
	v_or3_b32 v23, v19, v104, v23
.LBB4_4045:                             ;   in Loop: Header=BB4_3733 Depth=3
	s_or_b32 exec_lo, exec_lo, s19
	v_mul_f32_e32 v23, v95, v23
	v_and_b32_e32 v19, 0x7f800000, v23
	v_cmp_ne_u32_e32 vcc_lo, 0x7f800000, v19
	v_mov_b32_e32 v19, 0x8000
	s_and_saveexec_b32 s19, vcc_lo
	s_cbranch_execz .LBB4_4053
; %bb.4046:                             ;   in Loop: Header=BB4_3733 Depth=3
	v_mov_b32_e32 v19, 0
	s_mov_b32 s22, exec_lo
	v_cmpx_ne_u32_e32 0, v23
	s_cbranch_execz .LBB4_4052
; %bb.4047:                             ;   in Loop: Header=BB4_3733 Depth=3
	v_bfe_u32 v19, v23, 23, 8
	v_and_b32_e32 v95, 0x7fffff, v23
	v_sub_nc_u32_e32 v104, 0x70, v19
	v_cmp_gt_u32_e32 vcc_lo, 0x71, v19
	v_or_b32_e32 v105, 0x800000, v95
	v_cndmask_b32_e32 v104, 0, v104, vcc_lo
	v_cmp_eq_u32_e32 vcc_lo, 0, v19
	v_add_nc_u32_e32 v19, 0xffffff91, v19
	v_cndmask_b32_e64 v104, v104, 0x6f, vcc_lo
	v_cndmask_b32_e32 v95, v105, v95, vcc_lo
	v_cndmask_b32_e64 v19, v19, 0xffffff92, vcc_lo
	v_lshl_add_u32 v105, 0x200000, v104, -1
	v_lshrrev_b32_e32 v106, v104, v95
	v_lshlrev_b32_e64 v108, v104, 0x100000
	v_add_nc_u32_e32 v104, v104, v19
	v_and_b32_e32 v95, v105, v95
	v_bfe_u32 v107, v106, 21, 1
	v_cmp_eq_u32_e64 s16, v95, v108
	v_add_nc_u32_e32 v105, -1, v107
	v_cndmask_b32_e64 v95, 0, v105, s16
	v_lshrrev_b32_e32 v105, 23, v106
	s_mov_b32 s16, exec_lo
	v_add_nc_u32_e32 v95, v95, v106
	v_xor_b32_e32 v105, 1, v105
	v_and_b32_e32 v19, 0x1fffff, v95
	v_add_nc_u32_e32 v95, v19, v106
                                        ; implicit-def: $vgpr19
	v_cmpx_ne_u32_e64 v104, v105
	s_xor_b32 s16, exec_lo, s16
; %bb.4048:                             ;   in Loop: Header=BB4_3733 Depth=3
	v_cmp_lt_u32_e32 vcc_lo, 0xffffff, v95
	v_sub_nc_u32_e32 v19, v104, v105
	v_cndmask_b32_e64 v104, 0, 1, vcc_lo
	v_add_co_ci_u32_e64 v19, null, 0, v19, vcc_lo
	v_lshrrev_b32_e32 v95, v104, v95
; %bb.4049:                             ;   in Loop: Header=BB4_3733 Depth=3
	s_andn2_saveexec_b32 s16, s16
; %bb.4050:                             ;   in Loop: Header=BB4_3733 Depth=3
	v_bfe_u32 v19, v95, 23, 1
; %bb.4051:                             ;   in Loop: Header=BB4_3733 Depth=3
	s_or_b32 exec_lo, exec_lo, s16
	v_lshrrev_b32_e32 v95, 21, v95
	v_min_i32_e32 v104, 31, v19
	v_cmp_gt_i32_e32 vcc_lo, 32, v19
	v_and_b32_sdwa v23, v23, v116 dst_sel:DWORD dst_unused:UNUSED_PAD src0_sel:BYTE_3 src1_sel:DWORD
	v_lshlrev_b32_e32 v104, 2, v104
	v_cndmask_b32_e32 v95, 3, v95, vcc_lo
	v_and_b32_e32 v104, 0xfc, v104
	v_and_b32_e32 v105, 3, v95
	v_or_b32_e32 v19, v19, v95
	v_or3_b32 v23, v23, v104, v105
	v_cmp_ne_u32_e32 vcc_lo, 0, v19
	v_lshlrev_b32_e32 v23, 8, v23
	v_cndmask_b32_e32 v19, 0, v23, vcc_lo
.LBB4_4052:                             ;   in Loop: Header=BB4_3733 Depth=3
	s_or_b32 exec_lo, exec_lo, s22
.LBB4_4053:                             ;   in Loop: Header=BB4_3733 Depth=3
	s_or_b32 exec_lo, exec_lo, s19
	v_cmp_gt_i16_sdwa s19, v12, v115 src0_sel:BYTE_0 src1_sel:DWORD
	s_mov_b32 s16, 0
	s_and_saveexec_b32 s22, s19
	s_xor_b32 s19, exec_lo, s22
	s_cbranch_execz .LBB4_4435
; %bb.4054:                             ;   in Loop: Header=BB4_3733 Depth=3
	v_cmp_eq_u16_sdwa s23, v12, v116 src0_sel:BYTE_0 src1_sel:DWORD
	s_mov_b32 s16, -1
	s_and_saveexec_b32 s22, s23
; %bb.4055:                             ;   in Loop: Header=BB4_3733 Depth=3
	s_xor_b32 s16, exec_lo, -1
; %bb.4056:                             ;   in Loop: Header=BB4_3733 Depth=3
	s_or_b32 exec_lo, exec_lo, s22
	s_and_b32 s16, s16, exec_lo
	s_or_saveexec_b32 s19, s19
	v_mov_b32_e32 v23, 0x7f800001
	s_xor_b32 exec_lo, exec_lo, s19
	s_cbranch_execnz .LBB4_4436
.LBB4_4057:                             ;   in Loop: Header=BB4_3733 Depth=3
	s_or_b32 exec_lo, exec_lo, s19
	s_and_saveexec_b32 s19, s16
	s_cbranch_execz .LBB4_4059
.LBB4_4058:                             ;   in Loop: Header=BB4_3733 Depth=3
	v_and_b32_e32 v23, 3, v12
	v_bfe_u32 v105, v12, 2, 5
	v_lshlrev_b32_e32 v106, 24, v12
	v_ffbh_u32_e32 v95, v23
	v_cmp_eq_u32_e32 vcc_lo, 0, v105
	v_min_u32_e32 v95, 32, v95
	v_subrev_nc_u32_e32 v104, 29, v95
	v_sub_nc_u32_e32 v95, 30, v95
	v_lshlrev_b32_e32 v104, v104, v12
	v_cndmask_b32_e32 v95, v105, v95, vcc_lo
	v_and_b32_e32 v104, 3, v104
	v_lshl_add_u32 v95, v95, 23, 0x37800000
	v_cndmask_b32_e32 v23, v23, v104, vcc_lo
	v_and_b32_e32 v104, 0x80000000, v106
	v_lshlrev_b32_e32 v23, 21, v23
	v_or3_b32 v23, v104, v95, v23
.LBB4_4059:                             ;   in Loop: Header=BB4_3733 Depth=3
	s_or_b32 exec_lo, exec_lo, s19
	s_waitcnt vmcnt(0)
	v_cmp_gt_i16_sdwa s19, v8, v115 src0_sel:BYTE_0 src1_sel:DWORD
	s_mov_b32 s16, 0
	s_and_saveexec_b32 s22, s19
	s_xor_b32 s19, exec_lo, s22
	s_cbranch_execz .LBB4_4437
; %bb.4060:                             ;   in Loop: Header=BB4_3733 Depth=3
	v_cmp_eq_u16_sdwa s23, v8, v116 src0_sel:BYTE_0 src1_sel:DWORD
	s_mov_b32 s16, -1
	s_and_saveexec_b32 s22, s23
; %bb.4061:                             ;   in Loop: Header=BB4_3733 Depth=3
	s_xor_b32 s16, exec_lo, -1
; %bb.4062:                             ;   in Loop: Header=BB4_3733 Depth=3
	s_or_b32 exec_lo, exec_lo, s22
	s_and_b32 s16, s16, exec_lo
	s_or_saveexec_b32 s19, s19
	v_mov_b32_e32 v95, 0x7f800001
	s_xor_b32 exec_lo, exec_lo, s19
	s_cbranch_execnz .LBB4_4438
.LBB4_4063:                             ;   in Loop: Header=BB4_3733 Depth=3
	s_or_b32 exec_lo, exec_lo, s19
	s_and_saveexec_b32 s19, s16
	s_cbranch_execz .LBB4_4065
.LBB4_4064:                             ;   in Loop: Header=BB4_3733 Depth=3
	v_and_b32_e32 v95, 3, v8
	v_bfe_u32 v106, v8, 2, 5
	v_lshlrev_b32_e32 v107, 24, v8
	v_ffbh_u32_e32 v104, v95
	v_cmp_eq_u32_e32 vcc_lo, 0, v106
	v_min_u32_e32 v104, 32, v104
	v_subrev_nc_u32_e32 v105, 29, v104
	v_sub_nc_u32_e32 v104, 30, v104
	v_lshlrev_b32_e32 v105, v105, v8
	v_cndmask_b32_e32 v104, v106, v104, vcc_lo
	v_and_b32_e32 v105, 3, v105
	v_lshl_add_u32 v104, v104, 23, 0x37800000
	v_cndmask_b32_e32 v95, v95, v105, vcc_lo
	v_and_b32_e32 v105, 0x80000000, v107
	v_lshlrev_b32_e32 v95, 21, v95
	v_or3_b32 v95, v105, v104, v95
.LBB4_4065:                             ;   in Loop: Header=BB4_3733 Depth=3
	s_or_b32 exec_lo, exec_lo, s19
	v_mul_f32_e32 v95, v23, v95
	v_and_b32_e32 v23, 0x7f800000, v95
	v_cmp_ne_u32_e32 vcc_lo, 0x7f800000, v23
	v_mov_b32_e32 v23, 0x80
	s_and_saveexec_b32 s19, vcc_lo
	s_cbranch_execz .LBB4_4073
; %bb.4066:                             ;   in Loop: Header=BB4_3733 Depth=3
	v_mov_b32_e32 v23, 0
	s_mov_b32 s22, exec_lo
	v_cmpx_ne_u32_e32 0, v95
	s_cbranch_execz .LBB4_4072
; %bb.4067:                             ;   in Loop: Header=BB4_3733 Depth=3
	v_bfe_u32 v23, v95, 23, 8
	v_and_b32_e32 v104, 0x7fffff, v95
	v_sub_nc_u32_e32 v105, 0x70, v23
	v_cmp_gt_u32_e32 vcc_lo, 0x71, v23
	v_or_b32_e32 v106, 0x800000, v104
	v_cndmask_b32_e32 v105, 0, v105, vcc_lo
	v_cmp_eq_u32_e32 vcc_lo, 0, v23
	v_add_nc_u32_e32 v23, 0xffffff91, v23
	v_cndmask_b32_e64 v105, v105, 0x6f, vcc_lo
	v_cndmask_b32_e32 v104, v106, v104, vcc_lo
	v_cndmask_b32_e64 v23, v23, 0xffffff92, vcc_lo
	v_lshl_add_u32 v106, 0x200000, v105, -1
	v_lshrrev_b32_e32 v107, v105, v104
	v_lshlrev_b32_e64 v109, v105, 0x100000
	v_add_nc_u32_e32 v105, v105, v23
	v_and_b32_e32 v104, v106, v104
	v_bfe_u32 v108, v107, 21, 1
	v_cmp_eq_u32_e64 s16, v104, v109
	v_add_nc_u32_e32 v106, -1, v108
	v_cndmask_b32_e64 v104, 0, v106, s16
	v_lshrrev_b32_e32 v106, 23, v107
	s_mov_b32 s16, exec_lo
	v_add_nc_u32_e32 v104, v104, v107
	v_xor_b32_e32 v106, 1, v106
	v_and_b32_e32 v23, 0x1fffff, v104
	v_add_nc_u32_e32 v104, v23, v107
                                        ; implicit-def: $vgpr23
	v_cmpx_ne_u32_e64 v105, v106
	s_xor_b32 s16, exec_lo, s16
; %bb.4068:                             ;   in Loop: Header=BB4_3733 Depth=3
	v_cmp_lt_u32_e32 vcc_lo, 0xffffff, v104
	v_sub_nc_u32_e32 v23, v105, v106
	v_cndmask_b32_e64 v105, 0, 1, vcc_lo
	v_add_co_ci_u32_e64 v23, null, 0, v23, vcc_lo
	v_lshrrev_b32_e32 v104, v105, v104
; %bb.4069:                             ;   in Loop: Header=BB4_3733 Depth=3
	s_andn2_saveexec_b32 s16, s16
; %bb.4070:                             ;   in Loop: Header=BB4_3733 Depth=3
	v_bfe_u32 v23, v104, 23, 1
; %bb.4071:                             ;   in Loop: Header=BB4_3733 Depth=3
	s_or_b32 exec_lo, exec_lo, s16
	v_lshrrev_b32_e32 v104, 21, v104
	v_min_i32_e32 v105, 31, v23
	v_cmp_gt_i32_e32 vcc_lo, 32, v23
	v_and_b32_sdwa v95, v95, v116 dst_sel:DWORD dst_unused:UNUSED_PAD src0_sel:BYTE_3 src1_sel:DWORD
	v_lshlrev_b32_e32 v105, 2, v105
	v_cndmask_b32_e32 v104, 3, v104, vcc_lo
	v_and_b32_e32 v105, 0xfc, v105
	v_and_b32_e32 v106, 3, v104
	v_or_b32_e32 v23, v23, v104
	v_or3_b32 v95, v105, v95, v106
	v_cmp_ne_u32_e32 vcc_lo, 0, v23
	v_cndmask_b32_e32 v23, 0, v95, vcc_lo
.LBB4_4072:                             ;   in Loop: Header=BB4_3733 Depth=3
	s_or_b32 exec_lo, exec_lo, s22
.LBB4_4073:                             ;   in Loop: Header=BB4_3733 Depth=3
	s_or_b32 exec_lo, exec_lo, s19
	v_cmp_gt_i16_sdwa s19, v12, v115 src0_sel:BYTE_1 src1_sel:DWORD
	s_mov_b32 s16, 0
	s_and_saveexec_b32 s22, s19
	s_xor_b32 s19, exec_lo, s22
	s_cbranch_execz .LBB4_4439
; %bb.4074:                             ;   in Loop: Header=BB4_3733 Depth=3
	v_cmp_eq_u16_sdwa s23, v12, v116 src0_sel:BYTE_1 src1_sel:DWORD
	s_mov_b32 s16, -1
	s_and_saveexec_b32 s22, s23
; %bb.4075:                             ;   in Loop: Header=BB4_3733 Depth=3
	s_xor_b32 s16, exec_lo, -1
; %bb.4076:                             ;   in Loop: Header=BB4_3733 Depth=3
	s_or_b32 exec_lo, exec_lo, s22
	s_and_b32 s16, s16, exec_lo
	s_or_saveexec_b32 s19, s19
	v_mov_b32_e32 v95, 0x7f800001
	s_xor_b32 exec_lo, exec_lo, s19
	s_cbranch_execnz .LBB4_4440
.LBB4_4077:                             ;   in Loop: Header=BB4_3733 Depth=3
	s_or_b32 exec_lo, exec_lo, s19
	s_and_saveexec_b32 s19, s16
	s_cbranch_execz .LBB4_4079
.LBB4_4078:                             ;   in Loop: Header=BB4_3733 Depth=3
	v_and_b32_sdwa v95, v117, v12 dst_sel:DWORD dst_unused:UNUSED_PAD src0_sel:DWORD src1_sel:BYTE_1
	v_and_b32_e32 v104, 3, v95
	v_bfe_u32 v107, v95, 2, 5
	v_ffbh_u32_e32 v105, v104
	v_cmp_eq_u32_e32 vcc_lo, 0, v107
	v_min_u32_e32 v105, 32, v105
	v_subrev_nc_u32_e32 v106, 29, v105
	v_sub_nc_u32_e32 v105, 30, v105
	v_lshlrev_b32_e32 v95, v106, v95
	v_lshlrev_b32_sdwa v106, v118, v12 dst_sel:DWORD dst_unused:UNUSED_PAD src0_sel:DWORD src1_sel:BYTE_1
	v_cndmask_b32_e32 v105, v107, v105, vcc_lo
	v_and_b32_e32 v95, 3, v95
	v_lshl_add_u32 v105, v105, 23, 0x37800000
	v_cndmask_b32_e32 v95, v104, v95, vcc_lo
	v_and_b32_e32 v104, 0x80000000, v106
	v_lshlrev_b32_e32 v95, 21, v95
	v_or3_b32 v95, v104, v105, v95
.LBB4_4079:                             ;   in Loop: Header=BB4_3733 Depth=3
	s_or_b32 exec_lo, exec_lo, s19
	v_cmp_gt_i16_sdwa s19, v8, v115 src0_sel:BYTE_1 src1_sel:DWORD
	s_mov_b32 s16, 0
	s_and_saveexec_b32 s22, s19
	s_xor_b32 s19, exec_lo, s22
	s_cbranch_execz .LBB4_4441
; %bb.4080:                             ;   in Loop: Header=BB4_3733 Depth=3
	v_cmp_eq_u16_sdwa s23, v8, v116 src0_sel:BYTE_1 src1_sel:DWORD
	s_mov_b32 s16, -1
	s_and_saveexec_b32 s22, s23
; %bb.4081:                             ;   in Loop: Header=BB4_3733 Depth=3
	s_xor_b32 s16, exec_lo, -1
; %bb.4082:                             ;   in Loop: Header=BB4_3733 Depth=3
	s_or_b32 exec_lo, exec_lo, s22
	s_and_b32 s16, s16, exec_lo
	s_or_saveexec_b32 s19, s19
	v_mov_b32_e32 v104, 0x7f800001
	s_xor_b32 exec_lo, exec_lo, s19
	s_cbranch_execnz .LBB4_4442
.LBB4_4083:                             ;   in Loop: Header=BB4_3733 Depth=3
	s_or_b32 exec_lo, exec_lo, s19
	s_and_saveexec_b32 s19, s16
	s_cbranch_execz .LBB4_4085
.LBB4_4084:                             ;   in Loop: Header=BB4_3733 Depth=3
	v_and_b32_sdwa v104, v117, v8 dst_sel:DWORD dst_unused:UNUSED_PAD src0_sel:DWORD src1_sel:BYTE_1
	v_and_b32_e32 v105, 3, v104
	v_bfe_u32 v108, v104, 2, 5
	v_ffbh_u32_e32 v106, v105
	v_cmp_eq_u32_e32 vcc_lo, 0, v108
	v_min_u32_e32 v106, 32, v106
	v_subrev_nc_u32_e32 v107, 29, v106
	v_sub_nc_u32_e32 v106, 30, v106
	v_lshlrev_b32_e32 v104, v107, v104
	v_lshlrev_b32_sdwa v107, v118, v8 dst_sel:DWORD dst_unused:UNUSED_PAD src0_sel:DWORD src1_sel:BYTE_1
	v_cndmask_b32_e32 v106, v108, v106, vcc_lo
	v_and_b32_e32 v104, 3, v104
	v_lshl_add_u32 v106, v106, 23, 0x37800000
	v_cndmask_b32_e32 v104, v105, v104, vcc_lo
	v_and_b32_e32 v105, 0x80000000, v107
	v_lshlrev_b32_e32 v104, 21, v104
	v_or3_b32 v104, v105, v106, v104
.LBB4_4085:                             ;   in Loop: Header=BB4_3733 Depth=3
	s_or_b32 exec_lo, exec_lo, s19
	v_mul_f32_e32 v104, v95, v104
	v_and_b32_e32 v95, 0x7f800000, v104
	v_cmp_ne_u32_e32 vcc_lo, 0x7f800000, v95
	v_mov_b32_e32 v95, 0x8000
	s_and_saveexec_b32 s19, vcc_lo
	s_cbranch_execz .LBB4_4093
; %bb.4086:                             ;   in Loop: Header=BB4_3733 Depth=3
	v_mov_b32_e32 v95, 0
	s_mov_b32 s22, exec_lo
	v_cmpx_ne_u32_e32 0, v104
	s_cbranch_execz .LBB4_4092
; %bb.4087:                             ;   in Loop: Header=BB4_3733 Depth=3
	v_bfe_u32 v95, v104, 23, 8
	v_and_b32_e32 v105, 0x7fffff, v104
	v_sub_nc_u32_e32 v106, 0x70, v95
	v_cmp_gt_u32_e32 vcc_lo, 0x71, v95
	v_or_b32_e32 v107, 0x800000, v105
	v_cndmask_b32_e32 v106, 0, v106, vcc_lo
	v_cmp_eq_u32_e32 vcc_lo, 0, v95
	v_add_nc_u32_e32 v95, 0xffffff91, v95
	v_cndmask_b32_e64 v106, v106, 0x6f, vcc_lo
	v_cndmask_b32_e32 v105, v107, v105, vcc_lo
	v_cndmask_b32_e64 v95, v95, 0xffffff92, vcc_lo
	v_lshl_add_u32 v107, 0x200000, v106, -1
	v_lshrrev_b32_e32 v108, v106, v105
	v_lshlrev_b32_e64 v110, v106, 0x100000
	v_add_nc_u32_e32 v106, v106, v95
	v_and_b32_e32 v105, v107, v105
	v_bfe_u32 v109, v108, 21, 1
	v_cmp_eq_u32_e64 s16, v105, v110
	v_add_nc_u32_e32 v107, -1, v109
	v_cndmask_b32_e64 v105, 0, v107, s16
	v_lshrrev_b32_e32 v107, 23, v108
	s_mov_b32 s16, exec_lo
	v_add_nc_u32_e32 v105, v105, v108
	v_xor_b32_e32 v107, 1, v107
	v_and_b32_e32 v95, 0x1fffff, v105
	v_add_nc_u32_e32 v105, v95, v108
                                        ; implicit-def: $vgpr95
	v_cmpx_ne_u32_e64 v106, v107
	s_xor_b32 s16, exec_lo, s16
; %bb.4088:                             ;   in Loop: Header=BB4_3733 Depth=3
	v_cmp_lt_u32_e32 vcc_lo, 0xffffff, v105
	v_sub_nc_u32_e32 v95, v106, v107
	v_cndmask_b32_e64 v106, 0, 1, vcc_lo
	v_add_co_ci_u32_e64 v95, null, 0, v95, vcc_lo
	v_lshrrev_b32_e32 v105, v106, v105
; %bb.4089:                             ;   in Loop: Header=BB4_3733 Depth=3
	s_andn2_saveexec_b32 s16, s16
; %bb.4090:                             ;   in Loop: Header=BB4_3733 Depth=3
	v_bfe_u32 v95, v105, 23, 1
; %bb.4091:                             ;   in Loop: Header=BB4_3733 Depth=3
	s_or_b32 exec_lo, exec_lo, s16
	v_lshrrev_b32_e32 v105, 21, v105
	v_min_i32_e32 v106, 31, v95
	v_cmp_gt_i32_e32 vcc_lo, 32, v95
	v_and_b32_sdwa v104, v104, v116 dst_sel:DWORD dst_unused:UNUSED_PAD src0_sel:BYTE_3 src1_sel:DWORD
	v_lshlrev_b32_e32 v106, 2, v106
	v_cndmask_b32_e32 v105, 3, v105, vcc_lo
	v_and_b32_e32 v106, 0xfc, v106
	v_and_b32_e32 v107, 3, v105
	v_or_b32_e32 v95, v95, v105
	v_or3_b32 v104, v104, v106, v107
	v_cmp_ne_u32_e32 vcc_lo, 0, v95
	v_lshlrev_b32_e32 v104, 8, v104
	v_cndmask_b32_e32 v95, 0, v104, vcc_lo
.LBB4_4092:                             ;   in Loop: Header=BB4_3733 Depth=3
	s_or_b32 exec_lo, exec_lo, s22
.LBB4_4093:                             ;   in Loop: Header=BB4_3733 Depth=3
	s_or_b32 exec_lo, exec_lo, s19
	v_and_b32_sdwa v105, v12, v119 dst_sel:DWORD dst_unused:UNUSED_PAD src0_sel:WORD_1 src1_sel:DWORD
	s_mov_b32 s16, 0
	s_mov_b32 s19, exec_lo
	v_cmpx_lt_i16_e32 0x7f, v105
	s_xor_b32 s19, exec_lo, s19
	s_cbranch_execz .LBB4_4443
; %bb.4094:                             ;   in Loop: Header=BB4_3733 Depth=3
	s_mov_b32 s16, -1
	s_mov_b32 s22, exec_lo
	v_cmpx_eq_u16_e32 0x80, v105
; %bb.4095:                             ;   in Loop: Header=BB4_3733 Depth=3
	s_xor_b32 s16, exec_lo, -1
; %bb.4096:                             ;   in Loop: Header=BB4_3733 Depth=3
	s_or_b32 exec_lo, exec_lo, s22
	s_and_b32 s16, s16, exec_lo
                                        ; implicit-def: $vgpr105
	s_or_saveexec_b32 s19, s19
	v_mov_b32_e32 v104, 0x7f800001
	s_xor_b32 exec_lo, exec_lo, s19
	s_cbranch_execnz .LBB4_4444
.LBB4_4097:                             ;   in Loop: Header=BB4_3733 Depth=3
	s_or_b32 exec_lo, exec_lo, s19
	s_and_saveexec_b32 s19, s16
	s_cbranch_execz .LBB4_4099
.LBB4_4098:                             ;   in Loop: Header=BB4_3733 Depth=3
	v_bfe_u32 v104, v12, 16, 2
	v_bfe_u32 v107, v12, 18, 5
	v_lshlrev_b32_e32 v108, 8, v12
	v_ffbh_u32_e32 v105, v104
	v_cmp_eq_u32_e32 vcc_lo, 0, v107
	v_min_u32_e32 v105, 32, v105
	v_subrev_nc_u32_e32 v106, 29, v105
	v_sub_nc_u32_e32 v105, 30, v105
	v_lshlrev_b32_sdwa v106, v106, v12 dst_sel:DWORD dst_unused:UNUSED_PAD src0_sel:DWORD src1_sel:WORD_1
	v_cndmask_b32_e32 v105, v107, v105, vcc_lo
	v_and_b32_e32 v106, 3, v106
	v_lshl_add_u32 v105, v105, 23, 0x37800000
	v_cndmask_b32_e32 v104, v104, v106, vcc_lo
	v_and_b32_e32 v106, 0x80000000, v108
	v_lshlrev_b32_e32 v104, 21, v104
	v_or3_b32 v104, v106, v105, v104
.LBB4_4099:                             ;   in Loop: Header=BB4_3733 Depth=3
	s_or_b32 exec_lo, exec_lo, s19
	v_and_b32_sdwa v106, v8, v119 dst_sel:DWORD dst_unused:UNUSED_PAD src0_sel:WORD_1 src1_sel:DWORD
	s_mov_b32 s16, 0
	s_mov_b32 s19, exec_lo
	v_cmpx_lt_i16_e32 0x7f, v106
	s_xor_b32 s19, exec_lo, s19
	s_cbranch_execz .LBB4_4445
; %bb.4100:                             ;   in Loop: Header=BB4_3733 Depth=3
	s_mov_b32 s16, -1
	s_mov_b32 s22, exec_lo
	v_cmpx_eq_u16_e32 0x80, v106
; %bb.4101:                             ;   in Loop: Header=BB4_3733 Depth=3
	s_xor_b32 s16, exec_lo, -1
; %bb.4102:                             ;   in Loop: Header=BB4_3733 Depth=3
	s_or_b32 exec_lo, exec_lo, s22
	s_and_b32 s16, s16, exec_lo
                                        ; implicit-def: $vgpr106
	s_or_saveexec_b32 s19, s19
	v_mov_b32_e32 v105, 0x7f800001
	s_xor_b32 exec_lo, exec_lo, s19
	s_cbranch_execnz .LBB4_4446
.LBB4_4103:                             ;   in Loop: Header=BB4_3733 Depth=3
	s_or_b32 exec_lo, exec_lo, s19
	s_and_saveexec_b32 s19, s16
	s_cbranch_execz .LBB4_4105
.LBB4_4104:                             ;   in Loop: Header=BB4_3733 Depth=3
	v_bfe_u32 v105, v8, 16, 2
	v_bfe_u32 v108, v8, 18, 5
	v_lshlrev_b32_e32 v109, 8, v8
	v_ffbh_u32_e32 v106, v105
	v_cmp_eq_u32_e32 vcc_lo, 0, v108
	v_min_u32_e32 v106, 32, v106
	v_subrev_nc_u32_e32 v107, 29, v106
	v_sub_nc_u32_e32 v106, 30, v106
	v_lshlrev_b32_sdwa v107, v107, v8 dst_sel:DWORD dst_unused:UNUSED_PAD src0_sel:DWORD src1_sel:WORD_1
	v_cndmask_b32_e32 v106, v108, v106, vcc_lo
	v_and_b32_e32 v107, 3, v107
	v_lshl_add_u32 v106, v106, 23, 0x37800000
	v_cndmask_b32_e32 v105, v105, v107, vcc_lo
	v_and_b32_e32 v107, 0x80000000, v109
	v_lshlrev_b32_e32 v105, 21, v105
	v_or3_b32 v105, v107, v106, v105
.LBB4_4105:                             ;   in Loop: Header=BB4_3733 Depth=3
	s_or_b32 exec_lo, exec_lo, s19
	v_mul_f32_e32 v105, v104, v105
	v_and_b32_e32 v104, 0x7f800000, v105
	v_cmp_ne_u32_e32 vcc_lo, 0x7f800000, v104
	v_mov_b32_e32 v104, 0x80
	s_and_saveexec_b32 s19, vcc_lo
	s_cbranch_execz .LBB4_4113
; %bb.4106:                             ;   in Loop: Header=BB4_3733 Depth=3
	v_mov_b32_e32 v104, 0
	s_mov_b32 s22, exec_lo
	v_cmpx_ne_u32_e32 0, v105
	s_cbranch_execz .LBB4_4112
; %bb.4107:                             ;   in Loop: Header=BB4_3733 Depth=3
	v_bfe_u32 v104, v105, 23, 8
	v_and_b32_e32 v106, 0x7fffff, v105
	v_sub_nc_u32_e32 v107, 0x70, v104
	v_cmp_gt_u32_e32 vcc_lo, 0x71, v104
	v_or_b32_e32 v108, 0x800000, v106
	v_cndmask_b32_e32 v107, 0, v107, vcc_lo
	v_cmp_eq_u32_e32 vcc_lo, 0, v104
	v_add_nc_u32_e32 v104, 0xffffff91, v104
	v_cndmask_b32_e64 v107, v107, 0x6f, vcc_lo
	v_cndmask_b32_e32 v106, v108, v106, vcc_lo
	v_cndmask_b32_e64 v104, v104, 0xffffff92, vcc_lo
	v_lshl_add_u32 v108, 0x200000, v107, -1
	v_lshrrev_b32_e32 v109, v107, v106
	v_lshlrev_b32_e64 v111, v107, 0x100000
	v_add_nc_u32_e32 v107, v107, v104
	v_and_b32_e32 v106, v108, v106
	v_bfe_u32 v110, v109, 21, 1
	v_cmp_eq_u32_e64 s16, v106, v111
	v_add_nc_u32_e32 v108, -1, v110
	v_cndmask_b32_e64 v106, 0, v108, s16
	v_lshrrev_b32_e32 v108, 23, v109
	s_mov_b32 s16, exec_lo
	v_add_nc_u32_e32 v106, v106, v109
	v_xor_b32_e32 v108, 1, v108
	v_and_b32_e32 v104, 0x1fffff, v106
	v_add_nc_u32_e32 v106, v104, v109
                                        ; implicit-def: $vgpr104
	v_cmpx_ne_u32_e64 v107, v108
	s_xor_b32 s16, exec_lo, s16
; %bb.4108:                             ;   in Loop: Header=BB4_3733 Depth=3
	v_cmp_lt_u32_e32 vcc_lo, 0xffffff, v106
	v_sub_nc_u32_e32 v104, v107, v108
	v_cndmask_b32_e64 v107, 0, 1, vcc_lo
	v_add_co_ci_u32_e64 v104, null, 0, v104, vcc_lo
	v_lshrrev_b32_e32 v106, v107, v106
; %bb.4109:                             ;   in Loop: Header=BB4_3733 Depth=3
	s_andn2_saveexec_b32 s16, s16
; %bb.4110:                             ;   in Loop: Header=BB4_3733 Depth=3
	v_bfe_u32 v104, v106, 23, 1
; %bb.4111:                             ;   in Loop: Header=BB4_3733 Depth=3
	s_or_b32 exec_lo, exec_lo, s16
	v_lshrrev_b32_e32 v106, 21, v106
	v_min_i32_e32 v107, 31, v104
	v_cmp_gt_i32_e32 vcc_lo, 32, v104
	v_and_b32_sdwa v105, v105, v116 dst_sel:DWORD dst_unused:UNUSED_PAD src0_sel:BYTE_3 src1_sel:DWORD
	v_lshlrev_b32_e32 v107, 2, v107
	v_cndmask_b32_e32 v106, 3, v106, vcc_lo
	v_and_b32_e32 v107, 0xfc, v107
	v_and_b32_e32 v108, 3, v106
	v_or_b32_e32 v104, v104, v106
	v_or3_b32 v105, v107, v105, v108
	v_cmp_ne_u32_e32 vcc_lo, 0, v104
	v_cndmask_b32_e32 v104, 0, v105, vcc_lo
.LBB4_4112:                             ;   in Loop: Header=BB4_3733 Depth=3
	s_or_b32 exec_lo, exec_lo, s22
.LBB4_4113:                             ;   in Loop: Header=BB4_3733 Depth=3
	s_or_b32 exec_lo, exec_lo, s19
	v_cmp_gt_i16_sdwa s19, v12, v115 src0_sel:BYTE_3 src1_sel:DWORD
	s_mov_b32 s16, 0
	s_and_saveexec_b32 s22, s19
	s_xor_b32 s19, exec_lo, s22
	s_cbranch_execz .LBB4_4447
; %bb.4114:                             ;   in Loop: Header=BB4_3733 Depth=3
	v_cmp_eq_u16_sdwa s23, v12, v116 src0_sel:BYTE_3 src1_sel:DWORD
	s_mov_b32 s16, -1
	s_and_saveexec_b32 s22, s23
; %bb.4115:                             ;   in Loop: Header=BB4_3733 Depth=3
	s_xor_b32 s16, exec_lo, -1
; %bb.4116:                             ;   in Loop: Header=BB4_3733 Depth=3
	s_or_b32 exec_lo, exec_lo, s22
	s_and_b32 s16, s16, exec_lo
	s_or_saveexec_b32 s19, s19
	v_mov_b32_e32 v105, 0x7f800001
	s_xor_b32 exec_lo, exec_lo, s19
	s_cbranch_execnz .LBB4_4448
.LBB4_4117:                             ;   in Loop: Header=BB4_3733 Depth=3
	s_or_b32 exec_lo, exec_lo, s19
	s_and_saveexec_b32 s19, s16
	s_cbranch_execz .LBB4_4119
.LBB4_4118:                             ;   in Loop: Header=BB4_3733 Depth=3
	v_bfe_u32 v105, v12, 24, 2
	v_bfe_u32 v108, v12, 26, 5
	v_ffbh_u32_e32 v106, v105
	v_cmp_eq_u32_e32 vcc_lo, 0, v108
	v_min_u32_e32 v106, 32, v106
	v_subrev_nc_u32_e32 v107, 29, v106
	v_sub_nc_u32_e32 v106, 30, v106
	v_lshlrev_b32_sdwa v107, v107, v12 dst_sel:DWORD dst_unused:UNUSED_PAD src0_sel:DWORD src1_sel:BYTE_3
	v_cndmask_b32_e32 v106, v108, v106, vcc_lo
	v_and_b32_e32 v12, 0x80000000, v12
	v_and_b32_e32 v107, 3, v107
	v_lshl_add_u32 v106, v106, 23, 0x37800000
	v_cndmask_b32_e32 v105, v105, v107, vcc_lo
	v_lshlrev_b32_e32 v105, 21, v105
	v_or3_b32 v105, v12, v106, v105
.LBB4_4119:                             ;   in Loop: Header=BB4_3733 Depth=3
	s_or_b32 exec_lo, exec_lo, s19
	v_cmp_gt_i16_sdwa s19, v8, v115 src0_sel:BYTE_3 src1_sel:DWORD
	s_mov_b32 s16, 0
	s_and_saveexec_b32 s22, s19
	s_xor_b32 s19, exec_lo, s22
	s_cbranch_execz .LBB4_4449
; %bb.4120:                             ;   in Loop: Header=BB4_3733 Depth=3
	v_cmp_eq_u16_sdwa s23, v8, v116 src0_sel:BYTE_3 src1_sel:DWORD
	s_mov_b32 s16, -1
	s_and_saveexec_b32 s22, s23
; %bb.4121:                             ;   in Loop: Header=BB4_3733 Depth=3
	s_xor_b32 s16, exec_lo, -1
; %bb.4122:                             ;   in Loop: Header=BB4_3733 Depth=3
	s_or_b32 exec_lo, exec_lo, s22
	s_and_b32 s16, s16, exec_lo
	s_or_saveexec_b32 s19, s19
	v_mov_b32_e32 v12, 0x7f800001
	s_xor_b32 exec_lo, exec_lo, s19
	s_cbranch_execnz .LBB4_4450
.LBB4_4123:                             ;   in Loop: Header=BB4_3733 Depth=3
	s_or_b32 exec_lo, exec_lo, s19
	s_and_saveexec_b32 s19, s16
	s_cbranch_execz .LBB4_4125
.LBB4_4124:                             ;   in Loop: Header=BB4_3733 Depth=3
	v_bfe_u32 v12, v8, 24, 2
	v_bfe_u32 v108, v8, 26, 5
	v_ffbh_u32_e32 v106, v12
	v_cmp_eq_u32_e32 vcc_lo, 0, v108
	v_min_u32_e32 v106, 32, v106
	v_subrev_nc_u32_e32 v107, 29, v106
	v_sub_nc_u32_e32 v106, 30, v106
	v_lshlrev_b32_sdwa v107, v107, v8 dst_sel:DWORD dst_unused:UNUSED_PAD src0_sel:DWORD src1_sel:BYTE_3
	v_cndmask_b32_e32 v106, v108, v106, vcc_lo
	v_and_b32_e32 v8, 0x80000000, v8
	v_and_b32_e32 v107, 3, v107
	v_lshl_add_u32 v106, v106, 23, 0x37800000
	v_cndmask_b32_e32 v12, v12, v107, vcc_lo
	v_lshlrev_b32_e32 v12, 21, v12
	v_or3_b32 v12, v8, v106, v12
.LBB4_4125:                             ;   in Loop: Header=BB4_3733 Depth=3
	s_or_b32 exec_lo, exec_lo, s19
	v_mul_f32_e32 v12, v105, v12
	v_and_b32_e32 v8, 0x7f800000, v12
	v_cmp_ne_u32_e32 vcc_lo, 0x7f800000, v8
	v_mov_b32_e32 v8, 0x8000
	s_and_saveexec_b32 s19, vcc_lo
	s_cbranch_execz .LBB4_4133
; %bb.4126:                             ;   in Loop: Header=BB4_3733 Depth=3
	v_mov_b32_e32 v8, 0
	s_mov_b32 s22, exec_lo
	v_cmpx_ne_u32_e32 0, v12
	s_cbranch_execz .LBB4_4132
; %bb.4127:                             ;   in Loop: Header=BB4_3733 Depth=3
	v_bfe_u32 v8, v12, 23, 8
	v_and_b32_e32 v105, 0x7fffff, v12
	v_sub_nc_u32_e32 v106, 0x70, v8
	v_cmp_gt_u32_e32 vcc_lo, 0x71, v8
	v_or_b32_e32 v107, 0x800000, v105
	v_cndmask_b32_e32 v106, 0, v106, vcc_lo
	v_cmp_eq_u32_e32 vcc_lo, 0, v8
	v_add_nc_u32_e32 v8, 0xffffff91, v8
	v_cndmask_b32_e64 v106, v106, 0x6f, vcc_lo
	v_cndmask_b32_e32 v105, v107, v105, vcc_lo
	v_cndmask_b32_e64 v8, v8, 0xffffff92, vcc_lo
	v_lshl_add_u32 v107, 0x200000, v106, -1
	v_lshrrev_b32_e32 v108, v106, v105
	v_lshlrev_b32_e64 v110, v106, 0x100000
	v_add_nc_u32_e32 v106, v106, v8
	v_and_b32_e32 v105, v107, v105
	v_bfe_u32 v109, v108, 21, 1
	v_cmp_eq_u32_e64 s16, v105, v110
	v_add_nc_u32_e32 v107, -1, v109
	v_cndmask_b32_e64 v105, 0, v107, s16
	v_lshrrev_b32_e32 v107, 23, v108
	s_mov_b32 s16, exec_lo
	v_add_nc_u32_e32 v105, v105, v108
	v_xor_b32_e32 v107, 1, v107
	v_and_b32_e32 v8, 0x1fffff, v105
	v_add_nc_u32_e32 v105, v8, v108
                                        ; implicit-def: $vgpr8
	v_cmpx_ne_u32_e64 v106, v107
	s_xor_b32 s16, exec_lo, s16
; %bb.4128:                             ;   in Loop: Header=BB4_3733 Depth=3
	v_cmp_lt_u32_e32 vcc_lo, 0xffffff, v105
	v_sub_nc_u32_e32 v8, v106, v107
	v_cndmask_b32_e64 v106, 0, 1, vcc_lo
	v_add_co_ci_u32_e64 v8, null, 0, v8, vcc_lo
	v_lshrrev_b32_e32 v105, v106, v105
; %bb.4129:                             ;   in Loop: Header=BB4_3733 Depth=3
	s_andn2_saveexec_b32 s16, s16
; %bb.4130:                             ;   in Loop: Header=BB4_3733 Depth=3
	v_bfe_u32 v8, v105, 23, 1
; %bb.4131:                             ;   in Loop: Header=BB4_3733 Depth=3
	s_or_b32 exec_lo, exec_lo, s16
	v_lshrrev_b32_e32 v105, 21, v105
	v_min_i32_e32 v106, 31, v8
	v_cmp_gt_i32_e32 vcc_lo, 32, v8
	v_and_b32_sdwa v12, v12, v116 dst_sel:DWORD dst_unused:UNUSED_PAD src0_sel:BYTE_3 src1_sel:DWORD
	v_lshlrev_b32_e32 v106, 2, v106
	v_cndmask_b32_e32 v105, 3, v105, vcc_lo
	v_and_b32_e32 v106, 0xfc, v106
	v_and_b32_e32 v107, 3, v105
	v_or_b32_e32 v8, v8, v105
	v_or3_b32 v12, v12, v106, v107
	v_cmp_ne_u32_e32 vcc_lo, 0, v8
	v_lshlrev_b32_e32 v12, 8, v12
	v_cndmask_b32_e32 v8, 0, v12, vcc_lo
.LBB4_4132:                             ;   in Loop: Header=BB4_3733 Depth=3
	s_or_b32 exec_lo, exec_lo, s22
.LBB4_4133:                             ;   in Loop: Header=BB4_3733 Depth=3
	s_or_b32 exec_lo, exec_lo, s19
	v_cmp_gt_i16_sdwa s19, v13, v115 src0_sel:BYTE_0 src1_sel:DWORD
	s_mov_b32 s16, 0
	s_and_saveexec_b32 s22, s19
	s_xor_b32 s19, exec_lo, s22
	s_cbranch_execz .LBB4_4451
; %bb.4134:                             ;   in Loop: Header=BB4_3733 Depth=3
	v_cmp_eq_u16_sdwa s23, v13, v116 src0_sel:BYTE_0 src1_sel:DWORD
	s_mov_b32 s16, -1
	s_and_saveexec_b32 s22, s23
; %bb.4135:                             ;   in Loop: Header=BB4_3733 Depth=3
	s_xor_b32 s16, exec_lo, -1
; %bb.4136:                             ;   in Loop: Header=BB4_3733 Depth=3
	s_or_b32 exec_lo, exec_lo, s22
	s_and_b32 s16, s16, exec_lo
	s_or_saveexec_b32 s19, s19
	v_mov_b32_e32 v12, 0x7f800001
	s_xor_b32 exec_lo, exec_lo, s19
	s_cbranch_execnz .LBB4_4452
.LBB4_4137:                             ;   in Loop: Header=BB4_3733 Depth=3
	s_or_b32 exec_lo, exec_lo, s19
	s_and_saveexec_b32 s19, s16
	s_cbranch_execz .LBB4_4139
.LBB4_4138:                             ;   in Loop: Header=BB4_3733 Depth=3
	v_and_b32_e32 v12, 3, v13
	v_bfe_u32 v107, v13, 2, 5
	v_lshlrev_b32_e32 v108, 24, v13
	v_ffbh_u32_e32 v105, v12
	v_cmp_eq_u32_e32 vcc_lo, 0, v107
	v_min_u32_e32 v105, 32, v105
	v_subrev_nc_u32_e32 v106, 29, v105
	v_sub_nc_u32_e32 v105, 30, v105
	v_lshlrev_b32_e32 v106, v106, v13
	v_cndmask_b32_e32 v105, v107, v105, vcc_lo
	v_and_b32_e32 v106, 3, v106
	v_lshl_add_u32 v105, v105, 23, 0x37800000
	v_cndmask_b32_e32 v12, v12, v106, vcc_lo
	v_and_b32_e32 v106, 0x80000000, v108
	v_lshlrev_b32_e32 v12, 21, v12
	v_or3_b32 v12, v106, v105, v12
.LBB4_4139:                             ;   in Loop: Header=BB4_3733 Depth=3
	s_or_b32 exec_lo, exec_lo, s19
	v_cmp_gt_i16_sdwa s19, v9, v115 src0_sel:BYTE_0 src1_sel:DWORD
	s_mov_b32 s16, 0
	s_and_saveexec_b32 s22, s19
	s_xor_b32 s19, exec_lo, s22
	s_cbranch_execz .LBB4_4453
; %bb.4140:                             ;   in Loop: Header=BB4_3733 Depth=3
	v_cmp_eq_u16_sdwa s23, v9, v116 src0_sel:BYTE_0 src1_sel:DWORD
	s_mov_b32 s16, -1
	s_and_saveexec_b32 s22, s23
; %bb.4141:                             ;   in Loop: Header=BB4_3733 Depth=3
	s_xor_b32 s16, exec_lo, -1
; %bb.4142:                             ;   in Loop: Header=BB4_3733 Depth=3
	s_or_b32 exec_lo, exec_lo, s22
	s_and_b32 s16, s16, exec_lo
	s_or_saveexec_b32 s19, s19
	v_mov_b32_e32 v105, 0x7f800001
	s_xor_b32 exec_lo, exec_lo, s19
	s_cbranch_execnz .LBB4_4454
.LBB4_4143:                             ;   in Loop: Header=BB4_3733 Depth=3
	s_or_b32 exec_lo, exec_lo, s19
	s_and_saveexec_b32 s19, s16
	s_cbranch_execz .LBB4_4145
.LBB4_4144:                             ;   in Loop: Header=BB4_3733 Depth=3
	v_and_b32_e32 v105, 3, v9
	v_bfe_u32 v108, v9, 2, 5
	v_lshlrev_b32_e32 v109, 24, v9
	v_ffbh_u32_e32 v106, v105
	v_cmp_eq_u32_e32 vcc_lo, 0, v108
	v_min_u32_e32 v106, 32, v106
	v_subrev_nc_u32_e32 v107, 29, v106
	v_sub_nc_u32_e32 v106, 30, v106
	v_lshlrev_b32_e32 v107, v107, v9
	v_cndmask_b32_e32 v106, v108, v106, vcc_lo
	v_and_b32_e32 v107, 3, v107
	v_lshl_add_u32 v106, v106, 23, 0x37800000
	v_cndmask_b32_e32 v105, v105, v107, vcc_lo
	v_and_b32_e32 v107, 0x80000000, v109
	v_lshlrev_b32_e32 v105, 21, v105
	v_or3_b32 v105, v107, v106, v105
.LBB4_4145:                             ;   in Loop: Header=BB4_3733 Depth=3
	s_or_b32 exec_lo, exec_lo, s19
	v_mul_f32_e32 v105, v12, v105
	v_and_b32_e32 v12, 0x7f800000, v105
	v_cmp_ne_u32_e32 vcc_lo, 0x7f800000, v12
	v_mov_b32_e32 v12, 0x80
	s_and_saveexec_b32 s19, vcc_lo
	s_cbranch_execz .LBB4_4153
; %bb.4146:                             ;   in Loop: Header=BB4_3733 Depth=3
	v_mov_b32_e32 v12, 0
	s_mov_b32 s22, exec_lo
	v_cmpx_ne_u32_e32 0, v105
	s_cbranch_execz .LBB4_4152
; %bb.4147:                             ;   in Loop: Header=BB4_3733 Depth=3
	v_bfe_u32 v12, v105, 23, 8
	v_and_b32_e32 v106, 0x7fffff, v105
	v_sub_nc_u32_e32 v107, 0x70, v12
	v_cmp_gt_u32_e32 vcc_lo, 0x71, v12
	v_or_b32_e32 v108, 0x800000, v106
	v_cndmask_b32_e32 v107, 0, v107, vcc_lo
	v_cmp_eq_u32_e32 vcc_lo, 0, v12
	v_add_nc_u32_e32 v12, 0xffffff91, v12
	v_cndmask_b32_e64 v107, v107, 0x6f, vcc_lo
	v_cndmask_b32_e32 v106, v108, v106, vcc_lo
	v_cndmask_b32_e64 v12, v12, 0xffffff92, vcc_lo
	v_lshl_add_u32 v108, 0x200000, v107, -1
	v_lshrrev_b32_e32 v109, v107, v106
	v_lshlrev_b32_e64 v111, v107, 0x100000
	v_add_nc_u32_e32 v107, v107, v12
	v_and_b32_e32 v106, v108, v106
	v_bfe_u32 v110, v109, 21, 1
	v_cmp_eq_u32_e64 s16, v106, v111
	v_add_nc_u32_e32 v108, -1, v110
	v_cndmask_b32_e64 v106, 0, v108, s16
	v_lshrrev_b32_e32 v108, 23, v109
	s_mov_b32 s16, exec_lo
	v_add_nc_u32_e32 v106, v106, v109
	v_xor_b32_e32 v108, 1, v108
	v_and_b32_e32 v12, 0x1fffff, v106
	v_add_nc_u32_e32 v106, v12, v109
                                        ; implicit-def: $vgpr12
	v_cmpx_ne_u32_e64 v107, v108
	s_xor_b32 s16, exec_lo, s16
; %bb.4148:                             ;   in Loop: Header=BB4_3733 Depth=3
	v_cmp_lt_u32_e32 vcc_lo, 0xffffff, v106
	v_sub_nc_u32_e32 v12, v107, v108
	v_cndmask_b32_e64 v107, 0, 1, vcc_lo
	v_add_co_ci_u32_e64 v12, null, 0, v12, vcc_lo
	v_lshrrev_b32_e32 v106, v107, v106
; %bb.4149:                             ;   in Loop: Header=BB4_3733 Depth=3
	s_andn2_saveexec_b32 s16, s16
; %bb.4150:                             ;   in Loop: Header=BB4_3733 Depth=3
	v_bfe_u32 v12, v106, 23, 1
; %bb.4151:                             ;   in Loop: Header=BB4_3733 Depth=3
	s_or_b32 exec_lo, exec_lo, s16
	v_lshrrev_b32_e32 v106, 21, v106
	v_min_i32_e32 v107, 31, v12
	v_cmp_gt_i32_e32 vcc_lo, 32, v12
	v_and_b32_sdwa v105, v105, v116 dst_sel:DWORD dst_unused:UNUSED_PAD src0_sel:BYTE_3 src1_sel:DWORD
	v_lshlrev_b32_e32 v107, 2, v107
	v_cndmask_b32_e32 v106, 3, v106, vcc_lo
	v_and_b32_e32 v107, 0xfc, v107
	v_and_b32_e32 v108, 3, v106
	v_or_b32_e32 v12, v12, v106
	v_or3_b32 v105, v107, v105, v108
	v_cmp_ne_u32_e32 vcc_lo, 0, v12
	v_cndmask_b32_e32 v12, 0, v105, vcc_lo
.LBB4_4152:                             ;   in Loop: Header=BB4_3733 Depth=3
	s_or_b32 exec_lo, exec_lo, s22
.LBB4_4153:                             ;   in Loop: Header=BB4_3733 Depth=3
	s_or_b32 exec_lo, exec_lo, s19
	v_cmp_gt_i16_sdwa s19, v13, v115 src0_sel:BYTE_1 src1_sel:DWORD
	s_mov_b32 s16, 0
	s_and_saveexec_b32 s22, s19
	s_xor_b32 s19, exec_lo, s22
	s_cbranch_execz .LBB4_4455
; %bb.4154:                             ;   in Loop: Header=BB4_3733 Depth=3
	v_cmp_eq_u16_sdwa s23, v13, v116 src0_sel:BYTE_1 src1_sel:DWORD
	s_mov_b32 s16, -1
	s_and_saveexec_b32 s22, s23
; %bb.4155:                             ;   in Loop: Header=BB4_3733 Depth=3
	s_xor_b32 s16, exec_lo, -1
; %bb.4156:                             ;   in Loop: Header=BB4_3733 Depth=3
	s_or_b32 exec_lo, exec_lo, s22
	s_and_b32 s16, s16, exec_lo
	s_or_saveexec_b32 s19, s19
	v_mov_b32_e32 v105, 0x7f800001
	s_xor_b32 exec_lo, exec_lo, s19
	s_cbranch_execnz .LBB4_4456
.LBB4_4157:                             ;   in Loop: Header=BB4_3733 Depth=3
	s_or_b32 exec_lo, exec_lo, s19
	s_and_saveexec_b32 s19, s16
	s_cbranch_execz .LBB4_4159
.LBB4_4158:                             ;   in Loop: Header=BB4_3733 Depth=3
	v_and_b32_sdwa v105, v117, v13 dst_sel:DWORD dst_unused:UNUSED_PAD src0_sel:DWORD src1_sel:BYTE_1
	v_and_b32_e32 v106, 3, v105
	v_bfe_u32 v109, v105, 2, 5
	v_ffbh_u32_e32 v107, v106
	v_cmp_eq_u32_e32 vcc_lo, 0, v109
	v_min_u32_e32 v107, 32, v107
	v_subrev_nc_u32_e32 v108, 29, v107
	v_sub_nc_u32_e32 v107, 30, v107
	v_lshlrev_b32_e32 v105, v108, v105
	v_lshlrev_b32_sdwa v108, v118, v13 dst_sel:DWORD dst_unused:UNUSED_PAD src0_sel:DWORD src1_sel:BYTE_1
	v_cndmask_b32_e32 v107, v109, v107, vcc_lo
	v_and_b32_e32 v105, 3, v105
	v_lshl_add_u32 v107, v107, 23, 0x37800000
	v_cndmask_b32_e32 v105, v106, v105, vcc_lo
	v_and_b32_e32 v106, 0x80000000, v108
	v_lshlrev_b32_e32 v105, 21, v105
	v_or3_b32 v105, v106, v107, v105
.LBB4_4159:                             ;   in Loop: Header=BB4_3733 Depth=3
	s_or_b32 exec_lo, exec_lo, s19
	v_cmp_gt_i16_sdwa s19, v9, v115 src0_sel:BYTE_1 src1_sel:DWORD
	s_mov_b32 s16, 0
	s_and_saveexec_b32 s22, s19
	s_xor_b32 s19, exec_lo, s22
	s_cbranch_execz .LBB4_4457
; %bb.4160:                             ;   in Loop: Header=BB4_3733 Depth=3
	v_cmp_eq_u16_sdwa s23, v9, v116 src0_sel:BYTE_1 src1_sel:DWORD
	s_mov_b32 s16, -1
	s_and_saveexec_b32 s22, s23
; %bb.4161:                             ;   in Loop: Header=BB4_3733 Depth=3
	s_xor_b32 s16, exec_lo, -1
; %bb.4162:                             ;   in Loop: Header=BB4_3733 Depth=3
	s_or_b32 exec_lo, exec_lo, s22
	s_and_b32 s16, s16, exec_lo
	s_or_saveexec_b32 s19, s19
	v_mov_b32_e32 v106, 0x7f800001
	s_xor_b32 exec_lo, exec_lo, s19
	s_cbranch_execnz .LBB4_4458
.LBB4_4163:                             ;   in Loop: Header=BB4_3733 Depth=3
	s_or_b32 exec_lo, exec_lo, s19
	s_and_saveexec_b32 s19, s16
	s_cbranch_execz .LBB4_4165
.LBB4_4164:                             ;   in Loop: Header=BB4_3733 Depth=3
	v_and_b32_sdwa v106, v117, v9 dst_sel:DWORD dst_unused:UNUSED_PAD src0_sel:DWORD src1_sel:BYTE_1
	v_and_b32_e32 v107, 3, v106
	v_bfe_u32 v110, v106, 2, 5
	v_ffbh_u32_e32 v108, v107
	v_cmp_eq_u32_e32 vcc_lo, 0, v110
	v_min_u32_e32 v108, 32, v108
	v_subrev_nc_u32_e32 v109, 29, v108
	v_sub_nc_u32_e32 v108, 30, v108
	v_lshlrev_b32_e32 v106, v109, v106
	v_lshlrev_b32_sdwa v109, v118, v9 dst_sel:DWORD dst_unused:UNUSED_PAD src0_sel:DWORD src1_sel:BYTE_1
	v_cndmask_b32_e32 v108, v110, v108, vcc_lo
	v_and_b32_e32 v106, 3, v106
	v_lshl_add_u32 v108, v108, 23, 0x37800000
	v_cndmask_b32_e32 v106, v107, v106, vcc_lo
	v_and_b32_e32 v107, 0x80000000, v109
	v_lshlrev_b32_e32 v106, 21, v106
	v_or3_b32 v106, v107, v108, v106
.LBB4_4165:                             ;   in Loop: Header=BB4_3733 Depth=3
	s_or_b32 exec_lo, exec_lo, s19
	v_mul_f32_e32 v106, v105, v106
	v_and_b32_e32 v105, 0x7f800000, v106
	v_cmp_ne_u32_e32 vcc_lo, 0x7f800000, v105
	v_mov_b32_e32 v105, 0x8000
	s_and_saveexec_b32 s19, vcc_lo
	s_cbranch_execz .LBB4_4173
; %bb.4166:                             ;   in Loop: Header=BB4_3733 Depth=3
	v_mov_b32_e32 v105, 0
	s_mov_b32 s22, exec_lo
	v_cmpx_ne_u32_e32 0, v106
	s_cbranch_execz .LBB4_4172
; %bb.4167:                             ;   in Loop: Header=BB4_3733 Depth=3
	v_bfe_u32 v105, v106, 23, 8
	v_and_b32_e32 v107, 0x7fffff, v106
	v_sub_nc_u32_e32 v108, 0x70, v105
	v_cmp_gt_u32_e32 vcc_lo, 0x71, v105
	v_or_b32_e32 v109, 0x800000, v107
	v_cndmask_b32_e32 v108, 0, v108, vcc_lo
	v_cmp_eq_u32_e32 vcc_lo, 0, v105
	v_add_nc_u32_e32 v105, 0xffffff91, v105
	v_cndmask_b32_e64 v108, v108, 0x6f, vcc_lo
	v_cndmask_b32_e32 v107, v109, v107, vcc_lo
	v_cndmask_b32_e64 v105, v105, 0xffffff92, vcc_lo
	v_lshl_add_u32 v109, 0x200000, v108, -1
	v_lshrrev_b32_e32 v110, v108, v107
	v_lshlrev_b32_e64 v120, v108, 0x100000
	v_add_nc_u32_e32 v108, v108, v105
	v_and_b32_e32 v107, v109, v107
	v_bfe_u32 v111, v110, 21, 1
	v_cmp_eq_u32_e64 s16, v107, v120
	v_add_nc_u32_e32 v109, -1, v111
	v_cndmask_b32_e64 v107, 0, v109, s16
	v_lshrrev_b32_e32 v109, 23, v110
	s_mov_b32 s16, exec_lo
	v_add_nc_u32_e32 v107, v107, v110
	v_xor_b32_e32 v109, 1, v109
	v_and_b32_e32 v105, 0x1fffff, v107
	v_add_nc_u32_e32 v107, v105, v110
                                        ; implicit-def: $vgpr105
	v_cmpx_ne_u32_e64 v108, v109
	s_xor_b32 s16, exec_lo, s16
; %bb.4168:                             ;   in Loop: Header=BB4_3733 Depth=3
	v_cmp_lt_u32_e32 vcc_lo, 0xffffff, v107
	v_sub_nc_u32_e32 v105, v108, v109
	v_cndmask_b32_e64 v108, 0, 1, vcc_lo
	v_add_co_ci_u32_e64 v105, null, 0, v105, vcc_lo
	v_lshrrev_b32_e32 v107, v108, v107
; %bb.4169:                             ;   in Loop: Header=BB4_3733 Depth=3
	s_andn2_saveexec_b32 s16, s16
; %bb.4170:                             ;   in Loop: Header=BB4_3733 Depth=3
	v_bfe_u32 v105, v107, 23, 1
; %bb.4171:                             ;   in Loop: Header=BB4_3733 Depth=3
	s_or_b32 exec_lo, exec_lo, s16
	v_lshrrev_b32_e32 v107, 21, v107
	v_min_i32_e32 v108, 31, v105
	v_cmp_gt_i32_e32 vcc_lo, 32, v105
	v_and_b32_sdwa v106, v106, v116 dst_sel:DWORD dst_unused:UNUSED_PAD src0_sel:BYTE_3 src1_sel:DWORD
	v_lshlrev_b32_e32 v108, 2, v108
	v_cndmask_b32_e32 v107, 3, v107, vcc_lo
	v_and_b32_e32 v108, 0xfc, v108
	v_and_b32_e32 v109, 3, v107
	v_or_b32_e32 v105, v105, v107
	v_or3_b32 v106, v106, v108, v109
	v_cmp_ne_u32_e32 vcc_lo, 0, v105
	v_lshlrev_b32_e32 v106, 8, v106
	v_cndmask_b32_e32 v105, 0, v106, vcc_lo
.LBB4_4172:                             ;   in Loop: Header=BB4_3733 Depth=3
	s_or_b32 exec_lo, exec_lo, s22
.LBB4_4173:                             ;   in Loop: Header=BB4_3733 Depth=3
	s_or_b32 exec_lo, exec_lo, s19
	v_and_b32_sdwa v107, v13, v119 dst_sel:DWORD dst_unused:UNUSED_PAD src0_sel:WORD_1 src1_sel:DWORD
	s_mov_b32 s16, 0
	s_mov_b32 s19, exec_lo
	v_cmpx_lt_i16_e32 0x7f, v107
	s_xor_b32 s19, exec_lo, s19
	s_cbranch_execz .LBB4_4459
; %bb.4174:                             ;   in Loop: Header=BB4_3733 Depth=3
	s_mov_b32 s16, -1
	s_mov_b32 s22, exec_lo
	v_cmpx_eq_u16_e32 0x80, v107
; %bb.4175:                             ;   in Loop: Header=BB4_3733 Depth=3
	s_xor_b32 s16, exec_lo, -1
; %bb.4176:                             ;   in Loop: Header=BB4_3733 Depth=3
	s_or_b32 exec_lo, exec_lo, s22
	s_and_b32 s16, s16, exec_lo
                                        ; implicit-def: $vgpr107
	s_or_saveexec_b32 s19, s19
	v_mov_b32_e32 v106, 0x7f800001
	s_xor_b32 exec_lo, exec_lo, s19
	s_cbranch_execnz .LBB4_4460
.LBB4_4177:                             ;   in Loop: Header=BB4_3733 Depth=3
	s_or_b32 exec_lo, exec_lo, s19
	s_and_saveexec_b32 s19, s16
	s_cbranch_execz .LBB4_4179
.LBB4_4178:                             ;   in Loop: Header=BB4_3733 Depth=3
	v_bfe_u32 v106, v13, 16, 2
	v_bfe_u32 v109, v13, 18, 5
	v_lshlrev_b32_e32 v110, 8, v13
	v_ffbh_u32_e32 v107, v106
	v_cmp_eq_u32_e32 vcc_lo, 0, v109
	v_min_u32_e32 v107, 32, v107
	v_subrev_nc_u32_e32 v108, 29, v107
	v_sub_nc_u32_e32 v107, 30, v107
	v_lshlrev_b32_sdwa v108, v108, v13 dst_sel:DWORD dst_unused:UNUSED_PAD src0_sel:DWORD src1_sel:WORD_1
	v_cndmask_b32_e32 v107, v109, v107, vcc_lo
	v_and_b32_e32 v108, 3, v108
	v_lshl_add_u32 v107, v107, 23, 0x37800000
	v_cndmask_b32_e32 v106, v106, v108, vcc_lo
	v_and_b32_e32 v108, 0x80000000, v110
	v_lshlrev_b32_e32 v106, 21, v106
	v_or3_b32 v106, v108, v107, v106
.LBB4_4179:                             ;   in Loop: Header=BB4_3733 Depth=3
	s_or_b32 exec_lo, exec_lo, s19
	v_and_b32_sdwa v108, v9, v119 dst_sel:DWORD dst_unused:UNUSED_PAD src0_sel:WORD_1 src1_sel:DWORD
	s_mov_b32 s16, 0
	s_mov_b32 s19, exec_lo
	v_cmpx_lt_i16_e32 0x7f, v108
	s_xor_b32 s19, exec_lo, s19
	s_cbranch_execz .LBB4_4461
; %bb.4180:                             ;   in Loop: Header=BB4_3733 Depth=3
	s_mov_b32 s16, -1
	s_mov_b32 s22, exec_lo
	v_cmpx_eq_u16_e32 0x80, v108
; %bb.4181:                             ;   in Loop: Header=BB4_3733 Depth=3
	s_xor_b32 s16, exec_lo, -1
; %bb.4182:                             ;   in Loop: Header=BB4_3733 Depth=3
	s_or_b32 exec_lo, exec_lo, s22
	s_and_b32 s16, s16, exec_lo
                                        ; implicit-def: $vgpr108
	s_or_saveexec_b32 s19, s19
	v_mov_b32_e32 v107, 0x7f800001
	s_xor_b32 exec_lo, exec_lo, s19
	s_cbranch_execnz .LBB4_4462
.LBB4_4183:                             ;   in Loop: Header=BB4_3733 Depth=3
	s_or_b32 exec_lo, exec_lo, s19
	s_and_saveexec_b32 s19, s16
	s_cbranch_execz .LBB4_4185
.LBB4_4184:                             ;   in Loop: Header=BB4_3733 Depth=3
	v_bfe_u32 v107, v9, 16, 2
	v_bfe_u32 v110, v9, 18, 5
	v_lshlrev_b32_e32 v111, 8, v9
	v_ffbh_u32_e32 v108, v107
	v_cmp_eq_u32_e32 vcc_lo, 0, v110
	v_min_u32_e32 v108, 32, v108
	v_subrev_nc_u32_e32 v109, 29, v108
	v_sub_nc_u32_e32 v108, 30, v108
	v_lshlrev_b32_sdwa v109, v109, v9 dst_sel:DWORD dst_unused:UNUSED_PAD src0_sel:DWORD src1_sel:WORD_1
	v_cndmask_b32_e32 v108, v110, v108, vcc_lo
	v_and_b32_e32 v109, 3, v109
	v_lshl_add_u32 v108, v108, 23, 0x37800000
	v_cndmask_b32_e32 v107, v107, v109, vcc_lo
	v_and_b32_e32 v109, 0x80000000, v111
	v_lshlrev_b32_e32 v107, 21, v107
	v_or3_b32 v107, v109, v108, v107
.LBB4_4185:                             ;   in Loop: Header=BB4_3733 Depth=3
	s_or_b32 exec_lo, exec_lo, s19
	v_mul_f32_e32 v107, v106, v107
	v_and_b32_e32 v106, 0x7f800000, v107
	v_cmp_ne_u32_e32 vcc_lo, 0x7f800000, v106
	v_mov_b32_e32 v106, 0x80
	s_and_saveexec_b32 s19, vcc_lo
	s_cbranch_execz .LBB4_4193
; %bb.4186:                             ;   in Loop: Header=BB4_3733 Depth=3
	v_mov_b32_e32 v106, 0
	s_mov_b32 s22, exec_lo
	v_cmpx_ne_u32_e32 0, v107
	s_cbranch_execz .LBB4_4192
; %bb.4187:                             ;   in Loop: Header=BB4_3733 Depth=3
	v_bfe_u32 v106, v107, 23, 8
	v_and_b32_e32 v108, 0x7fffff, v107
	v_sub_nc_u32_e32 v109, 0x70, v106
	v_cmp_gt_u32_e32 vcc_lo, 0x71, v106
	v_or_b32_e32 v110, 0x800000, v108
	v_cndmask_b32_e32 v109, 0, v109, vcc_lo
	v_cmp_eq_u32_e32 vcc_lo, 0, v106
	v_add_nc_u32_e32 v106, 0xffffff91, v106
	v_cndmask_b32_e64 v109, v109, 0x6f, vcc_lo
	v_cndmask_b32_e32 v108, v110, v108, vcc_lo
	v_cndmask_b32_e64 v106, v106, 0xffffff92, vcc_lo
	v_lshl_add_u32 v110, 0x200000, v109, -1
	v_lshrrev_b32_e32 v111, v109, v108
	v_lshlrev_b32_e64 v121, v109, 0x100000
	v_add_nc_u32_e32 v109, v109, v106
	v_and_b32_e32 v108, v110, v108
	v_bfe_u32 v120, v111, 21, 1
	v_cmp_eq_u32_e64 s16, v108, v121
	v_add_nc_u32_e32 v110, -1, v120
	v_cndmask_b32_e64 v108, 0, v110, s16
	v_lshrrev_b32_e32 v110, 23, v111
	s_mov_b32 s16, exec_lo
	v_add_nc_u32_e32 v108, v108, v111
	v_xor_b32_e32 v110, 1, v110
	v_and_b32_e32 v106, 0x1fffff, v108
	v_add_nc_u32_e32 v108, v106, v111
                                        ; implicit-def: $vgpr106
	v_cmpx_ne_u32_e64 v109, v110
	s_xor_b32 s16, exec_lo, s16
; %bb.4188:                             ;   in Loop: Header=BB4_3733 Depth=3
	v_cmp_lt_u32_e32 vcc_lo, 0xffffff, v108
	v_sub_nc_u32_e32 v106, v109, v110
	v_cndmask_b32_e64 v109, 0, 1, vcc_lo
	v_add_co_ci_u32_e64 v106, null, 0, v106, vcc_lo
	v_lshrrev_b32_e32 v108, v109, v108
; %bb.4189:                             ;   in Loop: Header=BB4_3733 Depth=3
	s_andn2_saveexec_b32 s16, s16
; %bb.4190:                             ;   in Loop: Header=BB4_3733 Depth=3
	v_bfe_u32 v106, v108, 23, 1
; %bb.4191:                             ;   in Loop: Header=BB4_3733 Depth=3
	s_or_b32 exec_lo, exec_lo, s16
	v_lshrrev_b32_e32 v108, 21, v108
	v_min_i32_e32 v109, 31, v106
	v_cmp_gt_i32_e32 vcc_lo, 32, v106
	v_and_b32_sdwa v107, v107, v116 dst_sel:DWORD dst_unused:UNUSED_PAD src0_sel:BYTE_3 src1_sel:DWORD
	v_lshlrev_b32_e32 v109, 2, v109
	v_cndmask_b32_e32 v108, 3, v108, vcc_lo
	v_and_b32_e32 v109, 0xfc, v109
	v_and_b32_e32 v110, 3, v108
	v_or_b32_e32 v106, v106, v108
	v_or3_b32 v107, v109, v107, v110
	v_cmp_ne_u32_e32 vcc_lo, 0, v106
	v_cndmask_b32_e32 v106, 0, v107, vcc_lo
.LBB4_4192:                             ;   in Loop: Header=BB4_3733 Depth=3
	s_or_b32 exec_lo, exec_lo, s22
.LBB4_4193:                             ;   in Loop: Header=BB4_3733 Depth=3
	s_or_b32 exec_lo, exec_lo, s19
	v_cmp_gt_i16_sdwa s19, v13, v115 src0_sel:BYTE_3 src1_sel:DWORD
	s_mov_b32 s16, 0
	s_and_saveexec_b32 s22, s19
	s_xor_b32 s19, exec_lo, s22
	s_cbranch_execz .LBB4_4463
; %bb.4194:                             ;   in Loop: Header=BB4_3733 Depth=3
	v_cmp_eq_u16_sdwa s23, v13, v116 src0_sel:BYTE_3 src1_sel:DWORD
	s_mov_b32 s16, -1
	s_and_saveexec_b32 s22, s23
; %bb.4195:                             ;   in Loop: Header=BB4_3733 Depth=3
	s_xor_b32 s16, exec_lo, -1
; %bb.4196:                             ;   in Loop: Header=BB4_3733 Depth=3
	s_or_b32 exec_lo, exec_lo, s22
	s_and_b32 s16, s16, exec_lo
	s_or_saveexec_b32 s19, s19
	v_mov_b32_e32 v107, 0x7f800001
	s_xor_b32 exec_lo, exec_lo, s19
	s_cbranch_execnz .LBB4_4464
.LBB4_4197:                             ;   in Loop: Header=BB4_3733 Depth=3
	s_or_b32 exec_lo, exec_lo, s19
	s_and_saveexec_b32 s19, s16
	s_cbranch_execz .LBB4_4199
.LBB4_4198:                             ;   in Loop: Header=BB4_3733 Depth=3
	v_bfe_u32 v107, v13, 24, 2
	v_bfe_u32 v110, v13, 26, 5
	v_ffbh_u32_e32 v108, v107
	v_cmp_eq_u32_e32 vcc_lo, 0, v110
	v_min_u32_e32 v108, 32, v108
	v_subrev_nc_u32_e32 v109, 29, v108
	v_sub_nc_u32_e32 v108, 30, v108
	v_lshlrev_b32_sdwa v109, v109, v13 dst_sel:DWORD dst_unused:UNUSED_PAD src0_sel:DWORD src1_sel:BYTE_3
	v_cndmask_b32_e32 v108, v110, v108, vcc_lo
	v_and_b32_e32 v13, 0x80000000, v13
	v_and_b32_e32 v109, 3, v109
	v_lshl_add_u32 v108, v108, 23, 0x37800000
	v_cndmask_b32_e32 v107, v107, v109, vcc_lo
	v_lshlrev_b32_e32 v107, 21, v107
	v_or3_b32 v107, v13, v108, v107
.LBB4_4199:                             ;   in Loop: Header=BB4_3733 Depth=3
	s_or_b32 exec_lo, exec_lo, s19
	v_cmp_gt_i16_sdwa s19, v9, v115 src0_sel:BYTE_3 src1_sel:DWORD
	s_mov_b32 s16, 0
	s_and_saveexec_b32 s22, s19
	s_xor_b32 s19, exec_lo, s22
	s_cbranch_execz .LBB4_4465
; %bb.4200:                             ;   in Loop: Header=BB4_3733 Depth=3
	v_cmp_eq_u16_sdwa s23, v9, v116 src0_sel:BYTE_3 src1_sel:DWORD
	s_mov_b32 s16, -1
	s_and_saveexec_b32 s22, s23
; %bb.4201:                             ;   in Loop: Header=BB4_3733 Depth=3
	s_xor_b32 s16, exec_lo, -1
; %bb.4202:                             ;   in Loop: Header=BB4_3733 Depth=3
	s_or_b32 exec_lo, exec_lo, s22
	s_and_b32 s16, s16, exec_lo
	s_or_saveexec_b32 s19, s19
	v_mov_b32_e32 v13, 0x7f800001
	s_xor_b32 exec_lo, exec_lo, s19
	s_cbranch_execnz .LBB4_4466
.LBB4_4203:                             ;   in Loop: Header=BB4_3733 Depth=3
	s_or_b32 exec_lo, exec_lo, s19
	s_and_saveexec_b32 s19, s16
	s_cbranch_execz .LBB4_4205
.LBB4_4204:                             ;   in Loop: Header=BB4_3733 Depth=3
	v_bfe_u32 v13, v9, 24, 2
	v_bfe_u32 v110, v9, 26, 5
	v_ffbh_u32_e32 v108, v13
	v_cmp_eq_u32_e32 vcc_lo, 0, v110
	v_min_u32_e32 v108, 32, v108
	v_subrev_nc_u32_e32 v109, 29, v108
	v_sub_nc_u32_e32 v108, 30, v108
	v_lshlrev_b32_sdwa v109, v109, v9 dst_sel:DWORD dst_unused:UNUSED_PAD src0_sel:DWORD src1_sel:BYTE_3
	v_cndmask_b32_e32 v108, v110, v108, vcc_lo
	v_and_b32_e32 v9, 0x80000000, v9
	v_and_b32_e32 v109, 3, v109
	v_lshl_add_u32 v108, v108, 23, 0x37800000
	v_cndmask_b32_e32 v13, v13, v109, vcc_lo
	v_lshlrev_b32_e32 v13, 21, v13
	v_or3_b32 v13, v9, v108, v13
.LBB4_4205:                             ;   in Loop: Header=BB4_3733 Depth=3
	s_or_b32 exec_lo, exec_lo, s19
	v_mul_f32_e32 v13, v107, v13
	v_and_b32_e32 v9, 0x7f800000, v13
	v_cmp_ne_u32_e32 vcc_lo, 0x7f800000, v9
	v_mov_b32_e32 v9, 0x8000
	s_and_saveexec_b32 s19, vcc_lo
	s_cbranch_execz .LBB4_4213
; %bb.4206:                             ;   in Loop: Header=BB4_3733 Depth=3
	v_mov_b32_e32 v9, 0
	s_mov_b32 s22, exec_lo
	v_cmpx_ne_u32_e32 0, v13
	s_cbranch_execz .LBB4_4212
; %bb.4207:                             ;   in Loop: Header=BB4_3733 Depth=3
	v_bfe_u32 v9, v13, 23, 8
	v_and_b32_e32 v107, 0x7fffff, v13
	v_sub_nc_u32_e32 v108, 0x70, v9
	v_cmp_gt_u32_e32 vcc_lo, 0x71, v9
	v_or_b32_e32 v109, 0x800000, v107
	v_cndmask_b32_e32 v108, 0, v108, vcc_lo
	v_cmp_eq_u32_e32 vcc_lo, 0, v9
	v_add_nc_u32_e32 v9, 0xffffff91, v9
	v_cndmask_b32_e64 v108, v108, 0x6f, vcc_lo
	v_cndmask_b32_e32 v107, v109, v107, vcc_lo
	v_cndmask_b32_e64 v9, v9, 0xffffff92, vcc_lo
	v_lshl_add_u32 v109, 0x200000, v108, -1
	v_lshrrev_b32_e32 v110, v108, v107
	v_lshlrev_b32_e64 v120, v108, 0x100000
	v_add_nc_u32_e32 v108, v108, v9
	v_and_b32_e32 v107, v109, v107
	v_bfe_u32 v111, v110, 21, 1
	v_cmp_eq_u32_e64 s16, v107, v120
	v_add_nc_u32_e32 v109, -1, v111
	v_cndmask_b32_e64 v107, 0, v109, s16
	v_lshrrev_b32_e32 v109, 23, v110
	s_mov_b32 s16, exec_lo
	v_add_nc_u32_e32 v107, v107, v110
	v_xor_b32_e32 v109, 1, v109
	v_and_b32_e32 v9, 0x1fffff, v107
	v_add_nc_u32_e32 v107, v9, v110
                                        ; implicit-def: $vgpr9
	v_cmpx_ne_u32_e64 v108, v109
	s_xor_b32 s16, exec_lo, s16
; %bb.4208:                             ;   in Loop: Header=BB4_3733 Depth=3
	v_cmp_lt_u32_e32 vcc_lo, 0xffffff, v107
	v_sub_nc_u32_e32 v9, v108, v109
	v_cndmask_b32_e64 v108, 0, 1, vcc_lo
	v_add_co_ci_u32_e64 v9, null, 0, v9, vcc_lo
	v_lshrrev_b32_e32 v107, v108, v107
; %bb.4209:                             ;   in Loop: Header=BB4_3733 Depth=3
	s_andn2_saveexec_b32 s16, s16
; %bb.4210:                             ;   in Loop: Header=BB4_3733 Depth=3
	v_bfe_u32 v9, v107, 23, 1
; %bb.4211:                             ;   in Loop: Header=BB4_3733 Depth=3
	s_or_b32 exec_lo, exec_lo, s16
	v_lshrrev_b32_e32 v107, 21, v107
	v_min_i32_e32 v108, 31, v9
	v_cmp_gt_i32_e32 vcc_lo, 32, v9
	v_and_b32_sdwa v13, v13, v116 dst_sel:DWORD dst_unused:UNUSED_PAD src0_sel:BYTE_3 src1_sel:DWORD
	v_lshlrev_b32_e32 v108, 2, v108
	v_cndmask_b32_e32 v107, 3, v107, vcc_lo
	v_and_b32_e32 v108, 0xfc, v108
	v_and_b32_e32 v109, 3, v107
	v_or_b32_e32 v9, v9, v107
	v_or3_b32 v13, v13, v108, v109
	v_cmp_ne_u32_e32 vcc_lo, 0, v9
	v_lshlrev_b32_e32 v13, 8, v13
	v_cndmask_b32_e32 v9, 0, v13, vcc_lo
.LBB4_4212:                             ;   in Loop: Header=BB4_3733 Depth=3
	s_or_b32 exec_lo, exec_lo, s22
.LBB4_4213:                             ;   in Loop: Header=BB4_3733 Depth=3
	s_or_b32 exec_lo, exec_lo, s19
	v_cmp_gt_i16_sdwa s19, v14, v115 src0_sel:BYTE_0 src1_sel:DWORD
	s_mov_b32 s16, 0
	s_and_saveexec_b32 s22, s19
	s_xor_b32 s19, exec_lo, s22
	s_cbranch_execz .LBB4_4467
; %bb.4214:                             ;   in Loop: Header=BB4_3733 Depth=3
	v_cmp_eq_u16_sdwa s23, v14, v116 src0_sel:BYTE_0 src1_sel:DWORD
	s_mov_b32 s16, -1
	s_and_saveexec_b32 s22, s23
; %bb.4215:                             ;   in Loop: Header=BB4_3733 Depth=3
	s_xor_b32 s16, exec_lo, -1
; %bb.4216:                             ;   in Loop: Header=BB4_3733 Depth=3
	s_or_b32 exec_lo, exec_lo, s22
	s_and_b32 s16, s16, exec_lo
	s_or_saveexec_b32 s19, s19
	v_mov_b32_e32 v13, 0x7f800001
	s_xor_b32 exec_lo, exec_lo, s19
	s_cbranch_execnz .LBB4_4468
.LBB4_4217:                             ;   in Loop: Header=BB4_3733 Depth=3
	s_or_b32 exec_lo, exec_lo, s19
	s_and_saveexec_b32 s19, s16
	s_cbranch_execz .LBB4_4219
.LBB4_4218:                             ;   in Loop: Header=BB4_3733 Depth=3
	v_and_b32_e32 v13, 3, v14
	v_bfe_u32 v109, v14, 2, 5
	v_lshlrev_b32_e32 v110, 24, v14
	v_ffbh_u32_e32 v107, v13
	v_cmp_eq_u32_e32 vcc_lo, 0, v109
	v_min_u32_e32 v107, 32, v107
	v_subrev_nc_u32_e32 v108, 29, v107
	v_sub_nc_u32_e32 v107, 30, v107
	v_lshlrev_b32_e32 v108, v108, v14
	v_cndmask_b32_e32 v107, v109, v107, vcc_lo
	v_and_b32_e32 v108, 3, v108
	v_lshl_add_u32 v107, v107, 23, 0x37800000
	v_cndmask_b32_e32 v13, v13, v108, vcc_lo
	v_and_b32_e32 v108, 0x80000000, v110
	v_lshlrev_b32_e32 v13, 21, v13
	v_or3_b32 v13, v108, v107, v13
.LBB4_4219:                             ;   in Loop: Header=BB4_3733 Depth=3
	s_or_b32 exec_lo, exec_lo, s19
	v_cmp_gt_i16_sdwa s19, v10, v115 src0_sel:BYTE_0 src1_sel:DWORD
	s_mov_b32 s16, 0
	s_and_saveexec_b32 s22, s19
	s_xor_b32 s19, exec_lo, s22
	s_cbranch_execz .LBB4_4469
; %bb.4220:                             ;   in Loop: Header=BB4_3733 Depth=3
	v_cmp_eq_u16_sdwa s23, v10, v116 src0_sel:BYTE_0 src1_sel:DWORD
	s_mov_b32 s16, -1
	s_and_saveexec_b32 s22, s23
; %bb.4221:                             ;   in Loop: Header=BB4_3733 Depth=3
	s_xor_b32 s16, exec_lo, -1
; %bb.4222:                             ;   in Loop: Header=BB4_3733 Depth=3
	s_or_b32 exec_lo, exec_lo, s22
	s_and_b32 s16, s16, exec_lo
	s_or_saveexec_b32 s19, s19
	v_mov_b32_e32 v107, 0x7f800001
	s_xor_b32 exec_lo, exec_lo, s19
	s_cbranch_execnz .LBB4_4470
.LBB4_4223:                             ;   in Loop: Header=BB4_3733 Depth=3
	s_or_b32 exec_lo, exec_lo, s19
	s_and_saveexec_b32 s19, s16
	s_cbranch_execz .LBB4_4225
.LBB4_4224:                             ;   in Loop: Header=BB4_3733 Depth=3
	v_and_b32_e32 v107, 3, v10
	v_bfe_u32 v110, v10, 2, 5
	v_lshlrev_b32_e32 v111, 24, v10
	v_ffbh_u32_e32 v108, v107
	v_cmp_eq_u32_e32 vcc_lo, 0, v110
	v_min_u32_e32 v108, 32, v108
	v_subrev_nc_u32_e32 v109, 29, v108
	v_sub_nc_u32_e32 v108, 30, v108
	v_lshlrev_b32_e32 v109, v109, v10
	v_cndmask_b32_e32 v108, v110, v108, vcc_lo
	v_and_b32_e32 v109, 3, v109
	v_lshl_add_u32 v108, v108, 23, 0x37800000
	v_cndmask_b32_e32 v107, v107, v109, vcc_lo
	v_and_b32_e32 v109, 0x80000000, v111
	v_lshlrev_b32_e32 v107, 21, v107
	v_or3_b32 v107, v109, v108, v107
.LBB4_4225:                             ;   in Loop: Header=BB4_3733 Depth=3
	s_or_b32 exec_lo, exec_lo, s19
	v_mul_f32_e32 v107, v13, v107
	v_and_b32_e32 v13, 0x7f800000, v107
	v_cmp_ne_u32_e32 vcc_lo, 0x7f800000, v13
	v_mov_b32_e32 v13, 0x80
	s_and_saveexec_b32 s19, vcc_lo
	s_cbranch_execz .LBB4_4233
; %bb.4226:                             ;   in Loop: Header=BB4_3733 Depth=3
	v_mov_b32_e32 v13, 0
	s_mov_b32 s22, exec_lo
	v_cmpx_ne_u32_e32 0, v107
	s_cbranch_execz .LBB4_4232
; %bb.4227:                             ;   in Loop: Header=BB4_3733 Depth=3
	v_bfe_u32 v13, v107, 23, 8
	v_and_b32_e32 v108, 0x7fffff, v107
	v_sub_nc_u32_e32 v109, 0x70, v13
	v_cmp_gt_u32_e32 vcc_lo, 0x71, v13
	v_or_b32_e32 v110, 0x800000, v108
	v_cndmask_b32_e32 v109, 0, v109, vcc_lo
	v_cmp_eq_u32_e32 vcc_lo, 0, v13
	v_add_nc_u32_e32 v13, 0xffffff91, v13
	v_cndmask_b32_e64 v109, v109, 0x6f, vcc_lo
	v_cndmask_b32_e32 v108, v110, v108, vcc_lo
	v_cndmask_b32_e64 v13, v13, 0xffffff92, vcc_lo
	v_lshl_add_u32 v110, 0x200000, v109, -1
	v_lshrrev_b32_e32 v111, v109, v108
	v_lshlrev_b32_e64 v121, v109, 0x100000
	v_add_nc_u32_e32 v109, v109, v13
	v_and_b32_e32 v108, v110, v108
	v_bfe_u32 v120, v111, 21, 1
	v_cmp_eq_u32_e64 s16, v108, v121
	v_add_nc_u32_e32 v110, -1, v120
	v_cndmask_b32_e64 v108, 0, v110, s16
	v_lshrrev_b32_e32 v110, 23, v111
	s_mov_b32 s16, exec_lo
	v_add_nc_u32_e32 v108, v108, v111
	v_xor_b32_e32 v110, 1, v110
	v_and_b32_e32 v13, 0x1fffff, v108
	v_add_nc_u32_e32 v108, v13, v111
                                        ; implicit-def: $vgpr13
	v_cmpx_ne_u32_e64 v109, v110
	s_xor_b32 s16, exec_lo, s16
; %bb.4228:                             ;   in Loop: Header=BB4_3733 Depth=3
	v_cmp_lt_u32_e32 vcc_lo, 0xffffff, v108
	v_sub_nc_u32_e32 v13, v109, v110
	v_cndmask_b32_e64 v109, 0, 1, vcc_lo
	v_add_co_ci_u32_e64 v13, null, 0, v13, vcc_lo
	v_lshrrev_b32_e32 v108, v109, v108
; %bb.4229:                             ;   in Loop: Header=BB4_3733 Depth=3
	s_andn2_saveexec_b32 s16, s16
; %bb.4230:                             ;   in Loop: Header=BB4_3733 Depth=3
	v_bfe_u32 v13, v108, 23, 1
; %bb.4231:                             ;   in Loop: Header=BB4_3733 Depth=3
	s_or_b32 exec_lo, exec_lo, s16
	v_lshrrev_b32_e32 v108, 21, v108
	v_min_i32_e32 v109, 31, v13
	v_cmp_gt_i32_e32 vcc_lo, 32, v13
	v_and_b32_sdwa v107, v107, v116 dst_sel:DWORD dst_unused:UNUSED_PAD src0_sel:BYTE_3 src1_sel:DWORD
	v_lshlrev_b32_e32 v109, 2, v109
	v_cndmask_b32_e32 v108, 3, v108, vcc_lo
	v_and_b32_e32 v109, 0xfc, v109
	v_and_b32_e32 v110, 3, v108
	v_or_b32_e32 v13, v13, v108
	v_or3_b32 v107, v109, v107, v110
	v_cmp_ne_u32_e32 vcc_lo, 0, v13
	v_cndmask_b32_e32 v13, 0, v107, vcc_lo
.LBB4_4232:                             ;   in Loop: Header=BB4_3733 Depth=3
	s_or_b32 exec_lo, exec_lo, s22
.LBB4_4233:                             ;   in Loop: Header=BB4_3733 Depth=3
	s_or_b32 exec_lo, exec_lo, s19
	v_cmp_gt_i16_sdwa s19, v14, v115 src0_sel:BYTE_1 src1_sel:DWORD
	s_mov_b32 s16, 0
	s_and_saveexec_b32 s22, s19
	s_xor_b32 s19, exec_lo, s22
	s_cbranch_execz .LBB4_4471
; %bb.4234:                             ;   in Loop: Header=BB4_3733 Depth=3
	v_cmp_eq_u16_sdwa s23, v14, v116 src0_sel:BYTE_1 src1_sel:DWORD
	s_mov_b32 s16, -1
	s_and_saveexec_b32 s22, s23
; %bb.4235:                             ;   in Loop: Header=BB4_3733 Depth=3
	s_xor_b32 s16, exec_lo, -1
; %bb.4236:                             ;   in Loop: Header=BB4_3733 Depth=3
	s_or_b32 exec_lo, exec_lo, s22
	s_and_b32 s16, s16, exec_lo
	s_or_saveexec_b32 s19, s19
	v_mov_b32_e32 v107, 0x7f800001
	s_xor_b32 exec_lo, exec_lo, s19
	s_cbranch_execnz .LBB4_4472
.LBB4_4237:                             ;   in Loop: Header=BB4_3733 Depth=3
	s_or_b32 exec_lo, exec_lo, s19
	s_and_saveexec_b32 s19, s16
	s_cbranch_execz .LBB4_4239
.LBB4_4238:                             ;   in Loop: Header=BB4_3733 Depth=3
	v_and_b32_sdwa v107, v117, v14 dst_sel:DWORD dst_unused:UNUSED_PAD src0_sel:DWORD src1_sel:BYTE_1
	v_and_b32_e32 v108, 3, v107
	v_bfe_u32 v111, v107, 2, 5
	v_ffbh_u32_e32 v109, v108
	v_cmp_eq_u32_e32 vcc_lo, 0, v111
	v_min_u32_e32 v109, 32, v109
	v_subrev_nc_u32_e32 v110, 29, v109
	v_sub_nc_u32_e32 v109, 30, v109
	v_lshlrev_b32_e32 v107, v110, v107
	v_lshlrev_b32_sdwa v110, v118, v14 dst_sel:DWORD dst_unused:UNUSED_PAD src0_sel:DWORD src1_sel:BYTE_1
	v_cndmask_b32_e32 v109, v111, v109, vcc_lo
	v_and_b32_e32 v107, 3, v107
	v_lshl_add_u32 v109, v109, 23, 0x37800000
	v_cndmask_b32_e32 v107, v108, v107, vcc_lo
	v_and_b32_e32 v108, 0x80000000, v110
	v_lshlrev_b32_e32 v107, 21, v107
	v_or3_b32 v107, v108, v109, v107
.LBB4_4239:                             ;   in Loop: Header=BB4_3733 Depth=3
	s_or_b32 exec_lo, exec_lo, s19
	v_cmp_gt_i16_sdwa s19, v10, v115 src0_sel:BYTE_1 src1_sel:DWORD
	s_mov_b32 s16, 0
	s_and_saveexec_b32 s22, s19
	s_xor_b32 s19, exec_lo, s22
	s_cbranch_execz .LBB4_4473
; %bb.4240:                             ;   in Loop: Header=BB4_3733 Depth=3
	v_cmp_eq_u16_sdwa s23, v10, v116 src0_sel:BYTE_1 src1_sel:DWORD
	s_mov_b32 s16, -1
	s_and_saveexec_b32 s22, s23
; %bb.4241:                             ;   in Loop: Header=BB4_3733 Depth=3
	s_xor_b32 s16, exec_lo, -1
; %bb.4242:                             ;   in Loop: Header=BB4_3733 Depth=3
	s_or_b32 exec_lo, exec_lo, s22
	s_and_b32 s16, s16, exec_lo
	s_or_saveexec_b32 s19, s19
	v_mov_b32_e32 v108, 0x7f800001
	s_xor_b32 exec_lo, exec_lo, s19
	s_cbranch_execnz .LBB4_4474
.LBB4_4243:                             ;   in Loop: Header=BB4_3733 Depth=3
	s_or_b32 exec_lo, exec_lo, s19
	s_and_saveexec_b32 s19, s16
	s_cbranch_execz .LBB4_4245
.LBB4_4244:                             ;   in Loop: Header=BB4_3733 Depth=3
	v_and_b32_sdwa v108, v117, v10 dst_sel:DWORD dst_unused:UNUSED_PAD src0_sel:DWORD src1_sel:BYTE_1
	v_and_b32_e32 v109, 3, v108
	v_bfe_u32 v120, v108, 2, 5
	v_ffbh_u32_e32 v110, v109
	v_cmp_eq_u32_e32 vcc_lo, 0, v120
	v_min_u32_e32 v110, 32, v110
	v_subrev_nc_u32_e32 v111, 29, v110
	v_sub_nc_u32_e32 v110, 30, v110
	v_lshlrev_b32_e32 v108, v111, v108
	v_lshlrev_b32_sdwa v111, v118, v10 dst_sel:DWORD dst_unused:UNUSED_PAD src0_sel:DWORD src1_sel:BYTE_1
	v_cndmask_b32_e32 v110, v120, v110, vcc_lo
	v_and_b32_e32 v108, 3, v108
	v_lshl_add_u32 v110, v110, 23, 0x37800000
	v_cndmask_b32_e32 v108, v109, v108, vcc_lo
	v_and_b32_e32 v109, 0x80000000, v111
	v_lshlrev_b32_e32 v108, 21, v108
	v_or3_b32 v108, v109, v110, v108
.LBB4_4245:                             ;   in Loop: Header=BB4_3733 Depth=3
	s_or_b32 exec_lo, exec_lo, s19
	v_mul_f32_e32 v108, v107, v108
	v_and_b32_e32 v107, 0x7f800000, v108
	v_cmp_ne_u32_e32 vcc_lo, 0x7f800000, v107
	v_mov_b32_e32 v107, 0x8000
	s_and_saveexec_b32 s19, vcc_lo
	s_cbranch_execz .LBB4_4253
; %bb.4246:                             ;   in Loop: Header=BB4_3733 Depth=3
	v_mov_b32_e32 v107, 0
	s_mov_b32 s22, exec_lo
	v_cmpx_ne_u32_e32 0, v108
	s_cbranch_execz .LBB4_4252
; %bb.4247:                             ;   in Loop: Header=BB4_3733 Depth=3
	v_bfe_u32 v107, v108, 23, 8
	v_and_b32_e32 v109, 0x7fffff, v108
	v_sub_nc_u32_e32 v110, 0x70, v107
	v_cmp_gt_u32_e32 vcc_lo, 0x71, v107
	v_or_b32_e32 v111, 0x800000, v109
	v_cndmask_b32_e32 v110, 0, v110, vcc_lo
	v_cmp_eq_u32_e32 vcc_lo, 0, v107
	v_add_nc_u32_e32 v107, 0xffffff91, v107
	v_cndmask_b32_e64 v110, v110, 0x6f, vcc_lo
	v_cndmask_b32_e32 v109, v111, v109, vcc_lo
	v_cndmask_b32_e64 v107, v107, 0xffffff92, vcc_lo
	v_lshl_add_u32 v111, 0x200000, v110, -1
	v_lshrrev_b32_e32 v120, v110, v109
	v_lshlrev_b32_e64 v122, v110, 0x100000
	v_add_nc_u32_e32 v110, v110, v107
	v_and_b32_e32 v109, v111, v109
	v_bfe_u32 v121, v120, 21, 1
	v_cmp_eq_u32_e64 s16, v109, v122
	v_add_nc_u32_e32 v111, -1, v121
	v_cndmask_b32_e64 v109, 0, v111, s16
	v_lshrrev_b32_e32 v111, 23, v120
	s_mov_b32 s16, exec_lo
	v_add_nc_u32_e32 v109, v109, v120
	v_xor_b32_e32 v111, 1, v111
	v_and_b32_e32 v107, 0x1fffff, v109
	v_add_nc_u32_e32 v109, v107, v120
                                        ; implicit-def: $vgpr107
	v_cmpx_ne_u32_e64 v110, v111
	s_xor_b32 s16, exec_lo, s16
; %bb.4248:                             ;   in Loop: Header=BB4_3733 Depth=3
	v_cmp_lt_u32_e32 vcc_lo, 0xffffff, v109
	v_sub_nc_u32_e32 v107, v110, v111
	v_cndmask_b32_e64 v110, 0, 1, vcc_lo
	v_add_co_ci_u32_e64 v107, null, 0, v107, vcc_lo
	v_lshrrev_b32_e32 v109, v110, v109
; %bb.4249:                             ;   in Loop: Header=BB4_3733 Depth=3
	s_andn2_saveexec_b32 s16, s16
; %bb.4250:                             ;   in Loop: Header=BB4_3733 Depth=3
	v_bfe_u32 v107, v109, 23, 1
; %bb.4251:                             ;   in Loop: Header=BB4_3733 Depth=3
	s_or_b32 exec_lo, exec_lo, s16
	v_lshrrev_b32_e32 v109, 21, v109
	v_min_i32_e32 v110, 31, v107
	v_cmp_gt_i32_e32 vcc_lo, 32, v107
	v_and_b32_sdwa v108, v108, v116 dst_sel:DWORD dst_unused:UNUSED_PAD src0_sel:BYTE_3 src1_sel:DWORD
	v_lshlrev_b32_e32 v110, 2, v110
	v_cndmask_b32_e32 v109, 3, v109, vcc_lo
	v_and_b32_e32 v110, 0xfc, v110
	v_and_b32_e32 v111, 3, v109
	v_or_b32_e32 v107, v107, v109
	v_or3_b32 v108, v108, v110, v111
	v_cmp_ne_u32_e32 vcc_lo, 0, v107
	v_lshlrev_b32_e32 v108, 8, v108
	v_cndmask_b32_e32 v107, 0, v108, vcc_lo
.LBB4_4252:                             ;   in Loop: Header=BB4_3733 Depth=3
	s_or_b32 exec_lo, exec_lo, s22
.LBB4_4253:                             ;   in Loop: Header=BB4_3733 Depth=3
	s_or_b32 exec_lo, exec_lo, s19
	v_and_b32_sdwa v109, v14, v119 dst_sel:DWORD dst_unused:UNUSED_PAD src0_sel:WORD_1 src1_sel:DWORD
	s_mov_b32 s16, 0
	s_mov_b32 s19, exec_lo
	v_cmpx_lt_i16_e32 0x7f, v109
	s_xor_b32 s19, exec_lo, s19
	s_cbranch_execz .LBB4_4475
; %bb.4254:                             ;   in Loop: Header=BB4_3733 Depth=3
	s_mov_b32 s16, -1
	s_mov_b32 s22, exec_lo
	v_cmpx_eq_u16_e32 0x80, v109
; %bb.4255:                             ;   in Loop: Header=BB4_3733 Depth=3
	s_xor_b32 s16, exec_lo, -1
; %bb.4256:                             ;   in Loop: Header=BB4_3733 Depth=3
	s_or_b32 exec_lo, exec_lo, s22
	s_and_b32 s16, s16, exec_lo
                                        ; implicit-def: $vgpr109
	s_or_saveexec_b32 s19, s19
	v_mov_b32_e32 v108, 0x7f800001
	s_xor_b32 exec_lo, exec_lo, s19
	s_cbranch_execnz .LBB4_4476
.LBB4_4257:                             ;   in Loop: Header=BB4_3733 Depth=3
	s_or_b32 exec_lo, exec_lo, s19
	s_and_saveexec_b32 s19, s16
	s_cbranch_execz .LBB4_4259
.LBB4_4258:                             ;   in Loop: Header=BB4_3733 Depth=3
	v_bfe_u32 v108, v14, 16, 2
	v_bfe_u32 v111, v14, 18, 5
	v_lshlrev_b32_e32 v120, 8, v14
	v_ffbh_u32_e32 v109, v108
	v_cmp_eq_u32_e32 vcc_lo, 0, v111
	v_min_u32_e32 v109, 32, v109
	v_subrev_nc_u32_e32 v110, 29, v109
	v_sub_nc_u32_e32 v109, 30, v109
	v_lshlrev_b32_sdwa v110, v110, v14 dst_sel:DWORD dst_unused:UNUSED_PAD src0_sel:DWORD src1_sel:WORD_1
	v_cndmask_b32_e32 v109, v111, v109, vcc_lo
	v_and_b32_e32 v110, 3, v110
	v_lshl_add_u32 v109, v109, 23, 0x37800000
	v_cndmask_b32_e32 v108, v108, v110, vcc_lo
	v_and_b32_e32 v110, 0x80000000, v120
	v_lshlrev_b32_e32 v108, 21, v108
	v_or3_b32 v108, v110, v109, v108
.LBB4_4259:                             ;   in Loop: Header=BB4_3733 Depth=3
	s_or_b32 exec_lo, exec_lo, s19
	v_and_b32_sdwa v110, v10, v119 dst_sel:DWORD dst_unused:UNUSED_PAD src0_sel:WORD_1 src1_sel:DWORD
	s_mov_b32 s16, 0
	s_mov_b32 s19, exec_lo
	v_cmpx_lt_i16_e32 0x7f, v110
	s_xor_b32 s19, exec_lo, s19
	s_cbranch_execz .LBB4_4477
; %bb.4260:                             ;   in Loop: Header=BB4_3733 Depth=3
	s_mov_b32 s16, -1
	s_mov_b32 s22, exec_lo
	v_cmpx_eq_u16_e32 0x80, v110
; %bb.4261:                             ;   in Loop: Header=BB4_3733 Depth=3
	s_xor_b32 s16, exec_lo, -1
; %bb.4262:                             ;   in Loop: Header=BB4_3733 Depth=3
	s_or_b32 exec_lo, exec_lo, s22
	s_and_b32 s16, s16, exec_lo
                                        ; implicit-def: $vgpr110
	s_or_saveexec_b32 s19, s19
	v_mov_b32_e32 v109, 0x7f800001
	s_xor_b32 exec_lo, exec_lo, s19
	s_cbranch_execnz .LBB4_4478
.LBB4_4263:                             ;   in Loop: Header=BB4_3733 Depth=3
	s_or_b32 exec_lo, exec_lo, s19
	s_and_saveexec_b32 s19, s16
	s_cbranch_execz .LBB4_4265
.LBB4_4264:                             ;   in Loop: Header=BB4_3733 Depth=3
	v_bfe_u32 v109, v10, 16, 2
	v_bfe_u32 v120, v10, 18, 5
	v_lshlrev_b32_e32 v121, 8, v10
	v_ffbh_u32_e32 v110, v109
	v_cmp_eq_u32_e32 vcc_lo, 0, v120
	v_min_u32_e32 v110, 32, v110
	v_subrev_nc_u32_e32 v111, 29, v110
	v_sub_nc_u32_e32 v110, 30, v110
	v_lshlrev_b32_sdwa v111, v111, v10 dst_sel:DWORD dst_unused:UNUSED_PAD src0_sel:DWORD src1_sel:WORD_1
	v_cndmask_b32_e32 v110, v120, v110, vcc_lo
	v_and_b32_e32 v111, 3, v111
	v_lshl_add_u32 v110, v110, 23, 0x37800000
	v_cndmask_b32_e32 v109, v109, v111, vcc_lo
	v_and_b32_e32 v111, 0x80000000, v121
	v_lshlrev_b32_e32 v109, 21, v109
	v_or3_b32 v109, v111, v110, v109
.LBB4_4265:                             ;   in Loop: Header=BB4_3733 Depth=3
	s_or_b32 exec_lo, exec_lo, s19
	v_mul_f32_e32 v109, v108, v109
	v_and_b32_e32 v108, 0x7f800000, v109
	v_cmp_ne_u32_e32 vcc_lo, 0x7f800000, v108
	v_mov_b32_e32 v108, 0x80
	s_and_saveexec_b32 s19, vcc_lo
	s_cbranch_execz .LBB4_4273
; %bb.4266:                             ;   in Loop: Header=BB4_3733 Depth=3
	v_mov_b32_e32 v108, 0
	s_mov_b32 s22, exec_lo
	v_cmpx_ne_u32_e32 0, v109
	s_cbranch_execz .LBB4_4272
; %bb.4267:                             ;   in Loop: Header=BB4_3733 Depth=3
	v_bfe_u32 v108, v109, 23, 8
	v_and_b32_e32 v110, 0x7fffff, v109
	v_sub_nc_u32_e32 v111, 0x70, v108
	v_cmp_gt_u32_e32 vcc_lo, 0x71, v108
	v_or_b32_e32 v120, 0x800000, v110
	v_cndmask_b32_e32 v111, 0, v111, vcc_lo
	v_cmp_eq_u32_e32 vcc_lo, 0, v108
	v_add_nc_u32_e32 v108, 0xffffff91, v108
	v_cndmask_b32_e64 v111, v111, 0x6f, vcc_lo
	v_cndmask_b32_e32 v110, v120, v110, vcc_lo
	v_cndmask_b32_e64 v108, v108, 0xffffff92, vcc_lo
	v_lshl_add_u32 v120, 0x200000, v111, -1
	v_lshrrev_b32_e32 v121, v111, v110
	v_lshlrev_b32_e64 v123, v111, 0x100000
	v_add_nc_u32_e32 v111, v111, v108
	v_and_b32_e32 v110, v120, v110
	v_bfe_u32 v122, v121, 21, 1
	v_cmp_eq_u32_e64 s16, v110, v123
	v_add_nc_u32_e32 v120, -1, v122
	v_cndmask_b32_e64 v110, 0, v120, s16
	v_lshrrev_b32_e32 v120, 23, v121
	s_mov_b32 s16, exec_lo
	v_add_nc_u32_e32 v110, v110, v121
	v_xor_b32_e32 v120, 1, v120
	v_and_b32_e32 v108, 0x1fffff, v110
	v_add_nc_u32_e32 v110, v108, v121
                                        ; implicit-def: $vgpr108
	v_cmpx_ne_u32_e64 v111, v120
	s_xor_b32 s16, exec_lo, s16
; %bb.4268:                             ;   in Loop: Header=BB4_3733 Depth=3
	v_cmp_lt_u32_e32 vcc_lo, 0xffffff, v110
	v_sub_nc_u32_e32 v108, v111, v120
	v_cndmask_b32_e64 v111, 0, 1, vcc_lo
	v_add_co_ci_u32_e64 v108, null, 0, v108, vcc_lo
	v_lshrrev_b32_e32 v110, v111, v110
; %bb.4269:                             ;   in Loop: Header=BB4_3733 Depth=3
	s_andn2_saveexec_b32 s16, s16
; %bb.4270:                             ;   in Loop: Header=BB4_3733 Depth=3
	v_bfe_u32 v108, v110, 23, 1
; %bb.4271:                             ;   in Loop: Header=BB4_3733 Depth=3
	s_or_b32 exec_lo, exec_lo, s16
	v_lshrrev_b32_e32 v110, 21, v110
	v_min_i32_e32 v111, 31, v108
	v_cmp_gt_i32_e32 vcc_lo, 32, v108
	v_and_b32_sdwa v109, v109, v116 dst_sel:DWORD dst_unused:UNUSED_PAD src0_sel:BYTE_3 src1_sel:DWORD
	v_lshlrev_b32_e32 v111, 2, v111
	v_cndmask_b32_e32 v110, 3, v110, vcc_lo
	v_and_b32_e32 v111, 0xfc, v111
	v_and_b32_e32 v120, 3, v110
	v_or_b32_e32 v108, v108, v110
	v_or3_b32 v109, v111, v109, v120
	v_cmp_ne_u32_e32 vcc_lo, 0, v108
	v_cndmask_b32_e32 v108, 0, v109, vcc_lo
.LBB4_4272:                             ;   in Loop: Header=BB4_3733 Depth=3
	s_or_b32 exec_lo, exec_lo, s22
.LBB4_4273:                             ;   in Loop: Header=BB4_3733 Depth=3
	s_or_b32 exec_lo, exec_lo, s19
	v_cmp_gt_i16_sdwa s19, v14, v115 src0_sel:BYTE_3 src1_sel:DWORD
	s_mov_b32 s16, 0
	s_and_saveexec_b32 s22, s19
	s_xor_b32 s19, exec_lo, s22
	s_cbranch_execz .LBB4_4479
; %bb.4274:                             ;   in Loop: Header=BB4_3733 Depth=3
	v_cmp_eq_u16_sdwa s23, v14, v116 src0_sel:BYTE_3 src1_sel:DWORD
	s_mov_b32 s16, -1
	s_and_saveexec_b32 s22, s23
; %bb.4275:                             ;   in Loop: Header=BB4_3733 Depth=3
	s_xor_b32 s16, exec_lo, -1
; %bb.4276:                             ;   in Loop: Header=BB4_3733 Depth=3
	s_or_b32 exec_lo, exec_lo, s22
	s_and_b32 s16, s16, exec_lo
	s_or_saveexec_b32 s19, s19
	v_mov_b32_e32 v109, 0x7f800001
	s_xor_b32 exec_lo, exec_lo, s19
	s_cbranch_execnz .LBB4_4480
.LBB4_4277:                             ;   in Loop: Header=BB4_3733 Depth=3
	s_or_b32 exec_lo, exec_lo, s19
	s_and_saveexec_b32 s19, s16
	s_cbranch_execz .LBB4_4279
.LBB4_4278:                             ;   in Loop: Header=BB4_3733 Depth=3
	v_bfe_u32 v109, v14, 24, 2
	v_bfe_u32 v120, v14, 26, 5
	v_ffbh_u32_e32 v110, v109
	v_cmp_eq_u32_e32 vcc_lo, 0, v120
	v_min_u32_e32 v110, 32, v110
	v_subrev_nc_u32_e32 v111, 29, v110
	v_sub_nc_u32_e32 v110, 30, v110
	v_lshlrev_b32_sdwa v111, v111, v14 dst_sel:DWORD dst_unused:UNUSED_PAD src0_sel:DWORD src1_sel:BYTE_3
	v_cndmask_b32_e32 v110, v120, v110, vcc_lo
	v_and_b32_e32 v14, 0x80000000, v14
	v_and_b32_e32 v111, 3, v111
	v_lshl_add_u32 v110, v110, 23, 0x37800000
	v_cndmask_b32_e32 v109, v109, v111, vcc_lo
	v_lshlrev_b32_e32 v109, 21, v109
	v_or3_b32 v109, v14, v110, v109
.LBB4_4279:                             ;   in Loop: Header=BB4_3733 Depth=3
	s_or_b32 exec_lo, exec_lo, s19
	v_cmp_gt_i16_sdwa s19, v10, v115 src0_sel:BYTE_3 src1_sel:DWORD
	s_mov_b32 s16, 0
	s_and_saveexec_b32 s22, s19
	s_xor_b32 s19, exec_lo, s22
	s_cbranch_execz .LBB4_4481
; %bb.4280:                             ;   in Loop: Header=BB4_3733 Depth=3
	v_cmp_eq_u16_sdwa s23, v10, v116 src0_sel:BYTE_3 src1_sel:DWORD
	s_mov_b32 s16, -1
	s_and_saveexec_b32 s22, s23
; %bb.4281:                             ;   in Loop: Header=BB4_3733 Depth=3
	s_xor_b32 s16, exec_lo, -1
; %bb.4282:                             ;   in Loop: Header=BB4_3733 Depth=3
	s_or_b32 exec_lo, exec_lo, s22
	s_and_b32 s16, s16, exec_lo
	s_or_saveexec_b32 s19, s19
	v_mov_b32_e32 v14, 0x7f800001
	s_xor_b32 exec_lo, exec_lo, s19
	s_cbranch_execnz .LBB4_4482
.LBB4_4283:                             ;   in Loop: Header=BB4_3733 Depth=3
	s_or_b32 exec_lo, exec_lo, s19
	s_and_saveexec_b32 s19, s16
	s_cbranch_execz .LBB4_4285
.LBB4_4284:                             ;   in Loop: Header=BB4_3733 Depth=3
	v_bfe_u32 v14, v10, 24, 2
	v_bfe_u32 v120, v10, 26, 5
	v_ffbh_u32_e32 v110, v14
	v_cmp_eq_u32_e32 vcc_lo, 0, v120
	v_min_u32_e32 v110, 32, v110
	v_subrev_nc_u32_e32 v111, 29, v110
	v_sub_nc_u32_e32 v110, 30, v110
	v_lshlrev_b32_sdwa v111, v111, v10 dst_sel:DWORD dst_unused:UNUSED_PAD src0_sel:DWORD src1_sel:BYTE_3
	v_cndmask_b32_e32 v110, v120, v110, vcc_lo
	v_and_b32_e32 v10, 0x80000000, v10
	v_and_b32_e32 v111, 3, v111
	v_lshl_add_u32 v110, v110, 23, 0x37800000
	v_cndmask_b32_e32 v14, v14, v111, vcc_lo
	v_lshlrev_b32_e32 v14, 21, v14
	v_or3_b32 v14, v10, v110, v14
.LBB4_4285:                             ;   in Loop: Header=BB4_3733 Depth=3
	s_or_b32 exec_lo, exec_lo, s19
	v_mul_f32_e32 v14, v109, v14
	v_and_b32_e32 v10, 0x7f800000, v14
	v_cmp_ne_u32_e32 vcc_lo, 0x7f800000, v10
	v_mov_b32_e32 v10, 0x8000
	s_and_saveexec_b32 s19, vcc_lo
	s_cbranch_execz .LBB4_4293
; %bb.4286:                             ;   in Loop: Header=BB4_3733 Depth=3
	v_mov_b32_e32 v10, 0
	s_mov_b32 s22, exec_lo
	v_cmpx_ne_u32_e32 0, v14
	s_cbranch_execz .LBB4_4292
; %bb.4287:                             ;   in Loop: Header=BB4_3733 Depth=3
	v_bfe_u32 v10, v14, 23, 8
	v_and_b32_e32 v109, 0x7fffff, v14
	v_sub_nc_u32_e32 v110, 0x70, v10
	v_cmp_gt_u32_e32 vcc_lo, 0x71, v10
	v_or_b32_e32 v111, 0x800000, v109
	v_cndmask_b32_e32 v110, 0, v110, vcc_lo
	v_cmp_eq_u32_e32 vcc_lo, 0, v10
	v_add_nc_u32_e32 v10, 0xffffff91, v10
	v_cndmask_b32_e64 v110, v110, 0x6f, vcc_lo
	v_cndmask_b32_e32 v109, v111, v109, vcc_lo
	v_cndmask_b32_e64 v10, v10, 0xffffff92, vcc_lo
	v_lshl_add_u32 v111, 0x200000, v110, -1
	v_lshrrev_b32_e32 v120, v110, v109
	v_lshlrev_b32_e64 v122, v110, 0x100000
	v_add_nc_u32_e32 v110, v110, v10
	v_and_b32_e32 v109, v111, v109
	v_bfe_u32 v121, v120, 21, 1
	v_cmp_eq_u32_e64 s16, v109, v122
	v_add_nc_u32_e32 v111, -1, v121
	v_cndmask_b32_e64 v109, 0, v111, s16
	v_lshrrev_b32_e32 v111, 23, v120
	s_mov_b32 s16, exec_lo
	v_add_nc_u32_e32 v109, v109, v120
	v_xor_b32_e32 v111, 1, v111
	v_and_b32_e32 v10, 0x1fffff, v109
	v_add_nc_u32_e32 v109, v10, v120
                                        ; implicit-def: $vgpr10
	v_cmpx_ne_u32_e64 v110, v111
	s_xor_b32 s16, exec_lo, s16
; %bb.4288:                             ;   in Loop: Header=BB4_3733 Depth=3
	v_cmp_lt_u32_e32 vcc_lo, 0xffffff, v109
	v_sub_nc_u32_e32 v10, v110, v111
	v_cndmask_b32_e64 v110, 0, 1, vcc_lo
	v_add_co_ci_u32_e64 v10, null, 0, v10, vcc_lo
	v_lshrrev_b32_e32 v109, v110, v109
; %bb.4289:                             ;   in Loop: Header=BB4_3733 Depth=3
	s_andn2_saveexec_b32 s16, s16
; %bb.4290:                             ;   in Loop: Header=BB4_3733 Depth=3
	v_bfe_u32 v10, v109, 23, 1
; %bb.4291:                             ;   in Loop: Header=BB4_3733 Depth=3
	s_or_b32 exec_lo, exec_lo, s16
	v_lshrrev_b32_e32 v109, 21, v109
	v_min_i32_e32 v110, 31, v10
	v_cmp_gt_i32_e32 vcc_lo, 32, v10
	v_and_b32_sdwa v14, v14, v116 dst_sel:DWORD dst_unused:UNUSED_PAD src0_sel:BYTE_3 src1_sel:DWORD
	v_lshlrev_b32_e32 v110, 2, v110
	v_cndmask_b32_e32 v109, 3, v109, vcc_lo
	v_and_b32_e32 v110, 0xfc, v110
	v_and_b32_e32 v111, 3, v109
	v_or_b32_e32 v10, v10, v109
	v_or3_b32 v14, v14, v110, v111
	v_cmp_ne_u32_e32 vcc_lo, 0, v10
	v_lshlrev_b32_e32 v14, 8, v14
	v_cndmask_b32_e32 v10, 0, v14, vcc_lo
.LBB4_4292:                             ;   in Loop: Header=BB4_3733 Depth=3
	s_or_b32 exec_lo, exec_lo, s22
.LBB4_4293:                             ;   in Loop: Header=BB4_3733 Depth=3
	s_or_b32 exec_lo, exec_lo, s19
	v_cmp_gt_i16_sdwa s19, v15, v115 src0_sel:BYTE_0 src1_sel:DWORD
	s_mov_b32 s16, 0
	s_and_saveexec_b32 s22, s19
	s_xor_b32 s19, exec_lo, s22
	s_cbranch_execz .LBB4_4483
; %bb.4294:                             ;   in Loop: Header=BB4_3733 Depth=3
	v_cmp_eq_u16_sdwa s23, v15, v116 src0_sel:BYTE_0 src1_sel:DWORD
	s_mov_b32 s16, -1
	s_and_saveexec_b32 s22, s23
; %bb.4295:                             ;   in Loop: Header=BB4_3733 Depth=3
	s_xor_b32 s16, exec_lo, -1
; %bb.4296:                             ;   in Loop: Header=BB4_3733 Depth=3
	s_or_b32 exec_lo, exec_lo, s22
	s_and_b32 s16, s16, exec_lo
	s_or_saveexec_b32 s19, s19
	v_mov_b32_e32 v14, 0x7f800001
	s_xor_b32 exec_lo, exec_lo, s19
	s_cbranch_execnz .LBB4_4484
.LBB4_4297:                             ;   in Loop: Header=BB4_3733 Depth=3
	s_or_b32 exec_lo, exec_lo, s19
	s_and_saveexec_b32 s19, s16
	s_cbranch_execz .LBB4_4299
.LBB4_4298:                             ;   in Loop: Header=BB4_3733 Depth=3
	v_and_b32_e32 v14, 3, v15
	v_bfe_u32 v111, v15, 2, 5
	v_lshlrev_b32_e32 v120, 24, v15
	v_ffbh_u32_e32 v109, v14
	v_cmp_eq_u32_e32 vcc_lo, 0, v111
	v_min_u32_e32 v109, 32, v109
	v_subrev_nc_u32_e32 v110, 29, v109
	v_sub_nc_u32_e32 v109, 30, v109
	v_lshlrev_b32_e32 v110, v110, v15
	v_cndmask_b32_e32 v109, v111, v109, vcc_lo
	v_and_b32_e32 v110, 3, v110
	v_lshl_add_u32 v109, v109, 23, 0x37800000
	v_cndmask_b32_e32 v14, v14, v110, vcc_lo
	v_and_b32_e32 v110, 0x80000000, v120
	v_lshlrev_b32_e32 v14, 21, v14
	v_or3_b32 v14, v110, v109, v14
.LBB4_4299:                             ;   in Loop: Header=BB4_3733 Depth=3
	s_or_b32 exec_lo, exec_lo, s19
	v_cmp_gt_i16_sdwa s19, v11, v115 src0_sel:BYTE_0 src1_sel:DWORD
	s_mov_b32 s16, 0
	s_and_saveexec_b32 s22, s19
	s_xor_b32 s19, exec_lo, s22
	s_cbranch_execz .LBB4_4485
; %bb.4300:                             ;   in Loop: Header=BB4_3733 Depth=3
	v_cmp_eq_u16_sdwa s23, v11, v116 src0_sel:BYTE_0 src1_sel:DWORD
	s_mov_b32 s16, -1
	s_and_saveexec_b32 s22, s23
; %bb.4301:                             ;   in Loop: Header=BB4_3733 Depth=3
	s_xor_b32 s16, exec_lo, -1
; %bb.4302:                             ;   in Loop: Header=BB4_3733 Depth=3
	s_or_b32 exec_lo, exec_lo, s22
	s_and_b32 s16, s16, exec_lo
	s_or_saveexec_b32 s19, s19
	v_mov_b32_e32 v109, 0x7f800001
	s_xor_b32 exec_lo, exec_lo, s19
	s_cbranch_execnz .LBB4_4486
.LBB4_4303:                             ;   in Loop: Header=BB4_3733 Depth=3
	s_or_b32 exec_lo, exec_lo, s19
	s_and_saveexec_b32 s19, s16
	s_cbranch_execz .LBB4_4305
.LBB4_4304:                             ;   in Loop: Header=BB4_3733 Depth=3
	v_and_b32_e32 v109, 3, v11
	v_bfe_u32 v120, v11, 2, 5
	v_lshlrev_b32_e32 v121, 24, v11
	v_ffbh_u32_e32 v110, v109
	v_cmp_eq_u32_e32 vcc_lo, 0, v120
	v_min_u32_e32 v110, 32, v110
	v_subrev_nc_u32_e32 v111, 29, v110
	v_sub_nc_u32_e32 v110, 30, v110
	v_lshlrev_b32_e32 v111, v111, v11
	v_cndmask_b32_e32 v110, v120, v110, vcc_lo
	v_and_b32_e32 v111, 3, v111
	v_lshl_add_u32 v110, v110, 23, 0x37800000
	v_cndmask_b32_e32 v109, v109, v111, vcc_lo
	v_and_b32_e32 v111, 0x80000000, v121
	v_lshlrev_b32_e32 v109, 21, v109
	v_or3_b32 v109, v111, v110, v109
.LBB4_4305:                             ;   in Loop: Header=BB4_3733 Depth=3
	s_or_b32 exec_lo, exec_lo, s19
	v_mul_f32_e32 v109, v14, v109
	v_and_b32_e32 v14, 0x7f800000, v109
	v_cmp_ne_u32_e32 vcc_lo, 0x7f800000, v14
	v_mov_b32_e32 v14, 0x80
	s_and_saveexec_b32 s19, vcc_lo
	s_cbranch_execz .LBB4_4313
; %bb.4306:                             ;   in Loop: Header=BB4_3733 Depth=3
	v_mov_b32_e32 v14, 0
	s_mov_b32 s22, exec_lo
	v_cmpx_ne_u32_e32 0, v109
	s_cbranch_execz .LBB4_4312
; %bb.4307:                             ;   in Loop: Header=BB4_3733 Depth=3
	v_bfe_u32 v14, v109, 23, 8
	v_and_b32_e32 v110, 0x7fffff, v109
	v_sub_nc_u32_e32 v111, 0x70, v14
	v_cmp_gt_u32_e32 vcc_lo, 0x71, v14
	v_or_b32_e32 v120, 0x800000, v110
	v_cndmask_b32_e32 v111, 0, v111, vcc_lo
	v_cmp_eq_u32_e32 vcc_lo, 0, v14
	v_add_nc_u32_e32 v14, 0xffffff91, v14
	v_cndmask_b32_e64 v111, v111, 0x6f, vcc_lo
	v_cndmask_b32_e32 v110, v120, v110, vcc_lo
	v_cndmask_b32_e64 v14, v14, 0xffffff92, vcc_lo
	v_lshl_add_u32 v120, 0x200000, v111, -1
	v_lshrrev_b32_e32 v121, v111, v110
	v_lshlrev_b32_e64 v123, v111, 0x100000
	v_add_nc_u32_e32 v111, v111, v14
	v_and_b32_e32 v110, v120, v110
	v_bfe_u32 v122, v121, 21, 1
	v_cmp_eq_u32_e64 s16, v110, v123
	v_add_nc_u32_e32 v120, -1, v122
	v_cndmask_b32_e64 v110, 0, v120, s16
	v_lshrrev_b32_e32 v120, 23, v121
	s_mov_b32 s16, exec_lo
	v_add_nc_u32_e32 v110, v110, v121
	v_xor_b32_e32 v120, 1, v120
	v_and_b32_e32 v14, 0x1fffff, v110
	v_add_nc_u32_e32 v110, v14, v121
                                        ; implicit-def: $vgpr14
	v_cmpx_ne_u32_e64 v111, v120
	s_xor_b32 s16, exec_lo, s16
; %bb.4308:                             ;   in Loop: Header=BB4_3733 Depth=3
	v_cmp_lt_u32_e32 vcc_lo, 0xffffff, v110
	v_sub_nc_u32_e32 v14, v111, v120
	v_cndmask_b32_e64 v111, 0, 1, vcc_lo
	v_add_co_ci_u32_e64 v14, null, 0, v14, vcc_lo
	v_lshrrev_b32_e32 v110, v111, v110
; %bb.4309:                             ;   in Loop: Header=BB4_3733 Depth=3
	s_andn2_saveexec_b32 s16, s16
; %bb.4310:                             ;   in Loop: Header=BB4_3733 Depth=3
	v_bfe_u32 v14, v110, 23, 1
; %bb.4311:                             ;   in Loop: Header=BB4_3733 Depth=3
	s_or_b32 exec_lo, exec_lo, s16
	v_lshrrev_b32_e32 v110, 21, v110
	v_min_i32_e32 v111, 31, v14
	v_cmp_gt_i32_e32 vcc_lo, 32, v14
	v_and_b32_sdwa v109, v109, v116 dst_sel:DWORD dst_unused:UNUSED_PAD src0_sel:BYTE_3 src1_sel:DWORD
	v_lshlrev_b32_e32 v111, 2, v111
	v_cndmask_b32_e32 v110, 3, v110, vcc_lo
	v_and_b32_e32 v111, 0xfc, v111
	v_and_b32_e32 v120, 3, v110
	v_or_b32_e32 v14, v14, v110
	v_or3_b32 v109, v111, v109, v120
	v_cmp_ne_u32_e32 vcc_lo, 0, v14
	v_cndmask_b32_e32 v14, 0, v109, vcc_lo
.LBB4_4312:                             ;   in Loop: Header=BB4_3733 Depth=3
	s_or_b32 exec_lo, exec_lo, s22
.LBB4_4313:                             ;   in Loop: Header=BB4_3733 Depth=3
	s_or_b32 exec_lo, exec_lo, s19
	v_cmp_gt_i16_sdwa s19, v15, v115 src0_sel:BYTE_1 src1_sel:DWORD
	s_mov_b32 s16, 0
	s_and_saveexec_b32 s22, s19
	s_xor_b32 s19, exec_lo, s22
	s_cbranch_execz .LBB4_4487
; %bb.4314:                             ;   in Loop: Header=BB4_3733 Depth=3
	v_cmp_eq_u16_sdwa s23, v15, v116 src0_sel:BYTE_1 src1_sel:DWORD
	s_mov_b32 s16, -1
	s_and_saveexec_b32 s22, s23
; %bb.4315:                             ;   in Loop: Header=BB4_3733 Depth=3
	s_xor_b32 s16, exec_lo, -1
; %bb.4316:                             ;   in Loop: Header=BB4_3733 Depth=3
	s_or_b32 exec_lo, exec_lo, s22
	s_and_b32 s16, s16, exec_lo
	s_or_saveexec_b32 s19, s19
	v_mov_b32_e32 v109, 0x7f800001
	s_xor_b32 exec_lo, exec_lo, s19
	s_cbranch_execnz .LBB4_4488
.LBB4_4317:                             ;   in Loop: Header=BB4_3733 Depth=3
	s_or_b32 exec_lo, exec_lo, s19
	s_and_saveexec_b32 s19, s16
	s_cbranch_execz .LBB4_4319
.LBB4_4318:                             ;   in Loop: Header=BB4_3733 Depth=3
	v_and_b32_sdwa v109, v117, v15 dst_sel:DWORD dst_unused:UNUSED_PAD src0_sel:DWORD src1_sel:BYTE_1
	v_and_b32_e32 v110, 3, v109
	v_bfe_u32 v121, v109, 2, 5
	v_ffbh_u32_e32 v111, v110
	v_cmp_eq_u32_e32 vcc_lo, 0, v121
	v_min_u32_e32 v111, 32, v111
	v_subrev_nc_u32_e32 v120, 29, v111
	v_sub_nc_u32_e32 v111, 30, v111
	v_lshlrev_b32_e32 v109, v120, v109
	v_lshlrev_b32_sdwa v120, v118, v15 dst_sel:DWORD dst_unused:UNUSED_PAD src0_sel:DWORD src1_sel:BYTE_1
	v_cndmask_b32_e32 v111, v121, v111, vcc_lo
	v_and_b32_e32 v109, 3, v109
	v_lshl_add_u32 v111, v111, 23, 0x37800000
	v_cndmask_b32_e32 v109, v110, v109, vcc_lo
	v_and_b32_e32 v110, 0x80000000, v120
	v_lshlrev_b32_e32 v109, 21, v109
	v_or3_b32 v109, v110, v111, v109
.LBB4_4319:                             ;   in Loop: Header=BB4_3733 Depth=3
	s_or_b32 exec_lo, exec_lo, s19
	v_cmp_gt_i16_sdwa s19, v11, v115 src0_sel:BYTE_1 src1_sel:DWORD
	s_mov_b32 s16, 0
	s_and_saveexec_b32 s22, s19
	s_xor_b32 s19, exec_lo, s22
	s_cbranch_execz .LBB4_4489
; %bb.4320:                             ;   in Loop: Header=BB4_3733 Depth=3
	v_cmp_eq_u16_sdwa s23, v11, v116 src0_sel:BYTE_1 src1_sel:DWORD
	s_mov_b32 s16, -1
	s_and_saveexec_b32 s22, s23
; %bb.4321:                             ;   in Loop: Header=BB4_3733 Depth=3
	s_xor_b32 s16, exec_lo, -1
; %bb.4322:                             ;   in Loop: Header=BB4_3733 Depth=3
	s_or_b32 exec_lo, exec_lo, s22
	s_and_b32 s16, s16, exec_lo
	s_or_saveexec_b32 s19, s19
	v_mov_b32_e32 v110, 0x7f800001
	s_xor_b32 exec_lo, exec_lo, s19
	s_cbranch_execnz .LBB4_4490
.LBB4_4323:                             ;   in Loop: Header=BB4_3733 Depth=3
	s_or_b32 exec_lo, exec_lo, s19
	s_and_saveexec_b32 s19, s16
	s_cbranch_execz .LBB4_4325
.LBB4_4324:                             ;   in Loop: Header=BB4_3733 Depth=3
	v_and_b32_sdwa v110, v117, v11 dst_sel:DWORD dst_unused:UNUSED_PAD src0_sel:DWORD src1_sel:BYTE_1
	v_and_b32_e32 v111, 3, v110
	v_bfe_u32 v122, v110, 2, 5
	v_ffbh_u32_e32 v120, v111
	v_cmp_eq_u32_e32 vcc_lo, 0, v122
	v_min_u32_e32 v120, 32, v120
	v_subrev_nc_u32_e32 v121, 29, v120
	v_sub_nc_u32_e32 v120, 30, v120
	v_lshlrev_b32_e32 v110, v121, v110
	v_lshlrev_b32_sdwa v121, v118, v11 dst_sel:DWORD dst_unused:UNUSED_PAD src0_sel:DWORD src1_sel:BYTE_1
	v_cndmask_b32_e32 v120, v122, v120, vcc_lo
	v_and_b32_e32 v110, 3, v110
	v_lshl_add_u32 v120, v120, 23, 0x37800000
	v_cndmask_b32_e32 v110, v111, v110, vcc_lo
	v_and_b32_e32 v111, 0x80000000, v121
	v_lshlrev_b32_e32 v110, 21, v110
	v_or3_b32 v110, v111, v120, v110
.LBB4_4325:                             ;   in Loop: Header=BB4_3733 Depth=3
	s_or_b32 exec_lo, exec_lo, s19
	v_mul_f32_e32 v110, v109, v110
	v_and_b32_e32 v109, 0x7f800000, v110
	v_cmp_ne_u32_e32 vcc_lo, 0x7f800000, v109
	v_mov_b32_e32 v109, 0x8000
	s_and_saveexec_b32 s19, vcc_lo
	s_cbranch_execz .LBB4_4333
; %bb.4326:                             ;   in Loop: Header=BB4_3733 Depth=3
	v_mov_b32_e32 v109, 0
	s_mov_b32 s22, exec_lo
	v_cmpx_ne_u32_e32 0, v110
	s_cbranch_execz .LBB4_4332
; %bb.4327:                             ;   in Loop: Header=BB4_3733 Depth=3
	v_bfe_u32 v109, v110, 23, 8
	v_and_b32_e32 v111, 0x7fffff, v110
	v_sub_nc_u32_e32 v120, 0x70, v109
	v_cmp_gt_u32_e32 vcc_lo, 0x71, v109
	v_or_b32_e32 v121, 0x800000, v111
	v_cndmask_b32_e32 v120, 0, v120, vcc_lo
	v_cmp_eq_u32_e32 vcc_lo, 0, v109
	v_add_nc_u32_e32 v109, 0xffffff91, v109
	v_cndmask_b32_e64 v120, v120, 0x6f, vcc_lo
	v_cndmask_b32_e32 v111, v121, v111, vcc_lo
	v_cndmask_b32_e64 v109, v109, 0xffffff92, vcc_lo
	v_lshl_add_u32 v121, 0x200000, v120, -1
	v_lshrrev_b32_e32 v122, v120, v111
	v_lshlrev_b32_e64 v124, v120, 0x100000
	v_add_nc_u32_e32 v120, v120, v109
	v_and_b32_e32 v111, v121, v111
	v_bfe_u32 v123, v122, 21, 1
	v_cmp_eq_u32_e64 s16, v111, v124
	v_add_nc_u32_e32 v121, -1, v123
	v_cndmask_b32_e64 v111, 0, v121, s16
	v_lshrrev_b32_e32 v121, 23, v122
	s_mov_b32 s16, exec_lo
	v_add_nc_u32_e32 v111, v111, v122
	v_xor_b32_e32 v121, 1, v121
	v_and_b32_e32 v109, 0x1fffff, v111
	v_add_nc_u32_e32 v111, v109, v122
                                        ; implicit-def: $vgpr109
	v_cmpx_ne_u32_e64 v120, v121
	s_xor_b32 s16, exec_lo, s16
; %bb.4328:                             ;   in Loop: Header=BB4_3733 Depth=3
	v_cmp_lt_u32_e32 vcc_lo, 0xffffff, v111
	v_sub_nc_u32_e32 v109, v120, v121
	v_cndmask_b32_e64 v120, 0, 1, vcc_lo
	v_add_co_ci_u32_e64 v109, null, 0, v109, vcc_lo
	v_lshrrev_b32_e32 v111, v120, v111
; %bb.4329:                             ;   in Loop: Header=BB4_3733 Depth=3
	s_andn2_saveexec_b32 s16, s16
; %bb.4330:                             ;   in Loop: Header=BB4_3733 Depth=3
	v_bfe_u32 v109, v111, 23, 1
; %bb.4331:                             ;   in Loop: Header=BB4_3733 Depth=3
	s_or_b32 exec_lo, exec_lo, s16
	v_lshrrev_b32_e32 v111, 21, v111
	v_min_i32_e32 v120, 31, v109
	v_cmp_gt_i32_e32 vcc_lo, 32, v109
	v_and_b32_sdwa v110, v110, v116 dst_sel:DWORD dst_unused:UNUSED_PAD src0_sel:BYTE_3 src1_sel:DWORD
	v_lshlrev_b32_e32 v120, 2, v120
	v_cndmask_b32_e32 v111, 3, v111, vcc_lo
	v_and_b32_e32 v120, 0xfc, v120
	v_and_b32_e32 v121, 3, v111
	v_or_b32_e32 v109, v109, v111
	v_or3_b32 v110, v110, v120, v121
	v_cmp_ne_u32_e32 vcc_lo, 0, v109
	v_lshlrev_b32_e32 v110, 8, v110
	v_cndmask_b32_e32 v109, 0, v110, vcc_lo
.LBB4_4332:                             ;   in Loop: Header=BB4_3733 Depth=3
	s_or_b32 exec_lo, exec_lo, s22
.LBB4_4333:                             ;   in Loop: Header=BB4_3733 Depth=3
	s_or_b32 exec_lo, exec_lo, s19
	v_and_b32_sdwa v111, v15, v119 dst_sel:DWORD dst_unused:UNUSED_PAD src0_sel:WORD_1 src1_sel:DWORD
	s_mov_b32 s16, 0
	s_mov_b32 s19, exec_lo
	v_cmpx_lt_i16_e32 0x7f, v111
	s_xor_b32 s19, exec_lo, s19
	s_cbranch_execz .LBB4_4491
; %bb.4334:                             ;   in Loop: Header=BB4_3733 Depth=3
	s_mov_b32 s16, -1
	s_mov_b32 s22, exec_lo
	v_cmpx_eq_u16_e32 0x80, v111
; %bb.4335:                             ;   in Loop: Header=BB4_3733 Depth=3
	s_xor_b32 s16, exec_lo, -1
; %bb.4336:                             ;   in Loop: Header=BB4_3733 Depth=3
	s_or_b32 exec_lo, exec_lo, s22
	s_and_b32 s16, s16, exec_lo
                                        ; implicit-def: $vgpr111
	s_or_saveexec_b32 s19, s19
	v_mov_b32_e32 v110, 0x7f800001
	s_xor_b32 exec_lo, exec_lo, s19
	s_cbranch_execnz .LBB4_4492
.LBB4_4337:                             ;   in Loop: Header=BB4_3733 Depth=3
	s_or_b32 exec_lo, exec_lo, s19
	s_and_saveexec_b32 s19, s16
	s_cbranch_execz .LBB4_4339
.LBB4_4338:                             ;   in Loop: Header=BB4_3733 Depth=3
	v_bfe_u32 v110, v15, 16, 2
	v_bfe_u32 v121, v15, 18, 5
	v_lshlrev_b32_e32 v122, 8, v15
	v_ffbh_u32_e32 v111, v110
	v_cmp_eq_u32_e32 vcc_lo, 0, v121
	v_min_u32_e32 v111, 32, v111
	v_subrev_nc_u32_e32 v120, 29, v111
	v_sub_nc_u32_e32 v111, 30, v111
	v_lshlrev_b32_sdwa v120, v120, v15 dst_sel:DWORD dst_unused:UNUSED_PAD src0_sel:DWORD src1_sel:WORD_1
	v_cndmask_b32_e32 v111, v121, v111, vcc_lo
	v_and_b32_e32 v120, 3, v120
	v_lshl_add_u32 v111, v111, 23, 0x37800000
	v_cndmask_b32_e32 v110, v110, v120, vcc_lo
	v_and_b32_e32 v120, 0x80000000, v122
	v_lshlrev_b32_e32 v110, 21, v110
	v_or3_b32 v110, v120, v111, v110
.LBB4_4339:                             ;   in Loop: Header=BB4_3733 Depth=3
	s_or_b32 exec_lo, exec_lo, s19
	v_and_b32_sdwa v120, v11, v119 dst_sel:DWORD dst_unused:UNUSED_PAD src0_sel:WORD_1 src1_sel:DWORD
	s_mov_b32 s16, 0
	s_mov_b32 s19, exec_lo
	v_cmpx_lt_i16_e32 0x7f, v120
	s_xor_b32 s19, exec_lo, s19
	s_cbranch_execz .LBB4_4493
; %bb.4340:                             ;   in Loop: Header=BB4_3733 Depth=3
	s_mov_b32 s16, -1
	s_mov_b32 s22, exec_lo
	v_cmpx_eq_u16_e32 0x80, v120
; %bb.4341:                             ;   in Loop: Header=BB4_3733 Depth=3
	s_xor_b32 s16, exec_lo, -1
; %bb.4342:                             ;   in Loop: Header=BB4_3733 Depth=3
	s_or_b32 exec_lo, exec_lo, s22
	s_and_b32 s16, s16, exec_lo
                                        ; implicit-def: $vgpr120
	s_or_saveexec_b32 s19, s19
	v_mov_b32_e32 v111, 0x7f800001
	s_xor_b32 exec_lo, exec_lo, s19
	s_cbranch_execnz .LBB4_4494
.LBB4_4343:                             ;   in Loop: Header=BB4_3733 Depth=3
	s_or_b32 exec_lo, exec_lo, s19
	s_and_saveexec_b32 s19, s16
	s_cbranch_execz .LBB4_4345
.LBB4_4344:                             ;   in Loop: Header=BB4_3733 Depth=3
	v_bfe_u32 v111, v11, 16, 2
	v_bfe_u32 v122, v11, 18, 5
	v_lshlrev_b32_e32 v123, 8, v11
	v_ffbh_u32_e32 v120, v111
	v_cmp_eq_u32_e32 vcc_lo, 0, v122
	v_min_u32_e32 v120, 32, v120
	v_subrev_nc_u32_e32 v121, 29, v120
	v_sub_nc_u32_e32 v120, 30, v120
	v_lshlrev_b32_sdwa v121, v121, v11 dst_sel:DWORD dst_unused:UNUSED_PAD src0_sel:DWORD src1_sel:WORD_1
	v_cndmask_b32_e32 v120, v122, v120, vcc_lo
	v_and_b32_e32 v121, 3, v121
	v_lshl_add_u32 v120, v120, 23, 0x37800000
	v_cndmask_b32_e32 v111, v111, v121, vcc_lo
	v_and_b32_e32 v121, 0x80000000, v123
	v_lshlrev_b32_e32 v111, 21, v111
	v_or3_b32 v111, v121, v120, v111
.LBB4_4345:                             ;   in Loop: Header=BB4_3733 Depth=3
	s_or_b32 exec_lo, exec_lo, s19
	v_mul_f32_e32 v111, v110, v111
	v_and_b32_e32 v110, 0x7f800000, v111
	v_cmp_ne_u32_e32 vcc_lo, 0x7f800000, v110
	v_mov_b32_e32 v110, 0x80
	s_and_saveexec_b32 s19, vcc_lo
	s_cbranch_execz .LBB4_4353
; %bb.4346:                             ;   in Loop: Header=BB4_3733 Depth=3
	v_mov_b32_e32 v110, 0
	s_mov_b32 s22, exec_lo
	v_cmpx_ne_u32_e32 0, v111
	s_cbranch_execz .LBB4_4352
; %bb.4347:                             ;   in Loop: Header=BB4_3733 Depth=3
	v_bfe_u32 v110, v111, 23, 8
	v_and_b32_e32 v120, 0x7fffff, v111
	v_sub_nc_u32_e32 v121, 0x70, v110
	v_cmp_gt_u32_e32 vcc_lo, 0x71, v110
	v_or_b32_e32 v122, 0x800000, v120
	v_cndmask_b32_e32 v121, 0, v121, vcc_lo
	v_cmp_eq_u32_e32 vcc_lo, 0, v110
	v_add_nc_u32_e32 v110, 0xffffff91, v110
	v_cndmask_b32_e64 v121, v121, 0x6f, vcc_lo
	v_cndmask_b32_e32 v120, v122, v120, vcc_lo
	v_cndmask_b32_e64 v110, v110, 0xffffff92, vcc_lo
	v_lshl_add_u32 v122, 0x200000, v121, -1
	v_lshrrev_b32_e32 v123, v121, v120
	v_lshlrev_b32_e64 v125, v121, 0x100000
	v_add_nc_u32_e32 v121, v121, v110
	v_and_b32_e32 v120, v122, v120
	v_bfe_u32 v124, v123, 21, 1
	v_cmp_eq_u32_e64 s16, v120, v125
	v_add_nc_u32_e32 v122, -1, v124
	v_cndmask_b32_e64 v120, 0, v122, s16
	v_lshrrev_b32_e32 v122, 23, v123
	s_mov_b32 s16, exec_lo
	v_add_nc_u32_e32 v120, v120, v123
	v_xor_b32_e32 v122, 1, v122
	v_and_b32_e32 v110, 0x1fffff, v120
	v_add_nc_u32_e32 v120, v110, v123
                                        ; implicit-def: $vgpr110
	v_cmpx_ne_u32_e64 v121, v122
	s_xor_b32 s16, exec_lo, s16
; %bb.4348:                             ;   in Loop: Header=BB4_3733 Depth=3
	v_cmp_lt_u32_e32 vcc_lo, 0xffffff, v120
	v_sub_nc_u32_e32 v110, v121, v122
	v_cndmask_b32_e64 v121, 0, 1, vcc_lo
	v_add_co_ci_u32_e64 v110, null, 0, v110, vcc_lo
	v_lshrrev_b32_e32 v120, v121, v120
; %bb.4349:                             ;   in Loop: Header=BB4_3733 Depth=3
	s_andn2_saveexec_b32 s16, s16
; %bb.4350:                             ;   in Loop: Header=BB4_3733 Depth=3
	v_bfe_u32 v110, v120, 23, 1
; %bb.4351:                             ;   in Loop: Header=BB4_3733 Depth=3
	s_or_b32 exec_lo, exec_lo, s16
	v_lshrrev_b32_e32 v120, 21, v120
	v_min_i32_e32 v121, 31, v110
	v_cmp_gt_i32_e32 vcc_lo, 32, v110
	v_and_b32_sdwa v111, v111, v116 dst_sel:DWORD dst_unused:UNUSED_PAD src0_sel:BYTE_3 src1_sel:DWORD
	v_lshlrev_b32_e32 v121, 2, v121
	v_cndmask_b32_e32 v120, 3, v120, vcc_lo
	v_and_b32_e32 v121, 0xfc, v121
	v_and_b32_e32 v122, 3, v120
	v_or_b32_e32 v110, v110, v120
	v_or3_b32 v111, v121, v111, v122
	v_cmp_ne_u32_e32 vcc_lo, 0, v110
	v_cndmask_b32_e32 v110, 0, v111, vcc_lo
.LBB4_4352:                             ;   in Loop: Header=BB4_3733 Depth=3
	s_or_b32 exec_lo, exec_lo, s22
.LBB4_4353:                             ;   in Loop: Header=BB4_3733 Depth=3
	s_or_b32 exec_lo, exec_lo, s19
	v_cmp_gt_i16_sdwa s19, v15, v115 src0_sel:BYTE_3 src1_sel:DWORD
	s_mov_b32 s16, 0
	s_and_saveexec_b32 s22, s19
	s_xor_b32 s19, exec_lo, s22
	s_cbranch_execz .LBB4_4495
; %bb.4354:                             ;   in Loop: Header=BB4_3733 Depth=3
	v_cmp_eq_u16_sdwa s23, v15, v116 src0_sel:BYTE_3 src1_sel:DWORD
	s_mov_b32 s16, -1
	s_and_saveexec_b32 s22, s23
; %bb.4355:                             ;   in Loop: Header=BB4_3733 Depth=3
	s_xor_b32 s16, exec_lo, -1
; %bb.4356:                             ;   in Loop: Header=BB4_3733 Depth=3
	s_or_b32 exec_lo, exec_lo, s22
	s_and_b32 s16, s16, exec_lo
	s_or_saveexec_b32 s19, s19
	v_mov_b32_e32 v111, 0x7f800001
	s_xor_b32 exec_lo, exec_lo, s19
	s_cbranch_execnz .LBB4_4496
.LBB4_4357:                             ;   in Loop: Header=BB4_3733 Depth=3
	s_or_b32 exec_lo, exec_lo, s19
	s_and_saveexec_b32 s19, s16
	s_cbranch_execz .LBB4_4359
.LBB4_4358:                             ;   in Loop: Header=BB4_3733 Depth=3
	v_bfe_u32 v111, v15, 24, 2
	v_bfe_u32 v122, v15, 26, 5
	v_ffbh_u32_e32 v120, v111
	v_cmp_eq_u32_e32 vcc_lo, 0, v122
	v_min_u32_e32 v120, 32, v120
	v_subrev_nc_u32_e32 v121, 29, v120
	v_sub_nc_u32_e32 v120, 30, v120
	v_lshlrev_b32_sdwa v121, v121, v15 dst_sel:DWORD dst_unused:UNUSED_PAD src0_sel:DWORD src1_sel:BYTE_3
	v_cndmask_b32_e32 v120, v122, v120, vcc_lo
	v_and_b32_e32 v15, 0x80000000, v15
	v_and_b32_e32 v121, 3, v121
	v_lshl_add_u32 v120, v120, 23, 0x37800000
	v_cndmask_b32_e32 v111, v111, v121, vcc_lo
	v_lshlrev_b32_e32 v111, 21, v111
	v_or3_b32 v111, v15, v120, v111
.LBB4_4359:                             ;   in Loop: Header=BB4_3733 Depth=3
	s_or_b32 exec_lo, exec_lo, s19
	v_cmp_gt_i16_sdwa s19, v11, v115 src0_sel:BYTE_3 src1_sel:DWORD
	s_mov_b32 s16, 0
	s_and_saveexec_b32 s22, s19
	s_xor_b32 s19, exec_lo, s22
	s_cbranch_execz .LBB4_4497
; %bb.4360:                             ;   in Loop: Header=BB4_3733 Depth=3
	v_cmp_eq_u16_sdwa s23, v11, v116 src0_sel:BYTE_3 src1_sel:DWORD
	s_mov_b32 s16, -1
	s_and_saveexec_b32 s22, s23
; %bb.4361:                             ;   in Loop: Header=BB4_3733 Depth=3
	s_xor_b32 s16, exec_lo, -1
; %bb.4362:                             ;   in Loop: Header=BB4_3733 Depth=3
	s_or_b32 exec_lo, exec_lo, s22
	s_and_b32 s16, s16, exec_lo
	s_or_saveexec_b32 s19, s19
	v_mov_b32_e32 v15, 0x7f800001
	s_xor_b32 exec_lo, exec_lo, s19
	s_cbranch_execnz .LBB4_4498
.LBB4_4363:                             ;   in Loop: Header=BB4_3733 Depth=3
	s_or_b32 exec_lo, exec_lo, s19
	s_and_saveexec_b32 s19, s16
	s_cbranch_execz .LBB4_4365
.LBB4_4364:                             ;   in Loop: Header=BB4_3733 Depth=3
	v_bfe_u32 v15, v11, 24, 2
	v_bfe_u32 v122, v11, 26, 5
	v_ffbh_u32_e32 v120, v15
	v_cmp_eq_u32_e32 vcc_lo, 0, v122
	v_min_u32_e32 v120, 32, v120
	v_subrev_nc_u32_e32 v121, 29, v120
	v_sub_nc_u32_e32 v120, 30, v120
	v_lshlrev_b32_sdwa v121, v121, v11 dst_sel:DWORD dst_unused:UNUSED_PAD src0_sel:DWORD src1_sel:BYTE_3
	v_cndmask_b32_e32 v120, v122, v120, vcc_lo
	v_and_b32_e32 v11, 0x80000000, v11
	v_and_b32_e32 v121, 3, v121
	v_lshl_add_u32 v120, v120, 23, 0x37800000
	v_cndmask_b32_e32 v15, v15, v121, vcc_lo
	v_lshlrev_b32_e32 v15, 21, v15
	v_or3_b32 v15, v11, v120, v15
.LBB4_4365:                             ;   in Loop: Header=BB4_3733 Depth=3
	s_or_b32 exec_lo, exec_lo, s19
	v_mul_f32_e32 v11, v111, v15
	v_and_b32_e32 v15, 0x7f800000, v11
	v_cmp_ne_u32_e32 vcc_lo, 0x7f800000, v15
	v_mov_b32_e32 v15, 0x8000
	s_and_saveexec_b32 s19, vcc_lo
	s_cbranch_execz .LBB4_3732
; %bb.4366:                             ;   in Loop: Header=BB4_3733 Depth=3
	v_mov_b32_e32 v15, 0
	s_mov_b32 s22, exec_lo
	v_cmpx_ne_u32_e32 0, v11
	s_cbranch_execz .LBB4_3731
; %bb.4367:                             ;   in Loop: Header=BB4_3733 Depth=3
	v_bfe_u32 v15, v11, 23, 8
	v_and_b32_e32 v111, 0x7fffff, v11
	v_sub_nc_u32_e32 v120, 0x70, v15
	v_cmp_gt_u32_e32 vcc_lo, 0x71, v15
	v_or_b32_e32 v121, 0x800000, v111
	v_cndmask_b32_e32 v120, 0, v120, vcc_lo
	v_cmp_eq_u32_e32 vcc_lo, 0, v15
	v_add_nc_u32_e32 v15, 0xffffff91, v15
	v_cndmask_b32_e64 v120, v120, 0x6f, vcc_lo
	v_cndmask_b32_e32 v111, v121, v111, vcc_lo
	v_cndmask_b32_e64 v15, v15, 0xffffff92, vcc_lo
	v_lshl_add_u32 v121, 0x200000, v120, -1
	v_lshrrev_b32_e32 v122, v120, v111
	v_lshlrev_b32_e64 v124, v120, 0x100000
	v_add_nc_u32_e32 v120, v120, v15
	v_and_b32_e32 v111, v121, v111
	v_bfe_u32 v123, v122, 21, 1
	v_cmp_eq_u32_e64 s16, v111, v124
	v_add_nc_u32_e32 v121, -1, v123
	v_cndmask_b32_e64 v111, 0, v121, s16
	v_lshrrev_b32_e32 v121, 23, v122
	s_mov_b32 s16, exec_lo
	v_add_nc_u32_e32 v111, v111, v122
	v_xor_b32_e32 v121, 1, v121
	v_and_b32_e32 v15, 0x1fffff, v111
	v_add_nc_u32_e32 v111, v15, v122
                                        ; implicit-def: $vgpr15
	v_cmpx_ne_u32_e64 v120, v121
	s_xor_b32 s16, exec_lo, s16
; %bb.4368:                             ;   in Loop: Header=BB4_3733 Depth=3
	v_cmp_lt_u32_e32 vcc_lo, 0xffffff, v111
	v_sub_nc_u32_e32 v15, v120, v121
	v_cndmask_b32_e64 v120, 0, 1, vcc_lo
	v_add_co_ci_u32_e64 v15, null, 0, v15, vcc_lo
	v_lshrrev_b32_e32 v111, v120, v111
; %bb.4369:                             ;   in Loop: Header=BB4_3733 Depth=3
	s_andn2_saveexec_b32 s16, s16
	s_cbranch_execz .LBB4_3730
; %bb.4370:                             ;   in Loop: Header=BB4_3733 Depth=3
	v_bfe_u32 v15, v111, 23, 1
	s_branch .LBB4_3730
.LBB4_4371:                             ;   in Loop: Header=BB4_3733 Depth=3
	s_or_saveexec_b32 s19, s19
	v_mov_b32_e32 v98, 0x7f800001
	s_xor_b32 exec_lo, exec_lo, s19
	s_cbranch_execz .LBB4_3737
.LBB4_4372:                             ;   in Loop: Header=BB4_3733 Depth=3
	v_cmp_ne_u16_sdwa s22, v20, v2 src0_sel:BYTE_0 src1_sel:DWORD
	v_mov_b32_e32 v98, 0
	s_andn2_b32 s16, s16, exec_lo
	s_and_b32 s22, s22, exec_lo
	s_or_b32 s16, s16, s22
	s_or_b32 exec_lo, exec_lo, s19
	s_and_saveexec_b32 s19, s16
	s_cbranch_execnz .LBB4_3738
	s_branch .LBB4_3739
.LBB4_4373:                             ;   in Loop: Header=BB4_3733 Depth=3
	s_or_saveexec_b32 s19, s19
	v_mov_b32_e32 v99, 0x7f800001
	s_xor_b32 exec_lo, exec_lo, s19
	s_cbranch_execz .LBB4_3743
.LBB4_4374:                             ;   in Loop: Header=BB4_3733 Depth=3
	v_cmp_ne_u16_sdwa s22, v16, v2 src0_sel:BYTE_0 src1_sel:DWORD
	v_mov_b32_e32 v99, 0
	s_andn2_b32 s16, s16, exec_lo
	s_and_b32 s22, s22, exec_lo
	s_or_b32 s16, s16, s22
	s_or_b32 exec_lo, exec_lo, s19
	s_and_saveexec_b32 s19, s16
	s_cbranch_execnz .LBB4_3744
	s_branch .LBB4_3745
.LBB4_4375:                             ;   in Loop: Header=BB4_3733 Depth=3
	s_or_saveexec_b32 s19, s19
	v_mov_b32_e32 v99, 0x7f800001
	s_xor_b32 exec_lo, exec_lo, s19
	s_cbranch_execz .LBB4_3757
.LBB4_4376:                             ;   in Loop: Header=BB4_3733 Depth=3
	v_cmp_ne_u16_sdwa s22, v20, v2 src0_sel:BYTE_1 src1_sel:DWORD
	v_mov_b32_e32 v99, 0
	s_andn2_b32 s16, s16, exec_lo
	s_and_b32 s22, s22, exec_lo
	s_or_b32 s16, s16, s22
	s_or_b32 exec_lo, exec_lo, s19
	s_and_saveexec_b32 s19, s16
	s_cbranch_execnz .LBB4_3758
	s_branch .LBB4_3759
.LBB4_4377:                             ;   in Loop: Header=BB4_3733 Depth=3
	s_or_saveexec_b32 s19, s19
	v_mov_b32_e32 v88, 0x7f800001
	s_xor_b32 exec_lo, exec_lo, s19
	s_cbranch_execz .LBB4_3763
.LBB4_4378:                             ;   in Loop: Header=BB4_3733 Depth=3
	v_cmp_ne_u16_sdwa s22, v16, v2 src0_sel:BYTE_1 src1_sel:DWORD
	v_mov_b32_e32 v88, 0
	s_andn2_b32 s16, s16, exec_lo
	s_and_b32 s22, s22, exec_lo
	s_or_b32 s16, s16, s22
	s_or_b32 exec_lo, exec_lo, s19
	s_and_saveexec_b32 s19, s16
	s_cbranch_execnz .LBB4_3764
	s_branch .LBB4_3765
.LBB4_4379:                             ;   in Loop: Header=BB4_3733 Depth=3
	s_or_saveexec_b32 s19, s19
	v_mov_b32_e32 v88, 0x7f800001
	s_xor_b32 exec_lo, exec_lo, s19
	s_cbranch_execz .LBB4_3777
.LBB4_4380:                             ;   in Loop: Header=BB4_3733 Depth=3
	v_cmp_ne_u16_e32 vcc_lo, 0, v89
	v_mov_b32_e32 v88, 0
	s_andn2_b32 s16, s16, exec_lo
	s_and_b32 s22, vcc_lo, exec_lo
	s_or_b32 s16, s16, s22
	s_or_b32 exec_lo, exec_lo, s19
	s_and_saveexec_b32 s19, s16
	s_cbranch_execnz .LBB4_3778
	s_branch .LBB4_3779
.LBB4_4381:                             ;   in Loop: Header=BB4_3733 Depth=3
	s_or_saveexec_b32 s19, s19
	v_mov_b32_e32 v89, 0x7f800001
	s_xor_b32 exec_lo, exec_lo, s19
	s_cbranch_execz .LBB4_3783
.LBB4_4382:                             ;   in Loop: Header=BB4_3733 Depth=3
	v_cmp_ne_u16_e32 vcc_lo, 0, v90
	v_mov_b32_e32 v89, 0
	s_andn2_b32 s16, s16, exec_lo
	s_and_b32 s22, vcc_lo, exec_lo
	s_or_b32 s16, s16, s22
	s_or_b32 exec_lo, exec_lo, s19
	s_and_saveexec_b32 s19, s16
	s_cbranch_execnz .LBB4_3784
	s_branch .LBB4_3785
.LBB4_4383:                             ;   in Loop: Header=BB4_3733 Depth=3
	s_or_saveexec_b32 s19, s19
	v_mov_b32_e32 v89, 0x7f800001
	s_xor_b32 exec_lo, exec_lo, s19
	s_cbranch_execz .LBB4_3797
.LBB4_4384:                             ;   in Loop: Header=BB4_3733 Depth=3
	v_cmp_ne_u16_sdwa s22, v20, v2 src0_sel:BYTE_3 src1_sel:DWORD
	v_mov_b32_e32 v89, 0
	s_andn2_b32 s16, s16, exec_lo
	s_and_b32 s22, s22, exec_lo
	s_or_b32 s16, s16, s22
	s_or_b32 exec_lo, exec_lo, s19
	s_and_saveexec_b32 s19, s16
	s_cbranch_execnz .LBB4_3798
	s_branch .LBB4_3799
.LBB4_4385:                             ;   in Loop: Header=BB4_3733 Depth=3
	s_or_saveexec_b32 s19, s19
	v_mov_b32_e32 v20, 0x7f800001
	s_xor_b32 exec_lo, exec_lo, s19
	s_cbranch_execz .LBB4_3803
.LBB4_4386:                             ;   in Loop: Header=BB4_3733 Depth=3
	v_cmp_ne_u16_sdwa s22, v16, v2 src0_sel:BYTE_3 src1_sel:DWORD
	v_mov_b32_e32 v20, 0
	s_andn2_b32 s16, s16, exec_lo
	s_and_b32 s22, s22, exec_lo
	s_or_b32 s16, s16, s22
	s_or_b32 exec_lo, exec_lo, s19
	s_and_saveexec_b32 s19, s16
	s_cbranch_execnz .LBB4_3804
	s_branch .LBB4_3805
.LBB4_4387:                             ;   in Loop: Header=BB4_3733 Depth=3
	s_or_saveexec_b32 s19, s19
	v_mov_b32_e32 v20, 0x7f800001
	s_xor_b32 exec_lo, exec_lo, s19
	s_cbranch_execz .LBB4_3817
.LBB4_4388:                             ;   in Loop: Header=BB4_3733 Depth=3
	v_cmp_ne_u16_sdwa s22, v21, v2 src0_sel:BYTE_0 src1_sel:DWORD
	v_mov_b32_e32 v20, 0
	s_andn2_b32 s16, s16, exec_lo
	s_and_b32 s22, s22, exec_lo
	s_or_b32 s16, s16, s22
	s_or_b32 exec_lo, exec_lo, s19
	s_and_saveexec_b32 s19, s16
	s_cbranch_execnz .LBB4_3818
	s_branch .LBB4_3819
.LBB4_4389:                             ;   in Loop: Header=BB4_3733 Depth=3
	s_or_saveexec_b32 s19, s19
	v_mov_b32_e32 v89, 0x7f800001
	s_xor_b32 exec_lo, exec_lo, s19
	s_cbranch_execz .LBB4_3823
.LBB4_4390:                             ;   in Loop: Header=BB4_3733 Depth=3
	v_cmp_ne_u16_sdwa s22, v17, v2 src0_sel:BYTE_0 src1_sel:DWORD
	v_mov_b32_e32 v89, 0
	s_andn2_b32 s16, s16, exec_lo
	s_and_b32 s22, s22, exec_lo
	s_or_b32 s16, s16, s22
	s_or_b32 exec_lo, exec_lo, s19
	s_and_saveexec_b32 s19, s16
	s_cbranch_execnz .LBB4_3824
	s_branch .LBB4_3825
.LBB4_4391:                             ;   in Loop: Header=BB4_3733 Depth=3
	s_or_saveexec_b32 s19, s19
	v_mov_b32_e32 v89, 0x7f800001
	s_xor_b32 exec_lo, exec_lo, s19
	s_cbranch_execz .LBB4_3837
.LBB4_4392:                             ;   in Loop: Header=BB4_3733 Depth=3
	v_cmp_ne_u16_sdwa s22, v21, v2 src0_sel:BYTE_1 src1_sel:DWORD
	v_mov_b32_e32 v89, 0
	s_andn2_b32 s16, s16, exec_lo
	s_and_b32 s22, s22, exec_lo
	s_or_b32 s16, s16, s22
	s_or_b32 exec_lo, exec_lo, s19
	s_and_saveexec_b32 s19, s16
	s_cbranch_execnz .LBB4_3838
	s_branch .LBB4_3839
.LBB4_4393:                             ;   in Loop: Header=BB4_3733 Depth=3
	s_or_saveexec_b32 s19, s19
	v_mov_b32_e32 v90, 0x7f800001
	s_xor_b32 exec_lo, exec_lo, s19
	s_cbranch_execz .LBB4_3843
.LBB4_4394:                             ;   in Loop: Header=BB4_3733 Depth=3
	v_cmp_ne_u16_sdwa s22, v17, v2 src0_sel:BYTE_1 src1_sel:DWORD
	v_mov_b32_e32 v90, 0
	s_andn2_b32 s16, s16, exec_lo
	s_and_b32 s22, s22, exec_lo
	s_or_b32 s16, s16, s22
	s_or_b32 exec_lo, exec_lo, s19
	s_and_saveexec_b32 s19, s16
	s_cbranch_execnz .LBB4_3844
	s_branch .LBB4_3845
.LBB4_4395:                             ;   in Loop: Header=BB4_3733 Depth=3
	s_or_saveexec_b32 s19, s19
	v_mov_b32_e32 v90, 0x7f800001
	s_xor_b32 exec_lo, exec_lo, s19
	s_cbranch_execz .LBB4_3857
.LBB4_4396:                             ;   in Loop: Header=BB4_3733 Depth=3
	v_cmp_ne_u16_e32 vcc_lo, 0, v91
	v_mov_b32_e32 v90, 0
	s_andn2_b32 s16, s16, exec_lo
	s_and_b32 s22, vcc_lo, exec_lo
	s_or_b32 s16, s16, s22
	s_or_b32 exec_lo, exec_lo, s19
	s_and_saveexec_b32 s19, s16
	s_cbranch_execnz .LBB4_3858
	s_branch .LBB4_3859
.LBB4_4397:                             ;   in Loop: Header=BB4_3733 Depth=3
	s_or_saveexec_b32 s19, s19
	v_mov_b32_e32 v91, 0x7f800001
	s_xor_b32 exec_lo, exec_lo, s19
	s_cbranch_execz .LBB4_3863
.LBB4_4398:                             ;   in Loop: Header=BB4_3733 Depth=3
	v_cmp_ne_u16_e32 vcc_lo, 0, v92
	v_mov_b32_e32 v91, 0
	s_andn2_b32 s16, s16, exec_lo
	s_and_b32 s22, vcc_lo, exec_lo
	s_or_b32 s16, s16, s22
	s_or_b32 exec_lo, exec_lo, s19
	s_and_saveexec_b32 s19, s16
	s_cbranch_execnz .LBB4_3864
	s_branch .LBB4_3865
.LBB4_4399:                             ;   in Loop: Header=BB4_3733 Depth=3
	s_or_saveexec_b32 s19, s19
	v_mov_b32_e32 v91, 0x7f800001
	s_xor_b32 exec_lo, exec_lo, s19
	s_cbranch_execz .LBB4_3877
.LBB4_4400:                             ;   in Loop: Header=BB4_3733 Depth=3
	v_cmp_ne_u16_sdwa s22, v21, v2 src0_sel:BYTE_3 src1_sel:DWORD
	v_mov_b32_e32 v91, 0
	s_andn2_b32 s16, s16, exec_lo
	s_and_b32 s22, s22, exec_lo
	s_or_b32 s16, s16, s22
	s_or_b32 exec_lo, exec_lo, s19
	s_and_saveexec_b32 s19, s16
	s_cbranch_execnz .LBB4_3878
	s_branch .LBB4_3879
.LBB4_4401:                             ;   in Loop: Header=BB4_3733 Depth=3
	s_or_saveexec_b32 s19, s19
	v_mov_b32_e32 v21, 0x7f800001
	s_xor_b32 exec_lo, exec_lo, s19
	s_cbranch_execz .LBB4_3883
.LBB4_4402:                             ;   in Loop: Header=BB4_3733 Depth=3
	v_cmp_ne_u16_sdwa s22, v17, v2 src0_sel:BYTE_3 src1_sel:DWORD
	v_mov_b32_e32 v21, 0
	s_andn2_b32 s16, s16, exec_lo
	s_and_b32 s22, s22, exec_lo
	s_or_b32 s16, s16, s22
	s_or_b32 exec_lo, exec_lo, s19
	s_and_saveexec_b32 s19, s16
	s_cbranch_execnz .LBB4_3884
	s_branch .LBB4_3885
.LBB4_4403:                             ;   in Loop: Header=BB4_3733 Depth=3
	s_or_saveexec_b32 s19, s19
	v_mov_b32_e32 v21, 0x7f800001
	s_xor_b32 exec_lo, exec_lo, s19
	s_cbranch_execz .LBB4_3897
.LBB4_4404:                             ;   in Loop: Header=BB4_3733 Depth=3
	v_cmp_ne_u16_sdwa s22, v22, v2 src0_sel:BYTE_0 src1_sel:DWORD
	v_mov_b32_e32 v21, 0
	s_andn2_b32 s16, s16, exec_lo
	s_and_b32 s22, s22, exec_lo
	s_or_b32 s16, s16, s22
	s_or_b32 exec_lo, exec_lo, s19
	s_and_saveexec_b32 s19, s16
	s_cbranch_execnz .LBB4_3898
	s_branch .LBB4_3899
.LBB4_4405:                             ;   in Loop: Header=BB4_3733 Depth=3
	s_or_saveexec_b32 s19, s19
	v_mov_b32_e32 v91, 0x7f800001
	s_xor_b32 exec_lo, exec_lo, s19
	s_cbranch_execz .LBB4_3903
.LBB4_4406:                             ;   in Loop: Header=BB4_3733 Depth=3
	v_cmp_ne_u16_sdwa s22, v18, v2 src0_sel:BYTE_0 src1_sel:DWORD
	v_mov_b32_e32 v91, 0
	s_andn2_b32 s16, s16, exec_lo
	s_and_b32 s22, s22, exec_lo
	s_or_b32 s16, s16, s22
	s_or_b32 exec_lo, exec_lo, s19
	s_and_saveexec_b32 s19, s16
	s_cbranch_execnz .LBB4_3904
	s_branch .LBB4_3905
.LBB4_4407:                             ;   in Loop: Header=BB4_3733 Depth=3
	s_or_saveexec_b32 s19, s19
	v_mov_b32_e32 v91, 0x7f800001
	s_xor_b32 exec_lo, exec_lo, s19
	s_cbranch_execz .LBB4_3917
.LBB4_4408:                             ;   in Loop: Header=BB4_3733 Depth=3
	v_cmp_ne_u16_sdwa s22, v22, v2 src0_sel:BYTE_1 src1_sel:DWORD
	v_mov_b32_e32 v91, 0
	s_andn2_b32 s16, s16, exec_lo
	s_and_b32 s22, s22, exec_lo
	s_or_b32 s16, s16, s22
	s_or_b32 exec_lo, exec_lo, s19
	s_and_saveexec_b32 s19, s16
	s_cbranch_execnz .LBB4_3918
	s_branch .LBB4_3919
.LBB4_4409:                             ;   in Loop: Header=BB4_3733 Depth=3
	s_or_saveexec_b32 s19, s19
	v_mov_b32_e32 v92, 0x7f800001
	s_xor_b32 exec_lo, exec_lo, s19
	s_cbranch_execz .LBB4_3923
.LBB4_4410:                             ;   in Loop: Header=BB4_3733 Depth=3
	v_cmp_ne_u16_sdwa s22, v18, v2 src0_sel:BYTE_1 src1_sel:DWORD
	v_mov_b32_e32 v92, 0
	s_andn2_b32 s16, s16, exec_lo
	s_and_b32 s22, s22, exec_lo
	s_or_b32 s16, s16, s22
	s_or_b32 exec_lo, exec_lo, s19
	s_and_saveexec_b32 s19, s16
	s_cbranch_execnz .LBB4_3924
	s_branch .LBB4_3925
.LBB4_4411:                             ;   in Loop: Header=BB4_3733 Depth=3
	s_or_saveexec_b32 s19, s19
	v_mov_b32_e32 v92, 0x7f800001
	s_xor_b32 exec_lo, exec_lo, s19
	s_cbranch_execz .LBB4_3937
.LBB4_4412:                             ;   in Loop: Header=BB4_3733 Depth=3
	v_cmp_ne_u16_e32 vcc_lo, 0, v93
	v_mov_b32_e32 v92, 0
	s_andn2_b32 s16, s16, exec_lo
	s_and_b32 s22, vcc_lo, exec_lo
	s_or_b32 s16, s16, s22
	s_or_b32 exec_lo, exec_lo, s19
	s_and_saveexec_b32 s19, s16
	s_cbranch_execnz .LBB4_3938
	s_branch .LBB4_3939
.LBB4_4413:                             ;   in Loop: Header=BB4_3733 Depth=3
	s_or_saveexec_b32 s19, s19
	v_mov_b32_e32 v93, 0x7f800001
	s_xor_b32 exec_lo, exec_lo, s19
	s_cbranch_execz .LBB4_3943
.LBB4_4414:                             ;   in Loop: Header=BB4_3733 Depth=3
	v_cmp_ne_u16_e32 vcc_lo, 0, v94
	v_mov_b32_e32 v93, 0
	s_andn2_b32 s16, s16, exec_lo
	s_and_b32 s22, vcc_lo, exec_lo
	s_or_b32 s16, s16, s22
	s_or_b32 exec_lo, exec_lo, s19
	s_and_saveexec_b32 s19, s16
	s_cbranch_execnz .LBB4_3944
	s_branch .LBB4_3945
.LBB4_4415:                             ;   in Loop: Header=BB4_3733 Depth=3
	s_or_saveexec_b32 s19, s19
	v_mov_b32_e32 v93, 0x7f800001
	s_xor_b32 exec_lo, exec_lo, s19
	s_cbranch_execz .LBB4_3957
.LBB4_4416:                             ;   in Loop: Header=BB4_3733 Depth=3
	v_cmp_ne_u16_sdwa s22, v22, v2 src0_sel:BYTE_3 src1_sel:DWORD
	v_mov_b32_e32 v93, 0
	s_andn2_b32 s16, s16, exec_lo
	s_and_b32 s22, s22, exec_lo
	s_or_b32 s16, s16, s22
	s_or_b32 exec_lo, exec_lo, s19
	s_and_saveexec_b32 s19, s16
	s_cbranch_execnz .LBB4_3958
	s_branch .LBB4_3959
.LBB4_4417:                             ;   in Loop: Header=BB4_3733 Depth=3
	s_or_saveexec_b32 s19, s19
	v_mov_b32_e32 v22, 0x7f800001
	s_xor_b32 exec_lo, exec_lo, s19
	s_cbranch_execz .LBB4_3963
.LBB4_4418:                             ;   in Loop: Header=BB4_3733 Depth=3
	v_cmp_ne_u16_sdwa s22, v18, v2 src0_sel:BYTE_3 src1_sel:DWORD
	v_mov_b32_e32 v22, 0
	s_andn2_b32 s16, s16, exec_lo
	s_and_b32 s22, s22, exec_lo
	s_or_b32 s16, s16, s22
	s_or_b32 exec_lo, exec_lo, s19
	s_and_saveexec_b32 s19, s16
	s_cbranch_execnz .LBB4_3964
	s_branch .LBB4_3965
.LBB4_4419:                             ;   in Loop: Header=BB4_3733 Depth=3
	s_or_saveexec_b32 s19, s19
	v_mov_b32_e32 v22, 0x7f800001
	s_xor_b32 exec_lo, exec_lo, s19
	s_cbranch_execz .LBB4_3977
.LBB4_4420:                             ;   in Loop: Header=BB4_3733 Depth=3
	v_cmp_ne_u16_sdwa s22, v23, v2 src0_sel:BYTE_0 src1_sel:DWORD
	v_mov_b32_e32 v22, 0
	s_andn2_b32 s16, s16, exec_lo
	s_and_b32 s22, s22, exec_lo
	s_or_b32 s16, s16, s22
	s_or_b32 exec_lo, exec_lo, s19
	s_and_saveexec_b32 s19, s16
	s_cbranch_execnz .LBB4_3978
	s_branch .LBB4_3979
.LBB4_4421:                             ;   in Loop: Header=BB4_3733 Depth=3
	s_or_saveexec_b32 s19, s19
	v_mov_b32_e32 v93, 0x7f800001
	s_xor_b32 exec_lo, exec_lo, s19
	s_cbranch_execz .LBB4_3983
.LBB4_4422:                             ;   in Loop: Header=BB4_3733 Depth=3
	v_cmp_ne_u16_sdwa s22, v19, v2 src0_sel:BYTE_0 src1_sel:DWORD
	v_mov_b32_e32 v93, 0
	s_andn2_b32 s16, s16, exec_lo
	s_and_b32 s22, s22, exec_lo
	s_or_b32 s16, s16, s22
	s_or_b32 exec_lo, exec_lo, s19
	s_and_saveexec_b32 s19, s16
	s_cbranch_execnz .LBB4_3984
	s_branch .LBB4_3985
.LBB4_4423:                             ;   in Loop: Header=BB4_3733 Depth=3
	s_or_saveexec_b32 s19, s19
	v_mov_b32_e32 v93, 0x7f800001
	s_xor_b32 exec_lo, exec_lo, s19
	s_cbranch_execz .LBB4_3997
.LBB4_4424:                             ;   in Loop: Header=BB4_3733 Depth=3
	v_cmp_ne_u16_sdwa s22, v23, v2 src0_sel:BYTE_1 src1_sel:DWORD
	v_mov_b32_e32 v93, 0
	s_andn2_b32 s16, s16, exec_lo
	s_and_b32 s22, s22, exec_lo
	s_or_b32 s16, s16, s22
	s_or_b32 exec_lo, exec_lo, s19
	s_and_saveexec_b32 s19, s16
	s_cbranch_execnz .LBB4_3998
	s_branch .LBB4_3999
.LBB4_4425:                             ;   in Loop: Header=BB4_3733 Depth=3
	s_or_saveexec_b32 s19, s19
	v_mov_b32_e32 v94, 0x7f800001
	s_xor_b32 exec_lo, exec_lo, s19
	s_cbranch_execz .LBB4_4003
.LBB4_4426:                             ;   in Loop: Header=BB4_3733 Depth=3
	v_cmp_ne_u16_sdwa s22, v19, v2 src0_sel:BYTE_1 src1_sel:DWORD
	v_mov_b32_e32 v94, 0
	s_andn2_b32 s16, s16, exec_lo
	s_and_b32 s22, s22, exec_lo
	s_or_b32 s16, s16, s22
	s_or_b32 exec_lo, exec_lo, s19
	s_and_saveexec_b32 s19, s16
	s_cbranch_execnz .LBB4_4004
	s_branch .LBB4_4005
.LBB4_4427:                             ;   in Loop: Header=BB4_3733 Depth=3
	s_or_saveexec_b32 s19, s19
	v_mov_b32_e32 v94, 0x7f800001
	s_xor_b32 exec_lo, exec_lo, s19
	s_cbranch_execz .LBB4_4017
.LBB4_4428:                             ;   in Loop: Header=BB4_3733 Depth=3
	v_cmp_ne_u16_e32 vcc_lo, 0, v95
	v_mov_b32_e32 v94, 0
	s_andn2_b32 s16, s16, exec_lo
	s_and_b32 s22, vcc_lo, exec_lo
	s_or_b32 s16, s16, s22
	s_or_b32 exec_lo, exec_lo, s19
	s_and_saveexec_b32 s19, s16
	s_cbranch_execnz .LBB4_4018
	s_branch .LBB4_4019
.LBB4_4429:                             ;   in Loop: Header=BB4_3733 Depth=3
	s_or_saveexec_b32 s19, s19
	v_mov_b32_e32 v95, 0x7f800001
	s_xor_b32 exec_lo, exec_lo, s19
	s_cbranch_execz .LBB4_4023
.LBB4_4430:                             ;   in Loop: Header=BB4_3733 Depth=3
	v_cmp_ne_u16_e32 vcc_lo, 0, v104
	v_mov_b32_e32 v95, 0
	s_andn2_b32 s16, s16, exec_lo
	s_and_b32 s22, vcc_lo, exec_lo
	s_or_b32 s16, s16, s22
	s_or_b32 exec_lo, exec_lo, s19
	s_and_saveexec_b32 s19, s16
	s_cbranch_execnz .LBB4_4024
	s_branch .LBB4_4025
.LBB4_4431:                             ;   in Loop: Header=BB4_3733 Depth=3
	s_or_saveexec_b32 s19, s19
	v_mov_b32_e32 v95, 0x7f800001
	s_xor_b32 exec_lo, exec_lo, s19
	s_cbranch_execz .LBB4_4037
.LBB4_4432:                             ;   in Loop: Header=BB4_3733 Depth=3
	v_cmp_ne_u16_sdwa s22, v23, v2 src0_sel:BYTE_3 src1_sel:DWORD
	v_mov_b32_e32 v95, 0
	s_andn2_b32 s16, s16, exec_lo
	s_and_b32 s22, s22, exec_lo
	s_or_b32 s16, s16, s22
	s_or_b32 exec_lo, exec_lo, s19
	s_and_saveexec_b32 s19, s16
	s_cbranch_execnz .LBB4_4038
	s_branch .LBB4_4039
.LBB4_4433:                             ;   in Loop: Header=BB4_3733 Depth=3
	s_or_saveexec_b32 s19, s19
	v_mov_b32_e32 v23, 0x7f800001
	s_xor_b32 exec_lo, exec_lo, s19
	s_cbranch_execz .LBB4_4043
.LBB4_4434:                             ;   in Loop: Header=BB4_3733 Depth=3
	v_cmp_ne_u16_sdwa s22, v19, v2 src0_sel:BYTE_3 src1_sel:DWORD
	v_mov_b32_e32 v23, 0
	s_andn2_b32 s16, s16, exec_lo
	s_and_b32 s22, s22, exec_lo
	s_or_b32 s16, s16, s22
	s_or_b32 exec_lo, exec_lo, s19
	s_and_saveexec_b32 s19, s16
	s_cbranch_execnz .LBB4_4044
	s_branch .LBB4_4045
.LBB4_4435:                             ;   in Loop: Header=BB4_3733 Depth=3
	s_or_saveexec_b32 s19, s19
	v_mov_b32_e32 v23, 0x7f800001
	s_xor_b32 exec_lo, exec_lo, s19
	s_cbranch_execz .LBB4_4057
.LBB4_4436:                             ;   in Loop: Header=BB4_3733 Depth=3
	v_cmp_ne_u16_sdwa s22, v12, v2 src0_sel:BYTE_0 src1_sel:DWORD
	v_mov_b32_e32 v23, 0
	s_andn2_b32 s16, s16, exec_lo
	s_and_b32 s22, s22, exec_lo
	s_or_b32 s16, s16, s22
	s_or_b32 exec_lo, exec_lo, s19
	s_and_saveexec_b32 s19, s16
	s_cbranch_execnz .LBB4_4058
	s_branch .LBB4_4059
.LBB4_4437:                             ;   in Loop: Header=BB4_3733 Depth=3
	s_or_saveexec_b32 s19, s19
	v_mov_b32_e32 v95, 0x7f800001
	s_xor_b32 exec_lo, exec_lo, s19
	s_cbranch_execz .LBB4_4063
.LBB4_4438:                             ;   in Loop: Header=BB4_3733 Depth=3
	v_cmp_ne_u16_sdwa s22, v8, v2 src0_sel:BYTE_0 src1_sel:DWORD
	v_mov_b32_e32 v95, 0
	s_andn2_b32 s16, s16, exec_lo
	s_and_b32 s22, s22, exec_lo
	s_or_b32 s16, s16, s22
	s_or_b32 exec_lo, exec_lo, s19
	s_and_saveexec_b32 s19, s16
	s_cbranch_execnz .LBB4_4064
	s_branch .LBB4_4065
.LBB4_4439:                             ;   in Loop: Header=BB4_3733 Depth=3
	s_or_saveexec_b32 s19, s19
	v_mov_b32_e32 v95, 0x7f800001
	s_xor_b32 exec_lo, exec_lo, s19
	s_cbranch_execz .LBB4_4077
.LBB4_4440:                             ;   in Loop: Header=BB4_3733 Depth=3
	v_cmp_ne_u16_sdwa s22, v12, v2 src0_sel:BYTE_1 src1_sel:DWORD
	v_mov_b32_e32 v95, 0
	s_andn2_b32 s16, s16, exec_lo
	s_and_b32 s22, s22, exec_lo
	s_or_b32 s16, s16, s22
	s_or_b32 exec_lo, exec_lo, s19
	s_and_saveexec_b32 s19, s16
	s_cbranch_execnz .LBB4_4078
	s_branch .LBB4_4079
.LBB4_4441:                             ;   in Loop: Header=BB4_3733 Depth=3
	s_or_saveexec_b32 s19, s19
	v_mov_b32_e32 v104, 0x7f800001
	s_xor_b32 exec_lo, exec_lo, s19
	s_cbranch_execz .LBB4_4083
.LBB4_4442:                             ;   in Loop: Header=BB4_3733 Depth=3
	v_cmp_ne_u16_sdwa s22, v8, v2 src0_sel:BYTE_1 src1_sel:DWORD
	v_mov_b32_e32 v104, 0
	s_andn2_b32 s16, s16, exec_lo
	s_and_b32 s22, s22, exec_lo
	s_or_b32 s16, s16, s22
	s_or_b32 exec_lo, exec_lo, s19
	s_and_saveexec_b32 s19, s16
	s_cbranch_execnz .LBB4_4084
	s_branch .LBB4_4085
.LBB4_4443:                             ;   in Loop: Header=BB4_3733 Depth=3
	s_or_saveexec_b32 s19, s19
	v_mov_b32_e32 v104, 0x7f800001
	s_xor_b32 exec_lo, exec_lo, s19
	s_cbranch_execz .LBB4_4097
.LBB4_4444:                             ;   in Loop: Header=BB4_3733 Depth=3
	v_cmp_ne_u16_e32 vcc_lo, 0, v105
	v_mov_b32_e32 v104, 0
	s_andn2_b32 s16, s16, exec_lo
	s_and_b32 s22, vcc_lo, exec_lo
	s_or_b32 s16, s16, s22
	s_or_b32 exec_lo, exec_lo, s19
	s_and_saveexec_b32 s19, s16
	s_cbranch_execnz .LBB4_4098
	s_branch .LBB4_4099
.LBB4_4445:                             ;   in Loop: Header=BB4_3733 Depth=3
	s_or_saveexec_b32 s19, s19
	v_mov_b32_e32 v105, 0x7f800001
	s_xor_b32 exec_lo, exec_lo, s19
	s_cbranch_execz .LBB4_4103
.LBB4_4446:                             ;   in Loop: Header=BB4_3733 Depth=3
	v_cmp_ne_u16_e32 vcc_lo, 0, v106
	v_mov_b32_e32 v105, 0
	s_andn2_b32 s16, s16, exec_lo
	s_and_b32 s22, vcc_lo, exec_lo
	s_or_b32 s16, s16, s22
	s_or_b32 exec_lo, exec_lo, s19
	s_and_saveexec_b32 s19, s16
	s_cbranch_execnz .LBB4_4104
	s_branch .LBB4_4105
.LBB4_4447:                             ;   in Loop: Header=BB4_3733 Depth=3
	s_or_saveexec_b32 s19, s19
	v_mov_b32_e32 v105, 0x7f800001
	s_xor_b32 exec_lo, exec_lo, s19
	s_cbranch_execz .LBB4_4117
.LBB4_4448:                             ;   in Loop: Header=BB4_3733 Depth=3
	v_cmp_ne_u16_sdwa s22, v12, v2 src0_sel:BYTE_3 src1_sel:DWORD
	v_mov_b32_e32 v105, 0
	s_andn2_b32 s16, s16, exec_lo
	s_and_b32 s22, s22, exec_lo
	s_or_b32 s16, s16, s22
	s_or_b32 exec_lo, exec_lo, s19
	s_and_saveexec_b32 s19, s16
	s_cbranch_execnz .LBB4_4118
	s_branch .LBB4_4119
.LBB4_4449:                             ;   in Loop: Header=BB4_3733 Depth=3
	s_or_saveexec_b32 s19, s19
	v_mov_b32_e32 v12, 0x7f800001
	s_xor_b32 exec_lo, exec_lo, s19
	s_cbranch_execz .LBB4_4123
.LBB4_4450:                             ;   in Loop: Header=BB4_3733 Depth=3
	v_cmp_ne_u16_sdwa s22, v8, v2 src0_sel:BYTE_3 src1_sel:DWORD
	v_mov_b32_e32 v12, 0
	s_andn2_b32 s16, s16, exec_lo
	s_and_b32 s22, s22, exec_lo
	s_or_b32 s16, s16, s22
	s_or_b32 exec_lo, exec_lo, s19
	s_and_saveexec_b32 s19, s16
	s_cbranch_execnz .LBB4_4124
	s_branch .LBB4_4125
.LBB4_4451:                             ;   in Loop: Header=BB4_3733 Depth=3
	s_or_saveexec_b32 s19, s19
	v_mov_b32_e32 v12, 0x7f800001
	s_xor_b32 exec_lo, exec_lo, s19
	s_cbranch_execz .LBB4_4137
.LBB4_4452:                             ;   in Loop: Header=BB4_3733 Depth=3
	v_cmp_ne_u16_sdwa s22, v13, v2 src0_sel:BYTE_0 src1_sel:DWORD
	v_mov_b32_e32 v12, 0
	s_andn2_b32 s16, s16, exec_lo
	s_and_b32 s22, s22, exec_lo
	s_or_b32 s16, s16, s22
	s_or_b32 exec_lo, exec_lo, s19
	s_and_saveexec_b32 s19, s16
	s_cbranch_execnz .LBB4_4138
	s_branch .LBB4_4139
.LBB4_4453:                             ;   in Loop: Header=BB4_3733 Depth=3
	s_or_saveexec_b32 s19, s19
	v_mov_b32_e32 v105, 0x7f800001
	s_xor_b32 exec_lo, exec_lo, s19
	s_cbranch_execz .LBB4_4143
.LBB4_4454:                             ;   in Loop: Header=BB4_3733 Depth=3
	v_cmp_ne_u16_sdwa s22, v9, v2 src0_sel:BYTE_0 src1_sel:DWORD
	v_mov_b32_e32 v105, 0
	s_andn2_b32 s16, s16, exec_lo
	s_and_b32 s22, s22, exec_lo
	s_or_b32 s16, s16, s22
	s_or_b32 exec_lo, exec_lo, s19
	s_and_saveexec_b32 s19, s16
	s_cbranch_execnz .LBB4_4144
	s_branch .LBB4_4145
.LBB4_4455:                             ;   in Loop: Header=BB4_3733 Depth=3
	s_or_saveexec_b32 s19, s19
	v_mov_b32_e32 v105, 0x7f800001
	s_xor_b32 exec_lo, exec_lo, s19
	s_cbranch_execz .LBB4_4157
.LBB4_4456:                             ;   in Loop: Header=BB4_3733 Depth=3
	v_cmp_ne_u16_sdwa s22, v13, v2 src0_sel:BYTE_1 src1_sel:DWORD
	v_mov_b32_e32 v105, 0
	s_andn2_b32 s16, s16, exec_lo
	s_and_b32 s22, s22, exec_lo
	s_or_b32 s16, s16, s22
	s_or_b32 exec_lo, exec_lo, s19
	s_and_saveexec_b32 s19, s16
	s_cbranch_execnz .LBB4_4158
	s_branch .LBB4_4159
.LBB4_4457:                             ;   in Loop: Header=BB4_3733 Depth=3
	s_or_saveexec_b32 s19, s19
	v_mov_b32_e32 v106, 0x7f800001
	s_xor_b32 exec_lo, exec_lo, s19
	s_cbranch_execz .LBB4_4163
.LBB4_4458:                             ;   in Loop: Header=BB4_3733 Depth=3
	v_cmp_ne_u16_sdwa s22, v9, v2 src0_sel:BYTE_1 src1_sel:DWORD
	v_mov_b32_e32 v106, 0
	s_andn2_b32 s16, s16, exec_lo
	s_and_b32 s22, s22, exec_lo
	s_or_b32 s16, s16, s22
	s_or_b32 exec_lo, exec_lo, s19
	s_and_saveexec_b32 s19, s16
	s_cbranch_execnz .LBB4_4164
	s_branch .LBB4_4165
.LBB4_4459:                             ;   in Loop: Header=BB4_3733 Depth=3
	s_or_saveexec_b32 s19, s19
	v_mov_b32_e32 v106, 0x7f800001
	s_xor_b32 exec_lo, exec_lo, s19
	s_cbranch_execz .LBB4_4177
.LBB4_4460:                             ;   in Loop: Header=BB4_3733 Depth=3
	v_cmp_ne_u16_e32 vcc_lo, 0, v107
	v_mov_b32_e32 v106, 0
	s_andn2_b32 s16, s16, exec_lo
	s_and_b32 s22, vcc_lo, exec_lo
	s_or_b32 s16, s16, s22
	s_or_b32 exec_lo, exec_lo, s19
	s_and_saveexec_b32 s19, s16
	s_cbranch_execnz .LBB4_4178
	s_branch .LBB4_4179
.LBB4_4461:                             ;   in Loop: Header=BB4_3733 Depth=3
	s_or_saveexec_b32 s19, s19
	v_mov_b32_e32 v107, 0x7f800001
	s_xor_b32 exec_lo, exec_lo, s19
	s_cbranch_execz .LBB4_4183
.LBB4_4462:                             ;   in Loop: Header=BB4_3733 Depth=3
	v_cmp_ne_u16_e32 vcc_lo, 0, v108
	v_mov_b32_e32 v107, 0
	s_andn2_b32 s16, s16, exec_lo
	s_and_b32 s22, vcc_lo, exec_lo
	s_or_b32 s16, s16, s22
	s_or_b32 exec_lo, exec_lo, s19
	s_and_saveexec_b32 s19, s16
	s_cbranch_execnz .LBB4_4184
	s_branch .LBB4_4185
.LBB4_4463:                             ;   in Loop: Header=BB4_3733 Depth=3
	s_or_saveexec_b32 s19, s19
	v_mov_b32_e32 v107, 0x7f800001
	s_xor_b32 exec_lo, exec_lo, s19
	s_cbranch_execz .LBB4_4197
.LBB4_4464:                             ;   in Loop: Header=BB4_3733 Depth=3
	v_cmp_ne_u16_sdwa s22, v13, v2 src0_sel:BYTE_3 src1_sel:DWORD
	v_mov_b32_e32 v107, 0
	s_andn2_b32 s16, s16, exec_lo
	s_and_b32 s22, s22, exec_lo
	s_or_b32 s16, s16, s22
	s_or_b32 exec_lo, exec_lo, s19
	s_and_saveexec_b32 s19, s16
	s_cbranch_execnz .LBB4_4198
	s_branch .LBB4_4199
.LBB4_4465:                             ;   in Loop: Header=BB4_3733 Depth=3
	s_or_saveexec_b32 s19, s19
	v_mov_b32_e32 v13, 0x7f800001
	s_xor_b32 exec_lo, exec_lo, s19
	s_cbranch_execz .LBB4_4203
.LBB4_4466:                             ;   in Loop: Header=BB4_3733 Depth=3
	v_cmp_ne_u16_sdwa s22, v9, v2 src0_sel:BYTE_3 src1_sel:DWORD
	v_mov_b32_e32 v13, 0
	s_andn2_b32 s16, s16, exec_lo
	s_and_b32 s22, s22, exec_lo
	s_or_b32 s16, s16, s22
	s_or_b32 exec_lo, exec_lo, s19
	s_and_saveexec_b32 s19, s16
	s_cbranch_execnz .LBB4_4204
	s_branch .LBB4_4205
.LBB4_4467:                             ;   in Loop: Header=BB4_3733 Depth=3
	s_or_saveexec_b32 s19, s19
	v_mov_b32_e32 v13, 0x7f800001
	s_xor_b32 exec_lo, exec_lo, s19
	s_cbranch_execz .LBB4_4217
.LBB4_4468:                             ;   in Loop: Header=BB4_3733 Depth=3
	v_cmp_ne_u16_sdwa s22, v14, v2 src0_sel:BYTE_0 src1_sel:DWORD
	v_mov_b32_e32 v13, 0
	s_andn2_b32 s16, s16, exec_lo
	s_and_b32 s22, s22, exec_lo
	s_or_b32 s16, s16, s22
	s_or_b32 exec_lo, exec_lo, s19
	s_and_saveexec_b32 s19, s16
	s_cbranch_execnz .LBB4_4218
	s_branch .LBB4_4219
.LBB4_4469:                             ;   in Loop: Header=BB4_3733 Depth=3
	s_or_saveexec_b32 s19, s19
	v_mov_b32_e32 v107, 0x7f800001
	s_xor_b32 exec_lo, exec_lo, s19
	s_cbranch_execz .LBB4_4223
.LBB4_4470:                             ;   in Loop: Header=BB4_3733 Depth=3
	v_cmp_ne_u16_sdwa s22, v10, v2 src0_sel:BYTE_0 src1_sel:DWORD
	v_mov_b32_e32 v107, 0
	s_andn2_b32 s16, s16, exec_lo
	s_and_b32 s22, s22, exec_lo
	s_or_b32 s16, s16, s22
	s_or_b32 exec_lo, exec_lo, s19
	s_and_saveexec_b32 s19, s16
	s_cbranch_execnz .LBB4_4224
	s_branch .LBB4_4225
.LBB4_4471:                             ;   in Loop: Header=BB4_3733 Depth=3
	s_or_saveexec_b32 s19, s19
	v_mov_b32_e32 v107, 0x7f800001
	s_xor_b32 exec_lo, exec_lo, s19
	s_cbranch_execz .LBB4_4237
.LBB4_4472:                             ;   in Loop: Header=BB4_3733 Depth=3
	v_cmp_ne_u16_sdwa s22, v14, v2 src0_sel:BYTE_1 src1_sel:DWORD
	v_mov_b32_e32 v107, 0
	s_andn2_b32 s16, s16, exec_lo
	s_and_b32 s22, s22, exec_lo
	s_or_b32 s16, s16, s22
	s_or_b32 exec_lo, exec_lo, s19
	s_and_saveexec_b32 s19, s16
	s_cbranch_execnz .LBB4_4238
	s_branch .LBB4_4239
.LBB4_4473:                             ;   in Loop: Header=BB4_3733 Depth=3
	s_or_saveexec_b32 s19, s19
	v_mov_b32_e32 v108, 0x7f800001
	s_xor_b32 exec_lo, exec_lo, s19
	s_cbranch_execz .LBB4_4243
.LBB4_4474:                             ;   in Loop: Header=BB4_3733 Depth=3
	v_cmp_ne_u16_sdwa s22, v10, v2 src0_sel:BYTE_1 src1_sel:DWORD
	v_mov_b32_e32 v108, 0
	s_andn2_b32 s16, s16, exec_lo
	s_and_b32 s22, s22, exec_lo
	s_or_b32 s16, s16, s22
	s_or_b32 exec_lo, exec_lo, s19
	s_and_saveexec_b32 s19, s16
	s_cbranch_execnz .LBB4_4244
	s_branch .LBB4_4245
.LBB4_4475:                             ;   in Loop: Header=BB4_3733 Depth=3
	s_or_saveexec_b32 s19, s19
	v_mov_b32_e32 v108, 0x7f800001
	s_xor_b32 exec_lo, exec_lo, s19
	s_cbranch_execz .LBB4_4257
.LBB4_4476:                             ;   in Loop: Header=BB4_3733 Depth=3
	v_cmp_ne_u16_e32 vcc_lo, 0, v109
	v_mov_b32_e32 v108, 0
	s_andn2_b32 s16, s16, exec_lo
	s_and_b32 s22, vcc_lo, exec_lo
	s_or_b32 s16, s16, s22
	s_or_b32 exec_lo, exec_lo, s19
	s_and_saveexec_b32 s19, s16
	s_cbranch_execnz .LBB4_4258
	s_branch .LBB4_4259
.LBB4_4477:                             ;   in Loop: Header=BB4_3733 Depth=3
	s_or_saveexec_b32 s19, s19
	v_mov_b32_e32 v109, 0x7f800001
	s_xor_b32 exec_lo, exec_lo, s19
	s_cbranch_execz .LBB4_4263
.LBB4_4478:                             ;   in Loop: Header=BB4_3733 Depth=3
	v_cmp_ne_u16_e32 vcc_lo, 0, v110
	v_mov_b32_e32 v109, 0
	s_andn2_b32 s16, s16, exec_lo
	s_and_b32 s22, vcc_lo, exec_lo
	s_or_b32 s16, s16, s22
	s_or_b32 exec_lo, exec_lo, s19
	s_and_saveexec_b32 s19, s16
	s_cbranch_execnz .LBB4_4264
	s_branch .LBB4_4265
.LBB4_4479:                             ;   in Loop: Header=BB4_3733 Depth=3
	s_or_saveexec_b32 s19, s19
	v_mov_b32_e32 v109, 0x7f800001
	s_xor_b32 exec_lo, exec_lo, s19
	s_cbranch_execz .LBB4_4277
.LBB4_4480:                             ;   in Loop: Header=BB4_3733 Depth=3
	v_cmp_ne_u16_sdwa s22, v14, v2 src0_sel:BYTE_3 src1_sel:DWORD
	v_mov_b32_e32 v109, 0
	s_andn2_b32 s16, s16, exec_lo
	s_and_b32 s22, s22, exec_lo
	s_or_b32 s16, s16, s22
	s_or_b32 exec_lo, exec_lo, s19
	s_and_saveexec_b32 s19, s16
	s_cbranch_execnz .LBB4_4278
	s_branch .LBB4_4279
.LBB4_4481:                             ;   in Loop: Header=BB4_3733 Depth=3
	s_or_saveexec_b32 s19, s19
	v_mov_b32_e32 v14, 0x7f800001
	s_xor_b32 exec_lo, exec_lo, s19
	s_cbranch_execz .LBB4_4283
.LBB4_4482:                             ;   in Loop: Header=BB4_3733 Depth=3
	v_cmp_ne_u16_sdwa s22, v10, v2 src0_sel:BYTE_3 src1_sel:DWORD
	v_mov_b32_e32 v14, 0
	s_andn2_b32 s16, s16, exec_lo
	s_and_b32 s22, s22, exec_lo
	s_or_b32 s16, s16, s22
	s_or_b32 exec_lo, exec_lo, s19
	s_and_saveexec_b32 s19, s16
	s_cbranch_execnz .LBB4_4284
	s_branch .LBB4_4285
.LBB4_4483:                             ;   in Loop: Header=BB4_3733 Depth=3
	s_or_saveexec_b32 s19, s19
	v_mov_b32_e32 v14, 0x7f800001
	s_xor_b32 exec_lo, exec_lo, s19
	s_cbranch_execz .LBB4_4297
.LBB4_4484:                             ;   in Loop: Header=BB4_3733 Depth=3
	v_cmp_ne_u16_sdwa s22, v15, v2 src0_sel:BYTE_0 src1_sel:DWORD
	v_mov_b32_e32 v14, 0
	s_andn2_b32 s16, s16, exec_lo
	s_and_b32 s22, s22, exec_lo
	s_or_b32 s16, s16, s22
	s_or_b32 exec_lo, exec_lo, s19
	s_and_saveexec_b32 s19, s16
	s_cbranch_execnz .LBB4_4298
	s_branch .LBB4_4299
.LBB4_4485:                             ;   in Loop: Header=BB4_3733 Depth=3
	s_or_saveexec_b32 s19, s19
	v_mov_b32_e32 v109, 0x7f800001
	s_xor_b32 exec_lo, exec_lo, s19
	s_cbranch_execz .LBB4_4303
.LBB4_4486:                             ;   in Loop: Header=BB4_3733 Depth=3
	v_cmp_ne_u16_sdwa s22, v11, v2 src0_sel:BYTE_0 src1_sel:DWORD
	v_mov_b32_e32 v109, 0
	s_andn2_b32 s16, s16, exec_lo
	s_and_b32 s22, s22, exec_lo
	s_or_b32 s16, s16, s22
	s_or_b32 exec_lo, exec_lo, s19
	s_and_saveexec_b32 s19, s16
	s_cbranch_execnz .LBB4_4304
	s_branch .LBB4_4305
.LBB4_4487:                             ;   in Loop: Header=BB4_3733 Depth=3
	s_or_saveexec_b32 s19, s19
	v_mov_b32_e32 v109, 0x7f800001
	s_xor_b32 exec_lo, exec_lo, s19
	s_cbranch_execz .LBB4_4317
.LBB4_4488:                             ;   in Loop: Header=BB4_3733 Depth=3
	v_cmp_ne_u16_sdwa s22, v15, v2 src0_sel:BYTE_1 src1_sel:DWORD
	v_mov_b32_e32 v109, 0
	s_andn2_b32 s16, s16, exec_lo
	s_and_b32 s22, s22, exec_lo
	s_or_b32 s16, s16, s22
	s_or_b32 exec_lo, exec_lo, s19
	s_and_saveexec_b32 s19, s16
	s_cbranch_execnz .LBB4_4318
	s_branch .LBB4_4319
.LBB4_4489:                             ;   in Loop: Header=BB4_3733 Depth=3
	s_or_saveexec_b32 s19, s19
	v_mov_b32_e32 v110, 0x7f800001
	s_xor_b32 exec_lo, exec_lo, s19
	s_cbranch_execz .LBB4_4323
.LBB4_4490:                             ;   in Loop: Header=BB4_3733 Depth=3
	v_cmp_ne_u16_sdwa s22, v11, v2 src0_sel:BYTE_1 src1_sel:DWORD
	v_mov_b32_e32 v110, 0
	s_andn2_b32 s16, s16, exec_lo
	s_and_b32 s22, s22, exec_lo
	s_or_b32 s16, s16, s22
	s_or_b32 exec_lo, exec_lo, s19
	s_and_saveexec_b32 s19, s16
	s_cbranch_execnz .LBB4_4324
	s_branch .LBB4_4325
.LBB4_4491:                             ;   in Loop: Header=BB4_3733 Depth=3
	s_or_saveexec_b32 s19, s19
	v_mov_b32_e32 v110, 0x7f800001
	s_xor_b32 exec_lo, exec_lo, s19
	s_cbranch_execz .LBB4_4337
.LBB4_4492:                             ;   in Loop: Header=BB4_3733 Depth=3
	v_cmp_ne_u16_e32 vcc_lo, 0, v111
	v_mov_b32_e32 v110, 0
	s_andn2_b32 s16, s16, exec_lo
	s_and_b32 s22, vcc_lo, exec_lo
	s_or_b32 s16, s16, s22
	s_or_b32 exec_lo, exec_lo, s19
	s_and_saveexec_b32 s19, s16
	s_cbranch_execnz .LBB4_4338
	s_branch .LBB4_4339
.LBB4_4493:                             ;   in Loop: Header=BB4_3733 Depth=3
	s_or_saveexec_b32 s19, s19
	v_mov_b32_e32 v111, 0x7f800001
	s_xor_b32 exec_lo, exec_lo, s19
	s_cbranch_execz .LBB4_4343
.LBB4_4494:                             ;   in Loop: Header=BB4_3733 Depth=3
	v_cmp_ne_u16_e32 vcc_lo, 0, v120
	v_mov_b32_e32 v111, 0
	s_andn2_b32 s16, s16, exec_lo
	s_and_b32 s22, vcc_lo, exec_lo
	s_or_b32 s16, s16, s22
	s_or_b32 exec_lo, exec_lo, s19
	s_and_saveexec_b32 s19, s16
	s_cbranch_execnz .LBB4_4344
	s_branch .LBB4_4345
.LBB4_4495:                             ;   in Loop: Header=BB4_3733 Depth=3
	s_or_saveexec_b32 s19, s19
	v_mov_b32_e32 v111, 0x7f800001
	s_xor_b32 exec_lo, exec_lo, s19
	s_cbranch_execz .LBB4_4357
.LBB4_4496:                             ;   in Loop: Header=BB4_3733 Depth=3
	v_cmp_ne_u16_sdwa s22, v15, v2 src0_sel:BYTE_3 src1_sel:DWORD
	v_mov_b32_e32 v111, 0
	s_andn2_b32 s16, s16, exec_lo
	s_and_b32 s22, s22, exec_lo
	s_or_b32 s16, s16, s22
	s_or_b32 exec_lo, exec_lo, s19
	s_and_saveexec_b32 s19, s16
	s_cbranch_execnz .LBB4_4358
	s_branch .LBB4_4359
.LBB4_4497:                             ;   in Loop: Header=BB4_3733 Depth=3
	s_or_saveexec_b32 s19, s19
	v_mov_b32_e32 v15, 0x7f800001
	s_xor_b32 exec_lo, exec_lo, s19
	s_cbranch_execz .LBB4_4363
.LBB4_4498:                             ;   in Loop: Header=BB4_3733 Depth=3
	v_cmp_ne_u16_sdwa s22, v11, v2 src0_sel:BYTE_3 src1_sel:DWORD
	v_mov_b32_e32 v15, 0
	s_andn2_b32 s16, s16, exec_lo
	s_and_b32 s22, s22, exec_lo
	s_or_b32 s16, s16, s22
	s_or_b32 exec_lo, exec_lo, s19
	s_and_saveexec_b32 s19, s16
	s_cbranch_execnz .LBB4_4364
	s_branch .LBB4_4365
.LBB4_4499:                             ;   in Loop: Header=BB4_2055 Depth=2
	s_or_b32 exec_lo, exec_lo, s18
.LBB4_4500:                             ;   in Loop: Header=BB4_2055 Depth=2
	s_or_b32 exec_lo, exec_lo, s17
	v_lshlrev_b32_e32 v22, 10, v97
	v_mov_b32_e32 v14, 0
	s_mov_b32 s16, 0
	s_mov_b32 s18, exec_lo
                                        ; implicit-def: $vgpr15
                                        ; implicit-def: $vgpr16
                                        ; implicit-def: $vgpr8
	v_cmpx_ne_u32_e64 v79, v22
	s_cbranch_execz .LBB4_4892
; %bb.4501:                             ;   in Loop: Header=BB4_2055 Depth=2
	v_lshlrev_b32_e32 v8, 5, v96
	v_sub_nc_u32_e32 v10, v79, v22
	s_mov_b32 s19, exec_lo
	v_sub_nc_u32_e32 v8, v58, v8
	v_ashrrev_i32_e32 v11, 31, v10
	v_ashrrev_i32_e32 v9, 31, v8
	v_lshrrev_b32_e32 v11, 23, v11
	v_lshrrev_b32_e32 v9, 27, v9
	v_add_nc_u32_e32 v11, v10, v11
	v_add_nc_u32_e32 v9, v8, v9
	v_and_b32_e32 v23, 0xfffffe00, v11
	v_ashrrev_i32_e32 v11, 9, v11
	v_and_b32_e32 v12, 0xffffffe0, v9
	v_sub_nc_u32_e32 v83, v10, v23
	v_ashrrev_i32_e32 v9, 5, v9
	v_sub_nc_u32_e32 v82, v8, v12
	v_cmp_lt_i32_e32 vcc_lo, 15, v83
	v_lshlrev_b32_e32 v8, 4, v82
	v_add_co_ci_u32_e64 v11, null, 0, v11, vcc_lo
	v_lshl_add_u32 v8, v9, 9, v8
	v_sub_nc_u32_e32 v84, v11, v9
	v_sub_nc_u32_e32 v85, v10, v8
	v_cmpx_lt_i32_e32 15, v85
	s_cbranch_execz .LBB4_4889
; %bb.4502:                             ;   in Loop: Header=BB4_2055 Depth=2
	s_trap 2
	ds_read_b64 v[9:10], v0
	v_add_nc_u32_e32 v8, v8, v22
	s_mov_b32 s22, 0
	v_ashrrev_i32_e32 v11, 31, v8
	v_add_co_u32 v16, s16, v8, v69
	v_add_co_ci_u32_e64 v17, null, v11, v70, s16
	s_waitcnt lgkmcnt(0)
	v_add_co_u32 v18, s16, v9, v8
	v_add_co_ci_u32_e64 v19, null, v10, v11, s16
	v_add_co_u32 v20, s16, v8, v80
	v_add_co_ci_u32_e64 v21, null, v11, v81, s16
	s_branch .LBB4_4506
.LBB4_4503:                             ;   in Loop: Header=BB4_4506 Depth=3
	s_or_b32 exec_lo, exec_lo, s16
	v_lshrrev_b32_e32 v91, 21, v91
	v_min_i32_e32 v92, 31, v15
	v_cmp_gt_i32_e64 s16, 32, v15
	v_and_b32_sdwa v11, v11, v116 dst_sel:DWORD dst_unused:UNUSED_PAD src0_sel:BYTE_3 src1_sel:DWORD
	v_lshlrev_b32_e32 v92, 2, v92
	v_cndmask_b32_e64 v91, 3, v91, s16
	v_and_b32_e32 v92, 0xfc, v92
	v_and_b32_e32 v93, 3, v91
	v_or_b32_e32 v15, v15, v91
	v_or3_b32 v11, v11, v92, v93
	v_cmp_ne_u32_e64 s16, 0, v15
	v_lshlrev_b32_e32 v11, 8, v11
	v_cndmask_b32_e64 v15, 0, v11, s16
.LBB4_4504:                             ;   in Loop: Header=BB4_4506 Depth=3
	s_or_b32 exec_lo, exec_lo, s72
.LBB4_4505:                             ;   in Loop: Header=BB4_4506 Depth=3
	s_or_b32 exec_lo, exec_lo, s23
	v_or_b32_sdwa v9, v9, v98 dst_sel:WORD_1 dst_unused:UNUSED_PAD src0_sel:DWORD src1_sel:DWORD
	v_or_b32_sdwa v8, v8, v96 dst_sel:WORD_1 dst_unused:UNUSED_PAD src0_sel:DWORD src1_sel:DWORD
	;; [unrolled: 1-line block ×4, first 2 shown]
	v_sub_nc_u32_e32 v85, v85, v43
	v_or3_b32 v9, v97, v12, v9
	v_or3_b32 v8, v87, v86, v8
	;; [unrolled: 1-line block ×4, first 2 shown]
	v_add_co_u32 v16, s16, v16, v43
	v_add_co_ci_u32_e64 v17, null, 0, v17, s16
	v_add_co_u32 v18, s16, v18, v43
	global_store_dwordx4 v[20:21], v[8:11], off glc slc
	v_add_co_ci_u32_e64 v19, null, 0, v19, s16
	v_cmp_gt_i32_e64 s16, 16, v85
	v_add_co_u32 v20, s17, v20, v43
	v_add_co_ci_u32_e64 v21, null, 0, v21, s17
	v_sub_nc_u32_e32 v84, v84, v103
	s_or_b32 s22, s16, s22
	s_andn2_b32 exec_lo, exec_lo, s22
	s_cbranch_execz .LBB4_4888
.LBB4_4506:                             ;   Parent Loop BB4_47 Depth=1
                                        ;     Parent Loop BB4_2055 Depth=2
                                        ; =>    This Inner Loop Header: Depth=3
	global_load_dwordx4 v[12:15], v[16:17], off slc
	global_load_dwordx4 v[8:11], v[18:19], off slc
	s_mov_b32 s16, 0
	s_waitcnt vmcnt(1)
	v_cmp_gt_i16_sdwa s17, v12, v115 src0_sel:BYTE_0 src1_sel:DWORD
	s_and_saveexec_b32 s23, s17
	s_xor_b32 s17, exec_lo, s23
	s_cbranch_execz .LBB4_4824
; %bb.4507:                             ;   in Loop: Header=BB4_4506 Depth=3
	v_cmp_eq_u16_sdwa s72, v12, v116 src0_sel:BYTE_0 src1_sel:DWORD
	s_mov_b32 s16, -1
	s_and_saveexec_b32 s23, s72
; %bb.4508:                             ;   in Loop: Header=BB4_4506 Depth=3
	s_xor_b32 s16, exec_lo, -1
; %bb.4509:                             ;   in Loop: Header=BB4_4506 Depth=3
	s_or_b32 exec_lo, exec_lo, s23
	s_and_b32 s16, s16, exec_lo
	s_or_saveexec_b32 s17, s17
	v_mov_b32_e32 v86, 0x7f800001
	s_xor_b32 exec_lo, exec_lo, s17
	s_cbranch_execnz .LBB4_4825
.LBB4_4510:                             ;   in Loop: Header=BB4_4506 Depth=3
	s_or_b32 exec_lo, exec_lo, s17
	s_and_saveexec_b32 s17, s16
	s_cbranch_execz .LBB4_4512
.LBB4_4511:                             ;   in Loop: Header=BB4_4506 Depth=3
	v_and_b32_e32 v86, 3, v12
	v_bfe_u32 v97, v12, 2, 5
	v_lshlrev_b32_e32 v98, 24, v12
	v_ffbh_u32_e32 v87, v86
	v_cmp_eq_u32_e64 s16, 0, v97
	v_min_u32_e32 v87, 32, v87
	v_subrev_nc_u32_e32 v96, 29, v87
	v_sub_nc_u32_e32 v87, 30, v87
	v_lshlrev_b32_e32 v96, v96, v12
	v_cndmask_b32_e64 v87, v97, v87, s16
	v_and_b32_e32 v96, 3, v96
	v_lshl_add_u32 v87, v87, 23, 0x37800000
	v_cndmask_b32_e64 v86, v86, v96, s16
	v_and_b32_e32 v96, 0x80000000, v98
	v_lshlrev_b32_e32 v86, 21, v86
	v_or3_b32 v86, v96, v87, v86
.LBB4_4512:                             ;   in Loop: Header=BB4_4506 Depth=3
	s_or_b32 exec_lo, exec_lo, s17
	s_waitcnt vmcnt(0)
	v_cmp_gt_i16_sdwa s17, v8, v115 src0_sel:BYTE_0 src1_sel:DWORD
	s_mov_b32 s16, 0
	s_and_saveexec_b32 s23, s17
	s_xor_b32 s17, exec_lo, s23
	s_cbranch_execz .LBB4_4826
; %bb.4513:                             ;   in Loop: Header=BB4_4506 Depth=3
	v_cmp_eq_u16_sdwa s72, v8, v116 src0_sel:BYTE_0 src1_sel:DWORD
	s_mov_b32 s16, -1
	s_and_saveexec_b32 s23, s72
; %bb.4514:                             ;   in Loop: Header=BB4_4506 Depth=3
	s_xor_b32 s16, exec_lo, -1
; %bb.4515:                             ;   in Loop: Header=BB4_4506 Depth=3
	s_or_b32 exec_lo, exec_lo, s23
	s_and_b32 s16, s16, exec_lo
	s_or_saveexec_b32 s17, s17
	v_mov_b32_e32 v87, 0x7f800001
	s_xor_b32 exec_lo, exec_lo, s17
	s_cbranch_execnz .LBB4_4827
.LBB4_4516:                             ;   in Loop: Header=BB4_4506 Depth=3
	s_or_b32 exec_lo, exec_lo, s17
	s_and_saveexec_b32 s17, s16
	s_cbranch_execz .LBB4_4518
.LBB4_4517:                             ;   in Loop: Header=BB4_4506 Depth=3
	v_and_b32_e32 v87, 3, v8
	v_bfe_u32 v98, v8, 2, 5
	v_lshlrev_b32_e32 v99, 24, v8
	v_ffbh_u32_e32 v96, v87
	v_cmp_eq_u32_e64 s16, 0, v98
	v_min_u32_e32 v96, 32, v96
	v_subrev_nc_u32_e32 v97, 29, v96
	v_sub_nc_u32_e32 v96, 30, v96
	v_lshlrev_b32_e32 v97, v97, v8
	v_cndmask_b32_e64 v96, v98, v96, s16
	v_and_b32_e32 v97, 3, v97
	v_lshl_add_u32 v96, v96, 23, 0x37800000
	v_cndmask_b32_e64 v87, v87, v97, s16
	v_and_b32_e32 v97, 0x80000000, v99
	v_lshlrev_b32_e32 v87, 21, v87
	v_or3_b32 v87, v97, v96, v87
.LBB4_4518:                             ;   in Loop: Header=BB4_4506 Depth=3
	s_or_b32 exec_lo, exec_lo, s17
	v_mul_f32_e32 v87, v86, v87
	v_and_b32_e32 v86, 0x7f800000, v87
	v_cmp_ne_u32_e64 s16, 0x7f800000, v86
	v_mov_b32_e32 v86, 0x80
	s_and_saveexec_b32 s23, s16
	s_cbranch_execz .LBB4_4526
; %bb.4519:                             ;   in Loop: Header=BB4_4506 Depth=3
	v_mov_b32_e32 v86, 0
	s_mov_b32 s72, exec_lo
	v_cmpx_ne_u32_e32 0, v87
	s_cbranch_execz .LBB4_4525
; %bb.4520:                             ;   in Loop: Header=BB4_4506 Depth=3
	v_bfe_u32 v86, v87, 23, 8
	v_and_b32_e32 v96, 0x7fffff, v87
	v_sub_nc_u32_e32 v97, 0x70, v86
	v_cmp_gt_u32_e64 s16, 0x71, v86
	v_or_b32_e32 v98, 0x800000, v96
	v_cndmask_b32_e64 v97, 0, v97, s16
	v_cmp_eq_u32_e64 s16, 0, v86
	v_add_nc_u32_e32 v86, 0xffffff91, v86
	v_cndmask_b32_e64 v97, v97, 0x6f, s16
	v_cndmask_b32_e64 v96, v98, v96, s16
	;; [unrolled: 1-line block ×3, first 2 shown]
	v_lshl_add_u32 v98, 0x200000, v97, -1
	v_lshrrev_b32_e32 v99, v97, v96
	v_lshlrev_b32_e64 v89, v97, 0x100000
	v_add_nc_u32_e32 v97, v97, v86
	v_and_b32_e32 v96, v98, v96
	v_bfe_u32 v88, v99, 21, 1
	v_cmp_eq_u32_e64 s17, v96, v89
	v_add_nc_u32_e32 v98, -1, v88
	v_cndmask_b32_e64 v96, 0, v98, s17
	v_lshrrev_b32_e32 v98, 23, v99
	s_mov_b32 s17, exec_lo
	v_add_nc_u32_e32 v96, v96, v99
	v_xor_b32_e32 v98, 1, v98
	v_and_b32_e32 v86, 0x1fffff, v96
	v_add_nc_u32_e32 v96, v86, v99
                                        ; implicit-def: $vgpr86
	v_cmpx_ne_u32_e64 v97, v98
	s_xor_b32 s17, exec_lo, s17
; %bb.4521:                             ;   in Loop: Header=BB4_4506 Depth=3
	v_cmp_lt_u32_e64 s16, 0xffffff, v96
	v_sub_nc_u32_e32 v86, v97, v98
	v_cndmask_b32_e64 v97, 0, 1, s16
	v_add_co_ci_u32_e64 v86, null, 0, v86, s16
	v_lshrrev_b32_e32 v96, v97, v96
; %bb.4522:                             ;   in Loop: Header=BB4_4506 Depth=3
	s_andn2_saveexec_b32 s16, s17
; %bb.4523:                             ;   in Loop: Header=BB4_4506 Depth=3
	v_bfe_u32 v86, v96, 23, 1
; %bb.4524:                             ;   in Loop: Header=BB4_4506 Depth=3
	s_or_b32 exec_lo, exec_lo, s16
	v_lshrrev_b32_e32 v96, 21, v96
	v_min_i32_e32 v97, 31, v86
	v_cmp_gt_i32_e64 s16, 32, v86
	v_and_b32_sdwa v87, v87, v116 dst_sel:DWORD dst_unused:UNUSED_PAD src0_sel:BYTE_3 src1_sel:DWORD
	v_lshlrev_b32_e32 v97, 2, v97
	v_cndmask_b32_e64 v96, 3, v96, s16
	v_and_b32_e32 v97, 0xfc, v97
	v_and_b32_e32 v98, 3, v96
	v_or_b32_e32 v86, v86, v96
	v_or3_b32 v87, v97, v87, v98
	v_cmp_ne_u32_e64 s16, 0, v86
	v_cndmask_b32_e64 v86, 0, v87, s16
.LBB4_4525:                             ;   in Loop: Header=BB4_4506 Depth=3
	s_or_b32 exec_lo, exec_lo, s72
.LBB4_4526:                             ;   in Loop: Header=BB4_4506 Depth=3
	s_or_b32 exec_lo, exec_lo, s23
	v_cmp_gt_i16_sdwa s17, v12, v115 src0_sel:BYTE_1 src1_sel:DWORD
	s_mov_b32 s16, 0
	s_and_saveexec_b32 s23, s17
	s_xor_b32 s17, exec_lo, s23
	s_cbranch_execz .LBB4_4828
; %bb.4527:                             ;   in Loop: Header=BB4_4506 Depth=3
	v_cmp_eq_u16_sdwa s72, v12, v116 src0_sel:BYTE_1 src1_sel:DWORD
	s_mov_b32 s16, -1
	s_and_saveexec_b32 s23, s72
; %bb.4528:                             ;   in Loop: Header=BB4_4506 Depth=3
	s_xor_b32 s16, exec_lo, -1
; %bb.4529:                             ;   in Loop: Header=BB4_4506 Depth=3
	s_or_b32 exec_lo, exec_lo, s23
	s_and_b32 s16, s16, exec_lo
	s_or_saveexec_b32 s17, s17
	v_mov_b32_e32 v87, 0x7f800001
	s_xor_b32 exec_lo, exec_lo, s17
	s_cbranch_execnz .LBB4_4829
.LBB4_4530:                             ;   in Loop: Header=BB4_4506 Depth=3
	s_or_b32 exec_lo, exec_lo, s17
	s_and_saveexec_b32 s17, s16
	s_cbranch_execz .LBB4_4532
.LBB4_4531:                             ;   in Loop: Header=BB4_4506 Depth=3
	v_and_b32_sdwa v87, v117, v12 dst_sel:DWORD dst_unused:UNUSED_PAD src0_sel:DWORD src1_sel:BYTE_1
	v_and_b32_e32 v96, 3, v87
	v_bfe_u32 v99, v87, 2, 5
	v_ffbh_u32_e32 v97, v96
	v_cmp_eq_u32_e64 s16, 0, v99
	v_min_u32_e32 v97, 32, v97
	v_subrev_nc_u32_e32 v98, 29, v97
	v_sub_nc_u32_e32 v97, 30, v97
	v_lshlrev_b32_e32 v87, v98, v87
	v_lshlrev_b32_sdwa v98, v118, v12 dst_sel:DWORD dst_unused:UNUSED_PAD src0_sel:DWORD src1_sel:BYTE_1
	v_cndmask_b32_e64 v97, v99, v97, s16
	v_and_b32_e32 v87, 3, v87
	v_lshl_add_u32 v97, v97, 23, 0x37800000
	v_cndmask_b32_e64 v87, v96, v87, s16
	v_and_b32_e32 v96, 0x80000000, v98
	v_lshlrev_b32_e32 v87, 21, v87
	v_or3_b32 v87, v96, v97, v87
.LBB4_4532:                             ;   in Loop: Header=BB4_4506 Depth=3
	s_or_b32 exec_lo, exec_lo, s17
	v_cmp_gt_i16_sdwa s17, v8, v115 src0_sel:BYTE_1 src1_sel:DWORD
	s_mov_b32 s16, 0
	s_and_saveexec_b32 s23, s17
	s_xor_b32 s17, exec_lo, s23
	s_cbranch_execz .LBB4_4830
; %bb.4533:                             ;   in Loop: Header=BB4_4506 Depth=3
	v_cmp_eq_u16_sdwa s72, v8, v116 src0_sel:BYTE_1 src1_sel:DWORD
	s_mov_b32 s16, -1
	s_and_saveexec_b32 s23, s72
; %bb.4534:                             ;   in Loop: Header=BB4_4506 Depth=3
	s_xor_b32 s16, exec_lo, -1
; %bb.4535:                             ;   in Loop: Header=BB4_4506 Depth=3
	s_or_b32 exec_lo, exec_lo, s23
	s_and_b32 s16, s16, exec_lo
	s_or_saveexec_b32 s17, s17
	v_mov_b32_e32 v96, 0x7f800001
	s_xor_b32 exec_lo, exec_lo, s17
	s_cbranch_execnz .LBB4_4831
.LBB4_4536:                             ;   in Loop: Header=BB4_4506 Depth=3
	s_or_b32 exec_lo, exec_lo, s17
	s_and_saveexec_b32 s17, s16
	s_cbranch_execz .LBB4_4538
.LBB4_4537:                             ;   in Loop: Header=BB4_4506 Depth=3
	v_and_b32_sdwa v96, v117, v8 dst_sel:DWORD dst_unused:UNUSED_PAD src0_sel:DWORD src1_sel:BYTE_1
	v_and_b32_e32 v97, 3, v96
	v_bfe_u32 v88, v96, 2, 5
	v_ffbh_u32_e32 v98, v97
	v_cmp_eq_u32_e64 s16, 0, v88
	v_min_u32_e32 v98, 32, v98
	v_subrev_nc_u32_e32 v99, 29, v98
	v_sub_nc_u32_e32 v98, 30, v98
	v_lshlrev_b32_e32 v96, v99, v96
	v_lshlrev_b32_sdwa v99, v118, v8 dst_sel:DWORD dst_unused:UNUSED_PAD src0_sel:DWORD src1_sel:BYTE_1
	v_cndmask_b32_e64 v98, v88, v98, s16
	v_and_b32_e32 v96, 3, v96
	v_lshl_add_u32 v98, v98, 23, 0x37800000
	v_cndmask_b32_e64 v96, v97, v96, s16
	v_and_b32_e32 v97, 0x80000000, v99
	v_lshlrev_b32_e32 v96, 21, v96
	v_or3_b32 v96, v97, v98, v96
.LBB4_4538:                             ;   in Loop: Header=BB4_4506 Depth=3
	s_or_b32 exec_lo, exec_lo, s17
	v_mul_f32_e32 v96, v87, v96
	v_and_b32_e32 v87, 0x7f800000, v96
	v_cmp_ne_u32_e64 s16, 0x7f800000, v87
	v_mov_b32_e32 v87, 0x8000
	s_and_saveexec_b32 s23, s16
	s_cbranch_execz .LBB4_4546
; %bb.4539:                             ;   in Loop: Header=BB4_4506 Depth=3
	v_mov_b32_e32 v87, 0
	s_mov_b32 s72, exec_lo
	v_cmpx_ne_u32_e32 0, v96
	s_cbranch_execz .LBB4_4545
; %bb.4540:                             ;   in Loop: Header=BB4_4506 Depth=3
	v_bfe_u32 v87, v96, 23, 8
	v_and_b32_e32 v97, 0x7fffff, v96
	v_sub_nc_u32_e32 v98, 0x70, v87
	v_cmp_gt_u32_e64 s16, 0x71, v87
	v_or_b32_e32 v99, 0x800000, v97
	v_cndmask_b32_e64 v98, 0, v98, s16
	v_cmp_eq_u32_e64 s16, 0, v87
	v_add_nc_u32_e32 v87, 0xffffff91, v87
	v_cndmask_b32_e64 v98, v98, 0x6f, s16
	v_cndmask_b32_e64 v97, v99, v97, s16
	v_cndmask_b32_e64 v87, v87, 0xffffff92, s16
	v_lshl_add_u32 v99, 0x200000, v98, -1
	v_lshrrev_b32_e32 v88, v98, v97
	v_lshlrev_b32_e64 v90, v98, 0x100000
	v_add_nc_u32_e32 v98, v98, v87
	v_and_b32_e32 v97, v99, v97
	v_bfe_u32 v89, v88, 21, 1
	v_cmp_eq_u32_e64 s17, v97, v90
	v_add_nc_u32_e32 v99, -1, v89
	v_cndmask_b32_e64 v97, 0, v99, s17
	v_lshrrev_b32_e32 v99, 23, v88
	s_mov_b32 s17, exec_lo
	v_add_nc_u32_e32 v97, v97, v88
	v_xor_b32_e32 v99, 1, v99
	v_and_b32_e32 v87, 0x1fffff, v97
	v_add_nc_u32_e32 v97, v87, v88
                                        ; implicit-def: $vgpr87
	v_cmpx_ne_u32_e64 v98, v99
	s_xor_b32 s17, exec_lo, s17
; %bb.4541:                             ;   in Loop: Header=BB4_4506 Depth=3
	v_cmp_lt_u32_e64 s16, 0xffffff, v97
	v_sub_nc_u32_e32 v87, v98, v99
	v_cndmask_b32_e64 v98, 0, 1, s16
	v_add_co_ci_u32_e64 v87, null, 0, v87, s16
	v_lshrrev_b32_e32 v97, v98, v97
; %bb.4542:                             ;   in Loop: Header=BB4_4506 Depth=3
	s_andn2_saveexec_b32 s16, s17
; %bb.4543:                             ;   in Loop: Header=BB4_4506 Depth=3
	v_bfe_u32 v87, v97, 23, 1
; %bb.4544:                             ;   in Loop: Header=BB4_4506 Depth=3
	s_or_b32 exec_lo, exec_lo, s16
	v_lshrrev_b32_e32 v97, 21, v97
	v_min_i32_e32 v98, 31, v87
	v_cmp_gt_i32_e64 s16, 32, v87
	v_and_b32_sdwa v96, v96, v116 dst_sel:DWORD dst_unused:UNUSED_PAD src0_sel:BYTE_3 src1_sel:DWORD
	v_lshlrev_b32_e32 v98, 2, v98
	v_cndmask_b32_e64 v97, 3, v97, s16
	v_and_b32_e32 v98, 0xfc, v98
	v_and_b32_e32 v99, 3, v97
	v_or_b32_e32 v87, v87, v97
	v_or3_b32 v96, v96, v98, v99
	v_cmp_ne_u32_e64 s16, 0, v87
	v_lshlrev_b32_e32 v96, 8, v96
	v_cndmask_b32_e64 v87, 0, v96, s16
.LBB4_4545:                             ;   in Loop: Header=BB4_4506 Depth=3
	s_or_b32 exec_lo, exec_lo, s72
.LBB4_4546:                             ;   in Loop: Header=BB4_4506 Depth=3
	s_or_b32 exec_lo, exec_lo, s23
	v_and_b32_sdwa v97, v12, v119 dst_sel:DWORD dst_unused:UNUSED_PAD src0_sel:WORD_1 src1_sel:DWORD
	s_mov_b32 s17, 0
	s_mov_b32 s23, exec_lo
	v_cmpx_lt_i16_e32 0x7f, v97
	s_xor_b32 s23, exec_lo, s23
	s_cbranch_execz .LBB4_4832
; %bb.4547:                             ;   in Loop: Header=BB4_4506 Depth=3
	s_mov_b32 s17, -1
	s_mov_b32 s72, exec_lo
	v_cmpx_eq_u16_e32 0x80, v97
; %bb.4548:                             ;   in Loop: Header=BB4_4506 Depth=3
	s_xor_b32 s17, exec_lo, -1
; %bb.4549:                             ;   in Loop: Header=BB4_4506 Depth=3
	s_or_b32 exec_lo, exec_lo, s72
	s_and_b32 s17, s17, exec_lo
                                        ; implicit-def: $vgpr97
	s_or_saveexec_b32 s23, s23
	v_mov_b32_e32 v96, 0x7f800001
	s_xor_b32 exec_lo, exec_lo, s23
	s_cbranch_execnz .LBB4_4833
.LBB4_4550:                             ;   in Loop: Header=BB4_4506 Depth=3
	s_or_b32 exec_lo, exec_lo, s23
	s_and_saveexec_b32 s23, s17
	s_cbranch_execz .LBB4_4552
.LBB4_4551:                             ;   in Loop: Header=BB4_4506 Depth=3
	v_bfe_u32 v96, v12, 16, 2
	v_bfe_u32 v99, v12, 18, 5
	v_lshlrev_b32_e32 v88, 8, v12
	v_ffbh_u32_e32 v97, v96
	v_cmp_eq_u32_e64 s16, 0, v99
	v_min_u32_e32 v97, 32, v97
	v_subrev_nc_u32_e32 v98, 29, v97
	v_sub_nc_u32_e32 v97, 30, v97
	v_lshlrev_b32_sdwa v98, v98, v12 dst_sel:DWORD dst_unused:UNUSED_PAD src0_sel:DWORD src1_sel:WORD_1
	v_cndmask_b32_e64 v97, v99, v97, s16
	v_and_b32_e32 v98, 3, v98
	v_lshl_add_u32 v97, v97, 23, 0x37800000
	v_cndmask_b32_e64 v96, v96, v98, s16
	v_and_b32_e32 v98, 0x80000000, v88
	v_lshlrev_b32_e32 v96, 21, v96
	v_or3_b32 v96, v98, v97, v96
.LBB4_4552:                             ;   in Loop: Header=BB4_4506 Depth=3
	s_or_b32 exec_lo, exec_lo, s23
	v_and_b32_sdwa v98, v8, v119 dst_sel:DWORD dst_unused:UNUSED_PAD src0_sel:WORD_1 src1_sel:DWORD
	s_mov_b32 s17, 0
	s_mov_b32 s23, exec_lo
	v_cmpx_lt_i16_e32 0x7f, v98
	s_xor_b32 s23, exec_lo, s23
	s_cbranch_execz .LBB4_4834
; %bb.4553:                             ;   in Loop: Header=BB4_4506 Depth=3
	s_mov_b32 s17, -1
	s_mov_b32 s72, exec_lo
	v_cmpx_eq_u16_e32 0x80, v98
; %bb.4554:                             ;   in Loop: Header=BB4_4506 Depth=3
	s_xor_b32 s17, exec_lo, -1
; %bb.4555:                             ;   in Loop: Header=BB4_4506 Depth=3
	s_or_b32 exec_lo, exec_lo, s72
	s_and_b32 s17, s17, exec_lo
                                        ; implicit-def: $vgpr98
	s_or_saveexec_b32 s23, s23
	v_mov_b32_e32 v97, 0x7f800001
	s_xor_b32 exec_lo, exec_lo, s23
	s_cbranch_execnz .LBB4_4835
.LBB4_4556:                             ;   in Loop: Header=BB4_4506 Depth=3
	s_or_b32 exec_lo, exec_lo, s23
	s_and_saveexec_b32 s23, s17
	s_cbranch_execz .LBB4_4558
.LBB4_4557:                             ;   in Loop: Header=BB4_4506 Depth=3
	v_and_b32_sdwa v97, v8, v40 dst_sel:DWORD dst_unused:UNUSED_PAD src0_sel:WORD_1 src1_sel:DWORD
	v_bfe_u32 v88, v8, 18, 5
	v_lshlrev_b32_sdwa v89, v118, v8 dst_sel:DWORD dst_unused:UNUSED_PAD src0_sel:DWORD src1_sel:WORD_1
	v_ffbh_u32_e32 v98, v97
	v_cmp_eq_u32_e64 s16, 0, v88
	v_min_u32_e32 v98, 32, v98
	v_subrev_nc_u32_e32 v99, 29, v98
	v_sub_nc_u32_e32 v98, 30, v98
	v_lshlrev_b32_sdwa v99, v99, v8 dst_sel:DWORD dst_unused:UNUSED_PAD src0_sel:DWORD src1_sel:WORD_1
	v_cndmask_b32_e64 v98, v88, v98, s16
	v_and_b32_e32 v99, 3, v99
	v_lshl_add_u32 v98, v98, 23, 0x37800000
	v_cndmask_b32_e64 v97, v97, v99, s16
	v_and_b32_e32 v99, 0x80000000, v89
	v_lshlrev_b32_e32 v97, 21, v97
	v_or3_b32 v97, v99, v98, v97
.LBB4_4558:                             ;   in Loop: Header=BB4_4506 Depth=3
	s_or_b32 exec_lo, exec_lo, s23
	v_mul_f32_e32 v97, v96, v97
	v_and_b32_e32 v96, 0x7f800000, v97
	v_cmp_ne_u32_e64 s16, 0x7f800000, v96
	v_mov_b32_e32 v96, 0x80
	s_and_saveexec_b32 s23, s16
	s_cbranch_execz .LBB4_4566
; %bb.4559:                             ;   in Loop: Header=BB4_4506 Depth=3
	v_mov_b32_e32 v96, 0
	s_mov_b32 s72, exec_lo
	v_cmpx_ne_u32_e32 0, v97
	s_cbranch_execz .LBB4_4565
; %bb.4560:                             ;   in Loop: Header=BB4_4506 Depth=3
	v_bfe_u32 v96, v97, 23, 8
	v_and_b32_e32 v98, 0x7fffff, v97
	v_sub_nc_u32_e32 v99, 0x70, v96
	v_cmp_gt_u32_e64 s16, 0x71, v96
	v_or_b32_e32 v88, 0x800000, v98
	v_cndmask_b32_e64 v99, 0, v99, s16
	v_cmp_eq_u32_e64 s16, 0, v96
	v_add_nc_u32_e32 v96, 0xffffff91, v96
	v_cndmask_b32_e64 v99, v99, 0x6f, s16
	v_cndmask_b32_e64 v98, v88, v98, s16
	;; [unrolled: 1-line block ×3, first 2 shown]
	v_lshl_add_u32 v88, 0x200000, v99, -1
	v_lshrrev_b32_e32 v89, v99, v98
	v_lshlrev_b32_e64 v91, v99, 0x100000
	v_add_nc_u32_e32 v99, v99, v96
	v_and_b32_e32 v98, v88, v98
	v_bfe_u32 v90, v89, 21, 1
	v_cmp_eq_u32_e64 s17, v98, v91
	v_add_nc_u32_e32 v88, -1, v90
	v_cndmask_b32_e64 v98, 0, v88, s17
	v_lshrrev_b32_e32 v88, 23, v89
	s_mov_b32 s17, exec_lo
	v_add_nc_u32_e32 v98, v98, v89
	v_xor_b32_e32 v88, 1, v88
	v_and_b32_e32 v96, 0x1fffff, v98
	v_add_nc_u32_e32 v98, v96, v89
                                        ; implicit-def: $vgpr96
	v_cmpx_ne_u32_e64 v99, v88
	s_xor_b32 s17, exec_lo, s17
; %bb.4561:                             ;   in Loop: Header=BB4_4506 Depth=3
	v_cmp_lt_u32_e64 s16, 0xffffff, v98
	v_sub_nc_u32_e32 v96, v99, v88
	v_cndmask_b32_e64 v99, 0, 1, s16
	v_add_co_ci_u32_e64 v96, null, 0, v96, s16
	v_lshrrev_b32_e32 v98, v99, v98
; %bb.4562:                             ;   in Loop: Header=BB4_4506 Depth=3
	s_andn2_saveexec_b32 s16, s17
; %bb.4563:                             ;   in Loop: Header=BB4_4506 Depth=3
	v_bfe_u32 v96, v98, 23, 1
; %bb.4564:                             ;   in Loop: Header=BB4_4506 Depth=3
	s_or_b32 exec_lo, exec_lo, s16
	v_lshrrev_b32_e32 v98, 21, v98
	v_min_i32_e32 v99, 31, v96
	v_cmp_gt_i32_e64 s16, 32, v96
	v_and_b32_sdwa v97, v97, v116 dst_sel:DWORD dst_unused:UNUSED_PAD src0_sel:BYTE_3 src1_sel:DWORD
	v_lshlrev_b32_e32 v99, 2, v99
	v_cndmask_b32_e64 v98, 3, v98, s16
	v_and_b32_e32 v99, 0xfc, v99
	v_and_b32_e32 v88, 3, v98
	v_or_b32_e32 v96, v96, v98
	v_or3_b32 v97, v99, v97, v88
	v_cmp_ne_u32_e64 s16, 0, v96
	v_cndmask_b32_e64 v96, 0, v97, s16
.LBB4_4565:                             ;   in Loop: Header=BB4_4506 Depth=3
	s_or_b32 exec_lo, exec_lo, s72
.LBB4_4566:                             ;   in Loop: Header=BB4_4506 Depth=3
	s_or_b32 exec_lo, exec_lo, s23
	v_cmp_gt_i16_sdwa s17, v12, v115 src0_sel:BYTE_3 src1_sel:DWORD
	s_mov_b32 s16, 0
	s_and_saveexec_b32 s23, s17
	s_xor_b32 s17, exec_lo, s23
	s_cbranch_execz .LBB4_4836
; %bb.4567:                             ;   in Loop: Header=BB4_4506 Depth=3
	v_cmp_eq_u16_sdwa s72, v12, v116 src0_sel:BYTE_3 src1_sel:DWORD
	s_mov_b32 s16, -1
	s_and_saveexec_b32 s23, s72
; %bb.4568:                             ;   in Loop: Header=BB4_4506 Depth=3
	s_xor_b32 s16, exec_lo, -1
; %bb.4569:                             ;   in Loop: Header=BB4_4506 Depth=3
	s_or_b32 exec_lo, exec_lo, s23
	s_and_b32 s16, s16, exec_lo
	s_or_saveexec_b32 s17, s17
	v_mov_b32_e32 v97, 0x7f800001
	s_xor_b32 exec_lo, exec_lo, s17
	s_cbranch_execnz .LBB4_4837
.LBB4_4570:                             ;   in Loop: Header=BB4_4506 Depth=3
	s_or_b32 exec_lo, exec_lo, s17
	s_and_saveexec_b32 s17, s16
	s_cbranch_execz .LBB4_4572
.LBB4_4571:                             ;   in Loop: Header=BB4_4506 Depth=3
	v_bfe_u32 v97, v12, 24, 2
	v_bfe_u32 v88, v12, 26, 5
	v_ffbh_u32_e32 v98, v97
	v_cmp_eq_u32_e64 s16, 0, v88
	v_min_u32_e32 v98, 32, v98
	v_subrev_nc_u32_e32 v99, 29, v98
	v_sub_nc_u32_e32 v98, 30, v98
	v_lshlrev_b32_sdwa v99, v99, v12 dst_sel:DWORD dst_unused:UNUSED_PAD src0_sel:DWORD src1_sel:BYTE_3
	v_cndmask_b32_e64 v98, v88, v98, s16
	v_and_b32_e32 v12, 0x80000000, v12
	v_and_b32_e32 v99, 3, v99
	v_lshl_add_u32 v98, v98, 23, 0x37800000
	v_cndmask_b32_e64 v97, v97, v99, s16
	v_lshlrev_b32_e32 v97, 21, v97
	v_or3_b32 v97, v12, v98, v97
.LBB4_4572:                             ;   in Loop: Header=BB4_4506 Depth=3
	s_or_b32 exec_lo, exec_lo, s17
	v_cmp_gt_i16_sdwa s17, v8, v115 src0_sel:BYTE_3 src1_sel:DWORD
	s_mov_b32 s16, 0
	s_and_saveexec_b32 s23, s17
	s_xor_b32 s17, exec_lo, s23
	s_cbranch_execz .LBB4_4838
; %bb.4573:                             ;   in Loop: Header=BB4_4506 Depth=3
	v_cmp_eq_u16_sdwa s72, v8, v116 src0_sel:BYTE_3 src1_sel:DWORD
	s_mov_b32 s16, -1
	s_and_saveexec_b32 s23, s72
; %bb.4574:                             ;   in Loop: Header=BB4_4506 Depth=3
	s_xor_b32 s16, exec_lo, -1
; %bb.4575:                             ;   in Loop: Header=BB4_4506 Depth=3
	s_or_b32 exec_lo, exec_lo, s23
	s_and_b32 s16, s16, exec_lo
	s_or_saveexec_b32 s17, s17
	v_mov_b32_e32 v12, 0x7f800001
	s_xor_b32 exec_lo, exec_lo, s17
	s_cbranch_execnz .LBB4_4839
.LBB4_4576:                             ;   in Loop: Header=BB4_4506 Depth=3
	s_or_b32 exec_lo, exec_lo, s17
	s_and_saveexec_b32 s17, s16
	s_cbranch_execz .LBB4_4578
.LBB4_4577:                             ;   in Loop: Header=BB4_4506 Depth=3
	v_and_b32_sdwa v12, v8, v40 dst_sel:DWORD dst_unused:UNUSED_PAD src0_sel:BYTE_3 src1_sel:DWORD
	v_bfe_u32 v88, v8, 26, 5
	v_ffbh_u32_e32 v98, v12
	v_cmp_eq_u32_e64 s16, 0, v88
	v_min_u32_e32 v98, 32, v98
	v_subrev_nc_u32_e32 v99, 29, v98
	v_sub_nc_u32_e32 v98, 30, v98
	v_lshlrev_b32_sdwa v99, v99, v8 dst_sel:DWORD dst_unused:UNUSED_PAD src0_sel:DWORD src1_sel:BYTE_3
	v_cndmask_b32_e64 v98, v88, v98, s16
	v_and_b32_e32 v8, 0x80000000, v8
	v_and_b32_e32 v99, 3, v99
	v_lshl_add_u32 v98, v98, 23, 0x37800000
	v_cndmask_b32_e64 v12, v12, v99, s16
	v_lshlrev_b32_e32 v12, 21, v12
	v_or3_b32 v12, v8, v98, v12
.LBB4_4578:                             ;   in Loop: Header=BB4_4506 Depth=3
	s_or_b32 exec_lo, exec_lo, s17
	v_mul_f32_e32 v12, v97, v12
	v_and_b32_e32 v8, 0x7f800000, v12
	v_cmp_ne_u32_e64 s16, 0x7f800000, v8
	v_mov_b32_e32 v8, 0x8000
	s_and_saveexec_b32 s23, s16
	s_cbranch_execz .LBB4_4586
; %bb.4579:                             ;   in Loop: Header=BB4_4506 Depth=3
	v_mov_b32_e32 v8, 0
	s_mov_b32 s72, exec_lo
	v_cmpx_ne_u32_e32 0, v12
	s_cbranch_execz .LBB4_4585
; %bb.4580:                             ;   in Loop: Header=BB4_4506 Depth=3
	v_bfe_u32 v8, v12, 23, 8
	v_and_b32_e32 v97, 0x7fffff, v12
	v_sub_nc_u32_e32 v98, 0x70, v8
	v_cmp_gt_u32_e64 s16, 0x71, v8
	v_or_b32_e32 v99, 0x800000, v97
	v_cndmask_b32_e64 v98, 0, v98, s16
	v_cmp_eq_u32_e64 s16, 0, v8
	v_add_nc_u32_e32 v8, 0xffffff91, v8
	v_cndmask_b32_e64 v98, v98, 0x6f, s16
	v_cndmask_b32_e64 v97, v99, v97, s16
	;; [unrolled: 1-line block ×3, first 2 shown]
	v_lshl_add_u32 v99, 0x200000, v98, -1
	v_lshrrev_b32_e32 v88, v98, v97
	v_lshlrev_b32_e64 v90, v98, 0x100000
	v_add_nc_u32_e32 v98, v98, v8
	v_and_b32_e32 v97, v99, v97
	v_bfe_u32 v89, v88, 21, 1
	v_cmp_eq_u32_e64 s17, v97, v90
	v_add_nc_u32_e32 v99, -1, v89
	v_cndmask_b32_e64 v97, 0, v99, s17
	v_lshrrev_b32_e32 v99, 23, v88
	s_mov_b32 s17, exec_lo
	v_add_nc_u32_e32 v97, v97, v88
	v_xor_b32_e32 v99, 1, v99
	v_and_b32_e32 v8, 0x1fffff, v97
	v_add_nc_u32_e32 v97, v8, v88
                                        ; implicit-def: $vgpr8
	v_cmpx_ne_u32_e64 v98, v99
	s_xor_b32 s17, exec_lo, s17
; %bb.4581:                             ;   in Loop: Header=BB4_4506 Depth=3
	v_cmp_lt_u32_e64 s16, 0xffffff, v97
	v_sub_nc_u32_e32 v8, v98, v99
	v_cndmask_b32_e64 v98, 0, 1, s16
	v_add_co_ci_u32_e64 v8, null, 0, v8, s16
	v_lshrrev_b32_e32 v97, v98, v97
; %bb.4582:                             ;   in Loop: Header=BB4_4506 Depth=3
	s_andn2_saveexec_b32 s16, s17
; %bb.4583:                             ;   in Loop: Header=BB4_4506 Depth=3
	v_bfe_u32 v8, v97, 23, 1
; %bb.4584:                             ;   in Loop: Header=BB4_4506 Depth=3
	s_or_b32 exec_lo, exec_lo, s16
	v_lshrrev_b32_e32 v97, 21, v97
	v_min_i32_e32 v98, 31, v8
	v_cmp_gt_i32_e64 s16, 32, v8
	v_and_b32_sdwa v12, v12, v116 dst_sel:DWORD dst_unused:UNUSED_PAD src0_sel:BYTE_3 src1_sel:DWORD
	v_lshlrev_b32_e32 v98, 2, v98
	v_cndmask_b32_e64 v97, 3, v97, s16
	v_and_b32_e32 v98, 0xfc, v98
	v_and_b32_e32 v99, 3, v97
	v_or_b32_e32 v8, v8, v97
	v_or3_b32 v12, v12, v98, v99
	v_cmp_ne_u32_e64 s16, 0, v8
	v_lshlrev_b32_e32 v12, 8, v12
	v_cndmask_b32_e64 v8, 0, v12, s16
.LBB4_4585:                             ;   in Loop: Header=BB4_4506 Depth=3
	s_or_b32 exec_lo, exec_lo, s72
.LBB4_4586:                             ;   in Loop: Header=BB4_4506 Depth=3
	s_or_b32 exec_lo, exec_lo, s23
	v_cmp_gt_i16_sdwa s17, v13, v115 src0_sel:BYTE_0 src1_sel:DWORD
	s_mov_b32 s16, 0
	s_and_saveexec_b32 s23, s17
	s_xor_b32 s17, exec_lo, s23
	s_cbranch_execz .LBB4_4840
; %bb.4587:                             ;   in Loop: Header=BB4_4506 Depth=3
	v_cmp_eq_u16_sdwa s72, v13, v116 src0_sel:BYTE_0 src1_sel:DWORD
	s_mov_b32 s16, -1
	s_and_saveexec_b32 s23, s72
; %bb.4588:                             ;   in Loop: Header=BB4_4506 Depth=3
	s_xor_b32 s16, exec_lo, -1
; %bb.4589:                             ;   in Loop: Header=BB4_4506 Depth=3
	s_or_b32 exec_lo, exec_lo, s23
	s_and_b32 s16, s16, exec_lo
	s_or_saveexec_b32 s17, s17
	v_mov_b32_e32 v12, 0x7f800001
	s_xor_b32 exec_lo, exec_lo, s17
	s_cbranch_execnz .LBB4_4841
.LBB4_4590:                             ;   in Loop: Header=BB4_4506 Depth=3
	s_or_b32 exec_lo, exec_lo, s17
	s_and_saveexec_b32 s17, s16
	s_cbranch_execz .LBB4_4592
.LBB4_4591:                             ;   in Loop: Header=BB4_4506 Depth=3
	v_and_b32_e32 v12, 3, v13
	v_bfe_u32 v99, v13, 2, 5
	v_lshlrev_b32_e32 v88, 24, v13
	v_ffbh_u32_e32 v97, v12
	v_cmp_eq_u32_e64 s16, 0, v99
	v_min_u32_e32 v97, 32, v97
	v_subrev_nc_u32_e32 v98, 29, v97
	v_sub_nc_u32_e32 v97, 30, v97
	v_lshlrev_b32_e32 v98, v98, v13
	v_cndmask_b32_e64 v97, v99, v97, s16
	v_and_b32_e32 v98, 3, v98
	v_lshl_add_u32 v97, v97, 23, 0x37800000
	v_cndmask_b32_e64 v12, v12, v98, s16
	v_and_b32_e32 v98, 0x80000000, v88
	v_lshlrev_b32_e32 v12, 21, v12
	v_or3_b32 v12, v98, v97, v12
.LBB4_4592:                             ;   in Loop: Header=BB4_4506 Depth=3
	s_or_b32 exec_lo, exec_lo, s17
	v_cmp_gt_i16_sdwa s17, v9, v115 src0_sel:BYTE_0 src1_sel:DWORD
	s_mov_b32 s16, 0
	s_and_saveexec_b32 s23, s17
	s_xor_b32 s17, exec_lo, s23
	s_cbranch_execz .LBB4_4842
; %bb.4593:                             ;   in Loop: Header=BB4_4506 Depth=3
	v_cmp_eq_u16_sdwa s72, v9, v116 src0_sel:BYTE_0 src1_sel:DWORD
	s_mov_b32 s16, -1
	s_and_saveexec_b32 s23, s72
; %bb.4594:                             ;   in Loop: Header=BB4_4506 Depth=3
	s_xor_b32 s16, exec_lo, -1
; %bb.4595:                             ;   in Loop: Header=BB4_4506 Depth=3
	s_or_b32 exec_lo, exec_lo, s23
	s_and_b32 s16, s16, exec_lo
	s_or_saveexec_b32 s17, s17
	v_mov_b32_e32 v97, 0x7f800001
	s_xor_b32 exec_lo, exec_lo, s17
	s_cbranch_execnz .LBB4_4843
.LBB4_4596:                             ;   in Loop: Header=BB4_4506 Depth=3
	s_or_b32 exec_lo, exec_lo, s17
	s_and_saveexec_b32 s17, s16
	s_cbranch_execz .LBB4_4598
.LBB4_4597:                             ;   in Loop: Header=BB4_4506 Depth=3
	v_and_b32_e32 v97, 3, v9
	v_bfe_u32 v88, v9, 2, 5
	v_lshlrev_b32_e32 v89, 24, v9
	v_ffbh_u32_e32 v98, v97
	v_cmp_eq_u32_e64 s16, 0, v88
	v_min_u32_e32 v98, 32, v98
	v_subrev_nc_u32_e32 v99, 29, v98
	v_sub_nc_u32_e32 v98, 30, v98
	v_lshlrev_b32_e32 v99, v99, v9
	v_cndmask_b32_e64 v98, v88, v98, s16
	v_and_b32_e32 v99, 3, v99
	v_lshl_add_u32 v98, v98, 23, 0x37800000
	v_cndmask_b32_e64 v97, v97, v99, s16
	v_and_b32_e32 v99, 0x80000000, v89
	v_lshlrev_b32_e32 v97, 21, v97
	v_or3_b32 v97, v99, v98, v97
.LBB4_4598:                             ;   in Loop: Header=BB4_4506 Depth=3
	s_or_b32 exec_lo, exec_lo, s17
	v_mul_f32_e32 v97, v12, v97
	v_and_b32_e32 v12, 0x7f800000, v97
	v_cmp_ne_u32_e64 s16, 0x7f800000, v12
	v_mov_b32_e32 v12, 0x80
	s_and_saveexec_b32 s23, s16
	s_cbranch_execz .LBB4_4606
; %bb.4599:                             ;   in Loop: Header=BB4_4506 Depth=3
	v_mov_b32_e32 v12, 0
	s_mov_b32 s72, exec_lo
	v_cmpx_ne_u32_e32 0, v97
	s_cbranch_execz .LBB4_4605
; %bb.4600:                             ;   in Loop: Header=BB4_4506 Depth=3
	v_bfe_u32 v12, v97, 23, 8
	v_and_b32_e32 v98, 0x7fffff, v97
	v_sub_nc_u32_e32 v99, 0x70, v12
	v_cmp_gt_u32_e64 s16, 0x71, v12
	v_or_b32_e32 v88, 0x800000, v98
	v_cndmask_b32_e64 v99, 0, v99, s16
	v_cmp_eq_u32_e64 s16, 0, v12
	v_add_nc_u32_e32 v12, 0xffffff91, v12
	v_cndmask_b32_e64 v99, v99, 0x6f, s16
	v_cndmask_b32_e64 v98, v88, v98, s16
	;; [unrolled: 1-line block ×3, first 2 shown]
	v_lshl_add_u32 v88, 0x200000, v99, -1
	v_lshrrev_b32_e32 v89, v99, v98
	v_lshlrev_b32_e64 v91, v99, 0x100000
	v_add_nc_u32_e32 v99, v99, v12
	v_and_b32_e32 v98, v88, v98
	v_bfe_u32 v90, v89, 21, 1
	v_cmp_eq_u32_e64 s17, v98, v91
	v_add_nc_u32_e32 v88, -1, v90
	v_cndmask_b32_e64 v98, 0, v88, s17
	v_lshrrev_b32_e32 v88, 23, v89
	s_mov_b32 s17, exec_lo
	v_add_nc_u32_e32 v98, v98, v89
	v_xor_b32_e32 v88, 1, v88
	v_and_b32_e32 v12, 0x1fffff, v98
	v_add_nc_u32_e32 v98, v12, v89
                                        ; implicit-def: $vgpr12
	v_cmpx_ne_u32_e64 v99, v88
	s_xor_b32 s17, exec_lo, s17
; %bb.4601:                             ;   in Loop: Header=BB4_4506 Depth=3
	v_cmp_lt_u32_e64 s16, 0xffffff, v98
	v_sub_nc_u32_e32 v12, v99, v88
	v_cndmask_b32_e64 v99, 0, 1, s16
	v_add_co_ci_u32_e64 v12, null, 0, v12, s16
	v_lshrrev_b32_e32 v98, v99, v98
; %bb.4602:                             ;   in Loop: Header=BB4_4506 Depth=3
	s_andn2_saveexec_b32 s16, s17
; %bb.4603:                             ;   in Loop: Header=BB4_4506 Depth=3
	v_bfe_u32 v12, v98, 23, 1
; %bb.4604:                             ;   in Loop: Header=BB4_4506 Depth=3
	s_or_b32 exec_lo, exec_lo, s16
	v_lshrrev_b32_e32 v98, 21, v98
	v_min_i32_e32 v99, 31, v12
	v_cmp_gt_i32_e64 s16, 32, v12
	v_and_b32_sdwa v97, v97, v116 dst_sel:DWORD dst_unused:UNUSED_PAD src0_sel:BYTE_3 src1_sel:DWORD
	v_lshlrev_b32_e32 v99, 2, v99
	v_cndmask_b32_e64 v98, 3, v98, s16
	v_and_b32_e32 v99, 0xfc, v99
	v_and_b32_e32 v88, 3, v98
	v_or_b32_e32 v12, v12, v98
	v_or3_b32 v97, v99, v97, v88
	v_cmp_ne_u32_e64 s16, 0, v12
	v_cndmask_b32_e64 v12, 0, v97, s16
.LBB4_4605:                             ;   in Loop: Header=BB4_4506 Depth=3
	s_or_b32 exec_lo, exec_lo, s72
.LBB4_4606:                             ;   in Loop: Header=BB4_4506 Depth=3
	s_or_b32 exec_lo, exec_lo, s23
	v_cmp_gt_i16_sdwa s17, v13, v115 src0_sel:BYTE_1 src1_sel:DWORD
	s_mov_b32 s16, 0
	s_and_saveexec_b32 s23, s17
	s_xor_b32 s17, exec_lo, s23
	s_cbranch_execz .LBB4_4844
; %bb.4607:                             ;   in Loop: Header=BB4_4506 Depth=3
	v_cmp_eq_u16_sdwa s72, v13, v116 src0_sel:BYTE_1 src1_sel:DWORD
	s_mov_b32 s16, -1
	s_and_saveexec_b32 s23, s72
; %bb.4608:                             ;   in Loop: Header=BB4_4506 Depth=3
	s_xor_b32 s16, exec_lo, -1
; %bb.4609:                             ;   in Loop: Header=BB4_4506 Depth=3
	s_or_b32 exec_lo, exec_lo, s23
	s_and_b32 s16, s16, exec_lo
	s_or_saveexec_b32 s17, s17
	v_mov_b32_e32 v97, 0x7f800001
	s_xor_b32 exec_lo, exec_lo, s17
	s_cbranch_execnz .LBB4_4845
.LBB4_4610:                             ;   in Loop: Header=BB4_4506 Depth=3
	s_or_b32 exec_lo, exec_lo, s17
	s_and_saveexec_b32 s17, s16
	s_cbranch_execz .LBB4_4612
.LBB4_4611:                             ;   in Loop: Header=BB4_4506 Depth=3
	v_and_b32_sdwa v97, v117, v13 dst_sel:DWORD dst_unused:UNUSED_PAD src0_sel:DWORD src1_sel:BYTE_1
	v_and_b32_e32 v98, 3, v97
	v_bfe_u32 v89, v97, 2, 5
	v_ffbh_u32_e32 v99, v98
	v_cmp_eq_u32_e64 s16, 0, v89
	v_min_u32_e32 v99, 32, v99
	v_subrev_nc_u32_e32 v88, 29, v99
	v_sub_nc_u32_e32 v99, 30, v99
	v_lshlrev_b32_e32 v97, v88, v97
	v_lshlrev_b32_sdwa v88, v118, v13 dst_sel:DWORD dst_unused:UNUSED_PAD src0_sel:DWORD src1_sel:BYTE_1
	v_cndmask_b32_e64 v99, v89, v99, s16
	v_and_b32_e32 v97, 3, v97
	v_lshl_add_u32 v99, v99, 23, 0x37800000
	v_cndmask_b32_e64 v97, v98, v97, s16
	v_and_b32_e32 v98, 0x80000000, v88
	v_lshlrev_b32_e32 v97, 21, v97
	v_or3_b32 v97, v98, v99, v97
.LBB4_4612:                             ;   in Loop: Header=BB4_4506 Depth=3
	s_or_b32 exec_lo, exec_lo, s17
	v_cmp_gt_i16_sdwa s17, v9, v115 src0_sel:BYTE_1 src1_sel:DWORD
	s_mov_b32 s16, 0
	s_and_saveexec_b32 s23, s17
	s_xor_b32 s17, exec_lo, s23
	s_cbranch_execz .LBB4_4846
; %bb.4613:                             ;   in Loop: Header=BB4_4506 Depth=3
	v_cmp_eq_u16_sdwa s72, v9, v116 src0_sel:BYTE_1 src1_sel:DWORD
	s_mov_b32 s16, -1
	s_and_saveexec_b32 s23, s72
; %bb.4614:                             ;   in Loop: Header=BB4_4506 Depth=3
	s_xor_b32 s16, exec_lo, -1
; %bb.4615:                             ;   in Loop: Header=BB4_4506 Depth=3
	s_or_b32 exec_lo, exec_lo, s23
	s_and_b32 s16, s16, exec_lo
	s_or_saveexec_b32 s17, s17
	v_mov_b32_e32 v98, 0x7f800001
	s_xor_b32 exec_lo, exec_lo, s17
	s_cbranch_execnz .LBB4_4847
.LBB4_4616:                             ;   in Loop: Header=BB4_4506 Depth=3
	s_or_b32 exec_lo, exec_lo, s17
	s_and_saveexec_b32 s17, s16
	s_cbranch_execz .LBB4_4618
.LBB4_4617:                             ;   in Loop: Header=BB4_4506 Depth=3
	v_and_b32_sdwa v98, v117, v9 dst_sel:DWORD dst_unused:UNUSED_PAD src0_sel:DWORD src1_sel:BYTE_1
	v_and_b32_e32 v99, 3, v98
	v_bfe_u32 v90, v98, 2, 5
	v_ffbh_u32_e32 v88, v99
	v_cmp_eq_u32_e64 s16, 0, v90
	v_min_u32_e32 v88, 32, v88
	v_subrev_nc_u32_e32 v89, 29, v88
	v_sub_nc_u32_e32 v88, 30, v88
	v_lshlrev_b32_e32 v98, v89, v98
	v_lshlrev_b32_sdwa v89, v118, v9 dst_sel:DWORD dst_unused:UNUSED_PAD src0_sel:DWORD src1_sel:BYTE_1
	v_cndmask_b32_e64 v88, v90, v88, s16
	v_and_b32_e32 v98, 3, v98
	v_lshl_add_u32 v88, v88, 23, 0x37800000
	v_cndmask_b32_e64 v98, v99, v98, s16
	v_and_b32_e32 v99, 0x80000000, v89
	v_lshlrev_b32_e32 v98, 21, v98
	v_or3_b32 v98, v99, v88, v98
.LBB4_4618:                             ;   in Loop: Header=BB4_4506 Depth=3
	s_or_b32 exec_lo, exec_lo, s17
	v_mul_f32_e32 v98, v97, v98
	v_and_b32_e32 v97, 0x7f800000, v98
	v_cmp_ne_u32_e64 s16, 0x7f800000, v97
	v_mov_b32_e32 v97, 0x8000
	s_and_saveexec_b32 s23, s16
	s_cbranch_execz .LBB4_4626
; %bb.4619:                             ;   in Loop: Header=BB4_4506 Depth=3
	v_mov_b32_e32 v97, 0
	s_mov_b32 s72, exec_lo
	v_cmpx_ne_u32_e32 0, v98
	s_cbranch_execz .LBB4_4625
; %bb.4620:                             ;   in Loop: Header=BB4_4506 Depth=3
	v_bfe_u32 v97, v98, 23, 8
	v_and_b32_e32 v99, 0x7fffff, v98
	v_sub_nc_u32_e32 v88, 0x70, v97
	v_cmp_gt_u32_e64 s16, 0x71, v97
	v_or_b32_e32 v89, 0x800000, v99
	v_cndmask_b32_e64 v88, 0, v88, s16
	v_cmp_eq_u32_e64 s16, 0, v97
	v_add_nc_u32_e32 v97, 0xffffff91, v97
	v_cndmask_b32_e64 v88, v88, 0x6f, s16
	v_cndmask_b32_e64 v99, v89, v99, s16
	;; [unrolled: 1-line block ×3, first 2 shown]
	v_lshl_add_u32 v89, 0x200000, v88, -1
	v_lshrrev_b32_e32 v90, v88, v99
	v_lshlrev_b32_e64 v92, v88, 0x100000
	v_add_nc_u32_e32 v88, v88, v97
	v_and_b32_e32 v99, v89, v99
	v_bfe_u32 v91, v90, 21, 1
	v_cmp_eq_u32_e64 s17, v99, v92
	v_add_nc_u32_e32 v89, -1, v91
	v_cndmask_b32_e64 v99, 0, v89, s17
	v_lshrrev_b32_e32 v89, 23, v90
	s_mov_b32 s17, exec_lo
	v_add_nc_u32_e32 v99, v99, v90
	v_xor_b32_e32 v89, 1, v89
	v_and_b32_e32 v97, 0x1fffff, v99
	v_add_nc_u32_e32 v99, v97, v90
                                        ; implicit-def: $vgpr97
	v_cmpx_ne_u32_e64 v88, v89
	s_xor_b32 s17, exec_lo, s17
; %bb.4621:                             ;   in Loop: Header=BB4_4506 Depth=3
	v_cmp_lt_u32_e64 s16, 0xffffff, v99
	v_sub_nc_u32_e32 v97, v88, v89
	v_cndmask_b32_e64 v88, 0, 1, s16
	v_add_co_ci_u32_e64 v97, null, 0, v97, s16
	v_lshrrev_b32_e32 v99, v88, v99
; %bb.4622:                             ;   in Loop: Header=BB4_4506 Depth=3
	s_andn2_saveexec_b32 s16, s17
; %bb.4623:                             ;   in Loop: Header=BB4_4506 Depth=3
	v_bfe_u32 v97, v99, 23, 1
; %bb.4624:                             ;   in Loop: Header=BB4_4506 Depth=3
	s_or_b32 exec_lo, exec_lo, s16
	v_lshrrev_b32_e32 v99, 21, v99
	v_min_i32_e32 v88, 31, v97
	v_cmp_gt_i32_e64 s16, 32, v97
	v_and_b32_sdwa v98, v98, v116 dst_sel:DWORD dst_unused:UNUSED_PAD src0_sel:BYTE_3 src1_sel:DWORD
	v_lshlrev_b32_e32 v88, 2, v88
	v_cndmask_b32_e64 v99, 3, v99, s16
	v_and_b32_e32 v88, 0xfc, v88
	v_and_b32_e32 v89, 3, v99
	v_or_b32_e32 v97, v97, v99
	v_or3_b32 v98, v98, v88, v89
	v_cmp_ne_u32_e64 s16, 0, v97
	v_lshlrev_b32_e32 v98, 8, v98
	v_cndmask_b32_e64 v97, 0, v98, s16
.LBB4_4625:                             ;   in Loop: Header=BB4_4506 Depth=3
	s_or_b32 exec_lo, exec_lo, s72
.LBB4_4626:                             ;   in Loop: Header=BB4_4506 Depth=3
	s_or_b32 exec_lo, exec_lo, s23
	v_and_b32_sdwa v99, v13, v119 dst_sel:DWORD dst_unused:UNUSED_PAD src0_sel:WORD_1 src1_sel:DWORD
	s_mov_b32 s17, 0
	s_mov_b32 s23, exec_lo
	v_cmpx_lt_i16_e32 0x7f, v99
	s_xor_b32 s23, exec_lo, s23
	s_cbranch_execz .LBB4_4848
; %bb.4627:                             ;   in Loop: Header=BB4_4506 Depth=3
	s_mov_b32 s17, -1
	s_mov_b32 s72, exec_lo
	v_cmpx_eq_u16_e32 0x80, v99
; %bb.4628:                             ;   in Loop: Header=BB4_4506 Depth=3
	s_xor_b32 s17, exec_lo, -1
; %bb.4629:                             ;   in Loop: Header=BB4_4506 Depth=3
	s_or_b32 exec_lo, exec_lo, s72
	s_and_b32 s17, s17, exec_lo
                                        ; implicit-def: $vgpr99
	s_or_saveexec_b32 s23, s23
	v_mov_b32_e32 v98, 0x7f800001
	s_xor_b32 exec_lo, exec_lo, s23
	s_cbranch_execnz .LBB4_4849
.LBB4_4630:                             ;   in Loop: Header=BB4_4506 Depth=3
	s_or_b32 exec_lo, exec_lo, s23
	s_and_saveexec_b32 s23, s17
	s_cbranch_execz .LBB4_4632
.LBB4_4631:                             ;   in Loop: Header=BB4_4506 Depth=3
	v_bfe_u32 v98, v13, 16, 2
	v_bfe_u32 v89, v13, 18, 5
	v_lshlrev_b32_e32 v90, 8, v13
	v_ffbh_u32_e32 v99, v98
	v_cmp_eq_u32_e64 s16, 0, v89
	v_min_u32_e32 v99, 32, v99
	v_subrev_nc_u32_e32 v88, 29, v99
	v_sub_nc_u32_e32 v99, 30, v99
	v_lshlrev_b32_sdwa v88, v88, v13 dst_sel:DWORD dst_unused:UNUSED_PAD src0_sel:DWORD src1_sel:WORD_1
	v_cndmask_b32_e64 v99, v89, v99, s16
	v_and_b32_e32 v88, 3, v88
	v_lshl_add_u32 v99, v99, 23, 0x37800000
	v_cndmask_b32_e64 v98, v98, v88, s16
	v_and_b32_e32 v88, 0x80000000, v90
	v_lshlrev_b32_e32 v98, 21, v98
	v_or3_b32 v98, v88, v99, v98
.LBB4_4632:                             ;   in Loop: Header=BB4_4506 Depth=3
	s_or_b32 exec_lo, exec_lo, s23
	v_and_b32_sdwa v88, v9, v119 dst_sel:DWORD dst_unused:UNUSED_PAD src0_sel:WORD_1 src1_sel:DWORD
	s_mov_b32 s17, 0
	s_mov_b32 s23, exec_lo
	v_cmpx_lt_i16_e32 0x7f, v88
	s_xor_b32 s23, exec_lo, s23
	s_cbranch_execz .LBB4_4850
; %bb.4633:                             ;   in Loop: Header=BB4_4506 Depth=3
	s_mov_b32 s17, -1
	s_mov_b32 s72, exec_lo
	v_cmpx_eq_u16_e32 0x80, v88
; %bb.4634:                             ;   in Loop: Header=BB4_4506 Depth=3
	s_xor_b32 s17, exec_lo, -1
; %bb.4635:                             ;   in Loop: Header=BB4_4506 Depth=3
	s_or_b32 exec_lo, exec_lo, s72
	s_and_b32 s17, s17, exec_lo
                                        ; implicit-def: $vgpr88
	s_or_saveexec_b32 s23, s23
	v_mov_b32_e32 v99, 0x7f800001
	s_xor_b32 exec_lo, exec_lo, s23
	s_cbranch_execnz .LBB4_4851
.LBB4_4636:                             ;   in Loop: Header=BB4_4506 Depth=3
	s_or_b32 exec_lo, exec_lo, s23
	s_and_saveexec_b32 s23, s17
	s_cbranch_execz .LBB4_4638
.LBB4_4637:                             ;   in Loop: Header=BB4_4506 Depth=3
	v_and_b32_sdwa v99, v9, v40 dst_sel:DWORD dst_unused:UNUSED_PAD src0_sel:WORD_1 src1_sel:DWORD
	v_bfe_u32 v90, v9, 18, 5
	v_lshlrev_b32_sdwa v91, v118, v9 dst_sel:DWORD dst_unused:UNUSED_PAD src0_sel:DWORD src1_sel:WORD_1
	v_ffbh_u32_e32 v88, v99
	v_cmp_eq_u32_e64 s16, 0, v90
	v_min_u32_e32 v88, 32, v88
	v_subrev_nc_u32_e32 v89, 29, v88
	v_sub_nc_u32_e32 v88, 30, v88
	v_lshlrev_b32_sdwa v89, v89, v9 dst_sel:DWORD dst_unused:UNUSED_PAD src0_sel:DWORD src1_sel:WORD_1
	v_cndmask_b32_e64 v88, v90, v88, s16
	v_and_b32_e32 v89, 3, v89
	v_lshl_add_u32 v88, v88, 23, 0x37800000
	v_cndmask_b32_e64 v99, v99, v89, s16
	v_and_b32_e32 v89, 0x80000000, v91
	v_lshlrev_b32_e32 v99, 21, v99
	v_or3_b32 v99, v89, v88, v99
.LBB4_4638:                             ;   in Loop: Header=BB4_4506 Depth=3
	s_or_b32 exec_lo, exec_lo, s23
	v_mul_f32_e32 v99, v98, v99
	v_and_b32_e32 v98, 0x7f800000, v99
	v_cmp_ne_u32_e64 s16, 0x7f800000, v98
	v_mov_b32_e32 v98, 0x80
	s_and_saveexec_b32 s23, s16
	s_cbranch_execz .LBB4_4646
; %bb.4639:                             ;   in Loop: Header=BB4_4506 Depth=3
	v_mov_b32_e32 v98, 0
	s_mov_b32 s72, exec_lo
	v_cmpx_ne_u32_e32 0, v99
	s_cbranch_execz .LBB4_4645
; %bb.4640:                             ;   in Loop: Header=BB4_4506 Depth=3
	v_bfe_u32 v98, v99, 23, 8
	v_and_b32_e32 v88, 0x7fffff, v99
	v_sub_nc_u32_e32 v89, 0x70, v98
	v_cmp_gt_u32_e64 s16, 0x71, v98
	v_or_b32_e32 v90, 0x800000, v88
	v_cndmask_b32_e64 v89, 0, v89, s16
	v_cmp_eq_u32_e64 s16, 0, v98
	v_add_nc_u32_e32 v98, 0xffffff91, v98
	v_cndmask_b32_e64 v89, v89, 0x6f, s16
	v_cndmask_b32_e64 v88, v90, v88, s16
	;; [unrolled: 1-line block ×3, first 2 shown]
	v_lshl_add_u32 v90, 0x200000, v89, -1
	v_lshrrev_b32_e32 v91, v89, v88
	v_lshlrev_b32_e64 v93, v89, 0x100000
	v_add_nc_u32_e32 v89, v89, v98
	v_and_b32_e32 v88, v90, v88
	v_bfe_u32 v92, v91, 21, 1
	v_cmp_eq_u32_e64 s17, v88, v93
	v_add_nc_u32_e32 v90, -1, v92
	v_cndmask_b32_e64 v88, 0, v90, s17
	v_lshrrev_b32_e32 v90, 23, v91
	s_mov_b32 s17, exec_lo
	v_add_nc_u32_e32 v88, v88, v91
	v_xor_b32_e32 v90, 1, v90
	v_and_b32_e32 v98, 0x1fffff, v88
	v_add_nc_u32_e32 v88, v98, v91
                                        ; implicit-def: $vgpr98
	v_cmpx_ne_u32_e64 v89, v90
	s_xor_b32 s17, exec_lo, s17
; %bb.4641:                             ;   in Loop: Header=BB4_4506 Depth=3
	v_cmp_lt_u32_e64 s16, 0xffffff, v88
	v_sub_nc_u32_e32 v98, v89, v90
	v_cndmask_b32_e64 v89, 0, 1, s16
	v_add_co_ci_u32_e64 v98, null, 0, v98, s16
	v_lshrrev_b32_e32 v88, v89, v88
; %bb.4642:                             ;   in Loop: Header=BB4_4506 Depth=3
	s_andn2_saveexec_b32 s16, s17
; %bb.4643:                             ;   in Loop: Header=BB4_4506 Depth=3
	v_bfe_u32 v98, v88, 23, 1
; %bb.4644:                             ;   in Loop: Header=BB4_4506 Depth=3
	s_or_b32 exec_lo, exec_lo, s16
	v_lshrrev_b32_e32 v88, 21, v88
	v_min_i32_e32 v89, 31, v98
	v_cmp_gt_i32_e64 s16, 32, v98
	v_and_b32_sdwa v99, v99, v116 dst_sel:DWORD dst_unused:UNUSED_PAD src0_sel:BYTE_3 src1_sel:DWORD
	v_lshlrev_b32_e32 v89, 2, v89
	v_cndmask_b32_e64 v88, 3, v88, s16
	v_and_b32_e32 v89, 0xfc, v89
	v_and_b32_e32 v90, 3, v88
	v_or_b32_e32 v98, v98, v88
	v_or3_b32 v99, v89, v99, v90
	v_cmp_ne_u32_e64 s16, 0, v98
	v_cndmask_b32_e64 v98, 0, v99, s16
.LBB4_4645:                             ;   in Loop: Header=BB4_4506 Depth=3
	s_or_b32 exec_lo, exec_lo, s72
.LBB4_4646:                             ;   in Loop: Header=BB4_4506 Depth=3
	s_or_b32 exec_lo, exec_lo, s23
	v_cmp_gt_i16_sdwa s17, v13, v115 src0_sel:BYTE_3 src1_sel:DWORD
	s_mov_b32 s16, 0
	s_and_saveexec_b32 s23, s17
	s_xor_b32 s17, exec_lo, s23
	s_cbranch_execz .LBB4_4852
; %bb.4647:                             ;   in Loop: Header=BB4_4506 Depth=3
	v_cmp_eq_u16_sdwa s72, v13, v116 src0_sel:BYTE_3 src1_sel:DWORD
	s_mov_b32 s16, -1
	s_and_saveexec_b32 s23, s72
; %bb.4648:                             ;   in Loop: Header=BB4_4506 Depth=3
	s_xor_b32 s16, exec_lo, -1
; %bb.4649:                             ;   in Loop: Header=BB4_4506 Depth=3
	s_or_b32 exec_lo, exec_lo, s23
	s_and_b32 s16, s16, exec_lo
	s_or_saveexec_b32 s17, s17
	v_mov_b32_e32 v99, 0x7f800001
	s_xor_b32 exec_lo, exec_lo, s17
	s_cbranch_execnz .LBB4_4853
.LBB4_4650:                             ;   in Loop: Header=BB4_4506 Depth=3
	s_or_b32 exec_lo, exec_lo, s17
	s_and_saveexec_b32 s17, s16
	s_cbranch_execz .LBB4_4652
.LBB4_4651:                             ;   in Loop: Header=BB4_4506 Depth=3
	v_bfe_u32 v99, v13, 24, 2
	v_bfe_u32 v90, v13, 26, 5
	v_ffbh_u32_e32 v88, v99
	v_cmp_eq_u32_e64 s16, 0, v90
	v_min_u32_e32 v88, 32, v88
	v_subrev_nc_u32_e32 v89, 29, v88
	v_sub_nc_u32_e32 v88, 30, v88
	v_lshlrev_b32_sdwa v89, v89, v13 dst_sel:DWORD dst_unused:UNUSED_PAD src0_sel:DWORD src1_sel:BYTE_3
	v_cndmask_b32_e64 v88, v90, v88, s16
	v_and_b32_e32 v13, 0x80000000, v13
	v_and_b32_e32 v89, 3, v89
	v_lshl_add_u32 v88, v88, 23, 0x37800000
	v_cndmask_b32_e64 v99, v99, v89, s16
	v_lshlrev_b32_e32 v99, 21, v99
	v_or3_b32 v99, v13, v88, v99
.LBB4_4652:                             ;   in Loop: Header=BB4_4506 Depth=3
	s_or_b32 exec_lo, exec_lo, s17
	v_cmp_gt_i16_sdwa s17, v9, v115 src0_sel:BYTE_3 src1_sel:DWORD
	s_mov_b32 s16, 0
	s_and_saveexec_b32 s23, s17
	s_xor_b32 s17, exec_lo, s23
	s_cbranch_execz .LBB4_4854
; %bb.4653:                             ;   in Loop: Header=BB4_4506 Depth=3
	v_cmp_eq_u16_sdwa s72, v9, v116 src0_sel:BYTE_3 src1_sel:DWORD
	s_mov_b32 s16, -1
	s_and_saveexec_b32 s23, s72
; %bb.4654:                             ;   in Loop: Header=BB4_4506 Depth=3
	s_xor_b32 s16, exec_lo, -1
; %bb.4655:                             ;   in Loop: Header=BB4_4506 Depth=3
	s_or_b32 exec_lo, exec_lo, s23
	s_and_b32 s16, s16, exec_lo
	s_or_saveexec_b32 s17, s17
	v_mov_b32_e32 v13, 0x7f800001
	s_xor_b32 exec_lo, exec_lo, s17
	s_cbranch_execnz .LBB4_4855
.LBB4_4656:                             ;   in Loop: Header=BB4_4506 Depth=3
	s_or_b32 exec_lo, exec_lo, s17
	s_and_saveexec_b32 s17, s16
	s_cbranch_execz .LBB4_4658
.LBB4_4657:                             ;   in Loop: Header=BB4_4506 Depth=3
	v_and_b32_sdwa v13, v9, v40 dst_sel:DWORD dst_unused:UNUSED_PAD src0_sel:BYTE_3 src1_sel:DWORD
	v_bfe_u32 v90, v9, 26, 5
	v_ffbh_u32_e32 v88, v13
	v_cmp_eq_u32_e64 s16, 0, v90
	v_min_u32_e32 v88, 32, v88
	v_subrev_nc_u32_e32 v89, 29, v88
	v_sub_nc_u32_e32 v88, 30, v88
	v_lshlrev_b32_sdwa v89, v89, v9 dst_sel:DWORD dst_unused:UNUSED_PAD src0_sel:DWORD src1_sel:BYTE_3
	v_cndmask_b32_e64 v88, v90, v88, s16
	v_and_b32_e32 v9, 0x80000000, v9
	v_and_b32_e32 v89, 3, v89
	v_lshl_add_u32 v88, v88, 23, 0x37800000
	v_cndmask_b32_e64 v13, v13, v89, s16
	v_lshlrev_b32_e32 v13, 21, v13
	v_or3_b32 v13, v9, v88, v13
.LBB4_4658:                             ;   in Loop: Header=BB4_4506 Depth=3
	s_or_b32 exec_lo, exec_lo, s17
	v_mul_f32_e32 v13, v99, v13
	v_and_b32_e32 v9, 0x7f800000, v13
	v_cmp_ne_u32_e64 s16, 0x7f800000, v9
	v_mov_b32_e32 v9, 0x8000
	s_and_saveexec_b32 s23, s16
	s_cbranch_execz .LBB4_4666
; %bb.4659:                             ;   in Loop: Header=BB4_4506 Depth=3
	v_mov_b32_e32 v9, 0
	s_mov_b32 s72, exec_lo
	v_cmpx_ne_u32_e32 0, v13
	s_cbranch_execz .LBB4_4665
; %bb.4660:                             ;   in Loop: Header=BB4_4506 Depth=3
	v_bfe_u32 v9, v13, 23, 8
	v_and_b32_e32 v99, 0x7fffff, v13
	v_sub_nc_u32_e32 v88, 0x70, v9
	v_cmp_gt_u32_e64 s16, 0x71, v9
	v_or_b32_e32 v89, 0x800000, v99
	v_cndmask_b32_e64 v88, 0, v88, s16
	v_cmp_eq_u32_e64 s16, 0, v9
	v_add_nc_u32_e32 v9, 0xffffff91, v9
	v_cndmask_b32_e64 v88, v88, 0x6f, s16
	v_cndmask_b32_e64 v99, v89, v99, s16
	;; [unrolled: 1-line block ×3, first 2 shown]
	v_lshl_add_u32 v89, 0x200000, v88, -1
	v_lshrrev_b32_e32 v90, v88, v99
	v_lshlrev_b32_e64 v92, v88, 0x100000
	v_add_nc_u32_e32 v88, v88, v9
	v_and_b32_e32 v99, v89, v99
	v_bfe_u32 v91, v90, 21, 1
	v_cmp_eq_u32_e64 s17, v99, v92
	v_add_nc_u32_e32 v89, -1, v91
	v_cndmask_b32_e64 v99, 0, v89, s17
	v_lshrrev_b32_e32 v89, 23, v90
	s_mov_b32 s17, exec_lo
	v_add_nc_u32_e32 v99, v99, v90
	v_xor_b32_e32 v89, 1, v89
	v_and_b32_e32 v9, 0x1fffff, v99
	v_add_nc_u32_e32 v99, v9, v90
                                        ; implicit-def: $vgpr9
	v_cmpx_ne_u32_e64 v88, v89
	s_xor_b32 s17, exec_lo, s17
; %bb.4661:                             ;   in Loop: Header=BB4_4506 Depth=3
	v_cmp_lt_u32_e64 s16, 0xffffff, v99
	v_sub_nc_u32_e32 v9, v88, v89
	v_cndmask_b32_e64 v88, 0, 1, s16
	v_add_co_ci_u32_e64 v9, null, 0, v9, s16
	v_lshrrev_b32_e32 v99, v88, v99
; %bb.4662:                             ;   in Loop: Header=BB4_4506 Depth=3
	s_andn2_saveexec_b32 s16, s17
; %bb.4663:                             ;   in Loop: Header=BB4_4506 Depth=3
	v_bfe_u32 v9, v99, 23, 1
; %bb.4664:                             ;   in Loop: Header=BB4_4506 Depth=3
	s_or_b32 exec_lo, exec_lo, s16
	v_lshrrev_b32_e32 v99, 21, v99
	v_min_i32_e32 v88, 31, v9
	v_cmp_gt_i32_e64 s16, 32, v9
	v_and_b32_sdwa v13, v13, v116 dst_sel:DWORD dst_unused:UNUSED_PAD src0_sel:BYTE_3 src1_sel:DWORD
	v_lshlrev_b32_e32 v88, 2, v88
	v_cndmask_b32_e64 v99, 3, v99, s16
	v_and_b32_e32 v88, 0xfc, v88
	v_and_b32_e32 v89, 3, v99
	v_or_b32_e32 v9, v9, v99
	v_or3_b32 v13, v13, v88, v89
	v_cmp_ne_u32_e64 s16, 0, v9
	v_lshlrev_b32_e32 v13, 8, v13
	v_cndmask_b32_e64 v9, 0, v13, s16
.LBB4_4665:                             ;   in Loop: Header=BB4_4506 Depth=3
	s_or_b32 exec_lo, exec_lo, s72
.LBB4_4666:                             ;   in Loop: Header=BB4_4506 Depth=3
	s_or_b32 exec_lo, exec_lo, s23
	v_cmp_gt_i16_sdwa s17, v14, v115 src0_sel:BYTE_0 src1_sel:DWORD
	s_mov_b32 s16, 0
	s_and_saveexec_b32 s23, s17
	s_xor_b32 s17, exec_lo, s23
	s_cbranch_execz .LBB4_4856
; %bb.4667:                             ;   in Loop: Header=BB4_4506 Depth=3
	v_cmp_eq_u16_sdwa s72, v14, v116 src0_sel:BYTE_0 src1_sel:DWORD
	s_mov_b32 s16, -1
	s_and_saveexec_b32 s23, s72
; %bb.4668:                             ;   in Loop: Header=BB4_4506 Depth=3
	s_xor_b32 s16, exec_lo, -1
; %bb.4669:                             ;   in Loop: Header=BB4_4506 Depth=3
	s_or_b32 exec_lo, exec_lo, s23
	s_and_b32 s16, s16, exec_lo
	s_or_saveexec_b32 s17, s17
	v_mov_b32_e32 v13, 0x7f800001
	s_xor_b32 exec_lo, exec_lo, s17
	s_cbranch_execnz .LBB4_4857
.LBB4_4670:                             ;   in Loop: Header=BB4_4506 Depth=3
	s_or_b32 exec_lo, exec_lo, s17
	s_and_saveexec_b32 s17, s16
	s_cbranch_execz .LBB4_4672
.LBB4_4671:                             ;   in Loop: Header=BB4_4506 Depth=3
	v_and_b32_e32 v13, 3, v14
	v_bfe_u32 v89, v14, 2, 5
	v_lshlrev_b32_e32 v90, 24, v14
	v_ffbh_u32_e32 v99, v13
	v_cmp_eq_u32_e64 s16, 0, v89
	v_min_u32_e32 v99, 32, v99
	v_subrev_nc_u32_e32 v88, 29, v99
	v_sub_nc_u32_e32 v99, 30, v99
	v_lshlrev_b32_e32 v88, v88, v14
	v_cndmask_b32_e64 v99, v89, v99, s16
	v_and_b32_e32 v88, 3, v88
	v_lshl_add_u32 v99, v99, 23, 0x37800000
	v_cndmask_b32_e64 v13, v13, v88, s16
	v_and_b32_e32 v88, 0x80000000, v90
	v_lshlrev_b32_e32 v13, 21, v13
	v_or3_b32 v13, v88, v99, v13
.LBB4_4672:                             ;   in Loop: Header=BB4_4506 Depth=3
	s_or_b32 exec_lo, exec_lo, s17
	v_cmp_gt_i16_sdwa s17, v10, v115 src0_sel:BYTE_0 src1_sel:DWORD
	s_mov_b32 s16, 0
	s_and_saveexec_b32 s23, s17
	s_xor_b32 s17, exec_lo, s23
	s_cbranch_execz .LBB4_4858
; %bb.4673:                             ;   in Loop: Header=BB4_4506 Depth=3
	v_cmp_eq_u16_sdwa s72, v10, v116 src0_sel:BYTE_0 src1_sel:DWORD
	s_mov_b32 s16, -1
	s_and_saveexec_b32 s23, s72
; %bb.4674:                             ;   in Loop: Header=BB4_4506 Depth=3
	s_xor_b32 s16, exec_lo, -1
; %bb.4675:                             ;   in Loop: Header=BB4_4506 Depth=3
	s_or_b32 exec_lo, exec_lo, s23
	s_and_b32 s16, s16, exec_lo
	s_or_saveexec_b32 s17, s17
	v_mov_b32_e32 v99, 0x7f800001
	s_xor_b32 exec_lo, exec_lo, s17
	s_cbranch_execnz .LBB4_4859
.LBB4_4676:                             ;   in Loop: Header=BB4_4506 Depth=3
	s_or_b32 exec_lo, exec_lo, s17
	s_and_saveexec_b32 s17, s16
	s_cbranch_execz .LBB4_4678
.LBB4_4677:                             ;   in Loop: Header=BB4_4506 Depth=3
	v_and_b32_e32 v99, 3, v10
	v_bfe_u32 v90, v10, 2, 5
	v_lshlrev_b32_e32 v91, 24, v10
	v_ffbh_u32_e32 v88, v99
	v_cmp_eq_u32_e64 s16, 0, v90
	v_min_u32_e32 v88, 32, v88
	v_subrev_nc_u32_e32 v89, 29, v88
	v_sub_nc_u32_e32 v88, 30, v88
	v_lshlrev_b32_e32 v89, v89, v10
	v_cndmask_b32_e64 v88, v90, v88, s16
	v_and_b32_e32 v89, 3, v89
	v_lshl_add_u32 v88, v88, 23, 0x37800000
	v_cndmask_b32_e64 v99, v99, v89, s16
	v_and_b32_e32 v89, 0x80000000, v91
	v_lshlrev_b32_e32 v99, 21, v99
	v_or3_b32 v99, v89, v88, v99
.LBB4_4678:                             ;   in Loop: Header=BB4_4506 Depth=3
	s_or_b32 exec_lo, exec_lo, s17
	v_mul_f32_e32 v99, v13, v99
	v_and_b32_e32 v13, 0x7f800000, v99
	v_cmp_ne_u32_e64 s16, 0x7f800000, v13
	v_mov_b32_e32 v13, 0x80
	s_and_saveexec_b32 s23, s16
	s_cbranch_execz .LBB4_4686
; %bb.4679:                             ;   in Loop: Header=BB4_4506 Depth=3
	v_mov_b32_e32 v13, 0
	s_mov_b32 s72, exec_lo
	v_cmpx_ne_u32_e32 0, v99
	s_cbranch_execz .LBB4_4685
; %bb.4680:                             ;   in Loop: Header=BB4_4506 Depth=3
	v_bfe_u32 v13, v99, 23, 8
	v_and_b32_e32 v88, 0x7fffff, v99
	v_sub_nc_u32_e32 v89, 0x70, v13
	v_cmp_gt_u32_e64 s16, 0x71, v13
	v_or_b32_e32 v90, 0x800000, v88
	v_cndmask_b32_e64 v89, 0, v89, s16
	v_cmp_eq_u32_e64 s16, 0, v13
	v_add_nc_u32_e32 v13, 0xffffff91, v13
	v_cndmask_b32_e64 v89, v89, 0x6f, s16
	v_cndmask_b32_e64 v88, v90, v88, s16
	;; [unrolled: 1-line block ×3, first 2 shown]
	v_lshl_add_u32 v90, 0x200000, v89, -1
	v_lshrrev_b32_e32 v91, v89, v88
	v_lshlrev_b32_e64 v93, v89, 0x100000
	v_add_nc_u32_e32 v89, v89, v13
	v_and_b32_e32 v88, v90, v88
	v_bfe_u32 v92, v91, 21, 1
	v_cmp_eq_u32_e64 s17, v88, v93
	v_add_nc_u32_e32 v90, -1, v92
	v_cndmask_b32_e64 v88, 0, v90, s17
	v_lshrrev_b32_e32 v90, 23, v91
	s_mov_b32 s17, exec_lo
	v_add_nc_u32_e32 v88, v88, v91
	v_xor_b32_e32 v90, 1, v90
	v_and_b32_e32 v13, 0x1fffff, v88
	v_add_nc_u32_e32 v88, v13, v91
                                        ; implicit-def: $vgpr13
	v_cmpx_ne_u32_e64 v89, v90
	s_xor_b32 s17, exec_lo, s17
; %bb.4681:                             ;   in Loop: Header=BB4_4506 Depth=3
	v_cmp_lt_u32_e64 s16, 0xffffff, v88
	v_sub_nc_u32_e32 v13, v89, v90
	v_cndmask_b32_e64 v89, 0, 1, s16
	v_add_co_ci_u32_e64 v13, null, 0, v13, s16
	v_lshrrev_b32_e32 v88, v89, v88
; %bb.4682:                             ;   in Loop: Header=BB4_4506 Depth=3
	s_andn2_saveexec_b32 s16, s17
; %bb.4683:                             ;   in Loop: Header=BB4_4506 Depth=3
	v_bfe_u32 v13, v88, 23, 1
; %bb.4684:                             ;   in Loop: Header=BB4_4506 Depth=3
	s_or_b32 exec_lo, exec_lo, s16
	v_lshrrev_b32_e32 v88, 21, v88
	v_min_i32_e32 v89, 31, v13
	v_cmp_gt_i32_e64 s16, 32, v13
	v_and_b32_sdwa v99, v99, v116 dst_sel:DWORD dst_unused:UNUSED_PAD src0_sel:BYTE_3 src1_sel:DWORD
	v_lshlrev_b32_e32 v89, 2, v89
	v_cndmask_b32_e64 v88, 3, v88, s16
	v_and_b32_e32 v89, 0xfc, v89
	v_and_b32_e32 v90, 3, v88
	v_or_b32_e32 v13, v13, v88
	v_or3_b32 v99, v89, v99, v90
	v_cmp_ne_u32_e64 s16, 0, v13
	v_cndmask_b32_e64 v13, 0, v99, s16
.LBB4_4685:                             ;   in Loop: Header=BB4_4506 Depth=3
	s_or_b32 exec_lo, exec_lo, s72
.LBB4_4686:                             ;   in Loop: Header=BB4_4506 Depth=3
	s_or_b32 exec_lo, exec_lo, s23
	v_cmp_gt_i16_sdwa s17, v14, v115 src0_sel:BYTE_1 src1_sel:DWORD
	s_mov_b32 s16, 0
	s_and_saveexec_b32 s23, s17
	s_xor_b32 s17, exec_lo, s23
	s_cbranch_execz .LBB4_4860
; %bb.4687:                             ;   in Loop: Header=BB4_4506 Depth=3
	v_cmp_eq_u16_sdwa s72, v14, v116 src0_sel:BYTE_1 src1_sel:DWORD
	s_mov_b32 s16, -1
	s_and_saveexec_b32 s23, s72
; %bb.4688:                             ;   in Loop: Header=BB4_4506 Depth=3
	s_xor_b32 s16, exec_lo, -1
; %bb.4689:                             ;   in Loop: Header=BB4_4506 Depth=3
	s_or_b32 exec_lo, exec_lo, s23
	s_and_b32 s16, s16, exec_lo
	s_or_saveexec_b32 s17, s17
	v_mov_b32_e32 v99, 0x7f800001
	s_xor_b32 exec_lo, exec_lo, s17
	s_cbranch_execnz .LBB4_4861
.LBB4_4690:                             ;   in Loop: Header=BB4_4506 Depth=3
	s_or_b32 exec_lo, exec_lo, s17
	s_and_saveexec_b32 s17, s16
	s_cbranch_execz .LBB4_4692
.LBB4_4691:                             ;   in Loop: Header=BB4_4506 Depth=3
	v_and_b32_sdwa v99, v117, v14 dst_sel:DWORD dst_unused:UNUSED_PAD src0_sel:DWORD src1_sel:BYTE_1
	v_and_b32_e32 v88, 3, v99
	v_bfe_u32 v91, v99, 2, 5
	v_ffbh_u32_e32 v89, v88
	v_cmp_eq_u32_e64 s16, 0, v91
	v_min_u32_e32 v89, 32, v89
	v_subrev_nc_u32_e32 v90, 29, v89
	v_sub_nc_u32_e32 v89, 30, v89
	v_lshlrev_b32_e32 v99, v90, v99
	v_lshlrev_b32_sdwa v90, v118, v14 dst_sel:DWORD dst_unused:UNUSED_PAD src0_sel:DWORD src1_sel:BYTE_1
	v_cndmask_b32_e64 v89, v91, v89, s16
	v_and_b32_e32 v99, 3, v99
	v_lshl_add_u32 v89, v89, 23, 0x37800000
	v_cndmask_b32_e64 v99, v88, v99, s16
	v_and_b32_e32 v88, 0x80000000, v90
	v_lshlrev_b32_e32 v99, 21, v99
	v_or3_b32 v99, v88, v89, v99
.LBB4_4692:                             ;   in Loop: Header=BB4_4506 Depth=3
	s_or_b32 exec_lo, exec_lo, s17
	v_cmp_gt_i16_sdwa s17, v10, v115 src0_sel:BYTE_1 src1_sel:DWORD
	s_mov_b32 s16, 0
	s_and_saveexec_b32 s23, s17
	s_xor_b32 s17, exec_lo, s23
	s_cbranch_execz .LBB4_4862
; %bb.4693:                             ;   in Loop: Header=BB4_4506 Depth=3
	v_cmp_eq_u16_sdwa s72, v10, v116 src0_sel:BYTE_1 src1_sel:DWORD
	s_mov_b32 s16, -1
	s_and_saveexec_b32 s23, s72
; %bb.4694:                             ;   in Loop: Header=BB4_4506 Depth=3
	s_xor_b32 s16, exec_lo, -1
; %bb.4695:                             ;   in Loop: Header=BB4_4506 Depth=3
	s_or_b32 exec_lo, exec_lo, s23
	s_and_b32 s16, s16, exec_lo
	s_or_saveexec_b32 s17, s17
	v_mov_b32_e32 v88, 0x7f800001
	s_xor_b32 exec_lo, exec_lo, s17
	s_cbranch_execnz .LBB4_4863
.LBB4_4696:                             ;   in Loop: Header=BB4_4506 Depth=3
	s_or_b32 exec_lo, exec_lo, s17
	s_and_saveexec_b32 s17, s16
	s_cbranch_execz .LBB4_4698
.LBB4_4697:                             ;   in Loop: Header=BB4_4506 Depth=3
	v_and_b32_sdwa v88, v117, v10 dst_sel:DWORD dst_unused:UNUSED_PAD src0_sel:DWORD src1_sel:BYTE_1
	v_and_b32_e32 v89, 3, v88
	v_bfe_u32 v92, v88, 2, 5
	v_ffbh_u32_e32 v90, v89
	v_cmp_eq_u32_e64 s16, 0, v92
	v_min_u32_e32 v90, 32, v90
	v_subrev_nc_u32_e32 v91, 29, v90
	v_sub_nc_u32_e32 v90, 30, v90
	v_lshlrev_b32_e32 v88, v91, v88
	v_lshlrev_b32_sdwa v91, v118, v10 dst_sel:DWORD dst_unused:UNUSED_PAD src0_sel:DWORD src1_sel:BYTE_1
	v_cndmask_b32_e64 v90, v92, v90, s16
	v_and_b32_e32 v88, 3, v88
	v_lshl_add_u32 v90, v90, 23, 0x37800000
	v_cndmask_b32_e64 v88, v89, v88, s16
	v_and_b32_e32 v89, 0x80000000, v91
	v_lshlrev_b32_e32 v88, 21, v88
	v_or3_b32 v88, v89, v90, v88
.LBB4_4698:                             ;   in Loop: Header=BB4_4506 Depth=3
	s_or_b32 exec_lo, exec_lo, s17
	v_mul_f32_e32 v88, v99, v88
	v_and_b32_e32 v99, 0x7f800000, v88
	v_cmp_ne_u32_e64 s16, 0x7f800000, v99
	v_mov_b32_e32 v99, 0x8000
	s_and_saveexec_b32 s23, s16
	s_cbranch_execz .LBB4_4706
; %bb.4699:                             ;   in Loop: Header=BB4_4506 Depth=3
	v_mov_b32_e32 v99, 0
	s_mov_b32 s72, exec_lo
	v_cmpx_ne_u32_e32 0, v88
	s_cbranch_execz .LBB4_4705
; %bb.4700:                             ;   in Loop: Header=BB4_4506 Depth=3
	v_bfe_u32 v99, v88, 23, 8
	v_and_b32_e32 v89, 0x7fffff, v88
	v_sub_nc_u32_e32 v90, 0x70, v99
	v_cmp_gt_u32_e64 s16, 0x71, v99
	v_or_b32_e32 v91, 0x800000, v89
	v_cndmask_b32_e64 v90, 0, v90, s16
	v_cmp_eq_u32_e64 s16, 0, v99
	v_add_nc_u32_e32 v99, 0xffffff91, v99
	v_cndmask_b32_e64 v90, v90, 0x6f, s16
	v_cndmask_b32_e64 v89, v91, v89, s16
	;; [unrolled: 1-line block ×3, first 2 shown]
	v_lshl_add_u32 v91, 0x200000, v90, -1
	v_lshrrev_b32_e32 v92, v90, v89
	v_lshlrev_b32_e64 v94, v90, 0x100000
	v_add_nc_u32_e32 v90, v90, v99
	v_and_b32_e32 v89, v91, v89
	v_bfe_u32 v93, v92, 21, 1
	v_cmp_eq_u32_e64 s17, v89, v94
	v_add_nc_u32_e32 v91, -1, v93
	v_cndmask_b32_e64 v89, 0, v91, s17
	v_lshrrev_b32_e32 v91, 23, v92
	s_mov_b32 s17, exec_lo
	v_add_nc_u32_e32 v89, v89, v92
	v_xor_b32_e32 v91, 1, v91
	v_and_b32_e32 v99, 0x1fffff, v89
	v_add_nc_u32_e32 v89, v99, v92
                                        ; implicit-def: $vgpr99
	v_cmpx_ne_u32_e64 v90, v91
	s_xor_b32 s17, exec_lo, s17
; %bb.4701:                             ;   in Loop: Header=BB4_4506 Depth=3
	v_cmp_lt_u32_e64 s16, 0xffffff, v89
	v_sub_nc_u32_e32 v99, v90, v91
	v_cndmask_b32_e64 v90, 0, 1, s16
	v_add_co_ci_u32_e64 v99, null, 0, v99, s16
	v_lshrrev_b32_e32 v89, v90, v89
; %bb.4702:                             ;   in Loop: Header=BB4_4506 Depth=3
	s_andn2_saveexec_b32 s16, s17
; %bb.4703:                             ;   in Loop: Header=BB4_4506 Depth=3
	v_bfe_u32 v99, v89, 23, 1
; %bb.4704:                             ;   in Loop: Header=BB4_4506 Depth=3
	s_or_b32 exec_lo, exec_lo, s16
	v_lshrrev_b32_e32 v89, 21, v89
	v_min_i32_e32 v90, 31, v99
	v_cmp_gt_i32_e64 s16, 32, v99
	v_and_b32_sdwa v88, v88, v116 dst_sel:DWORD dst_unused:UNUSED_PAD src0_sel:BYTE_3 src1_sel:DWORD
	v_lshlrev_b32_e32 v90, 2, v90
	v_cndmask_b32_e64 v89, 3, v89, s16
	v_and_b32_e32 v90, 0xfc, v90
	v_and_b32_e32 v91, 3, v89
	v_or_b32_e32 v99, v99, v89
	v_or3_b32 v88, v88, v90, v91
	v_cmp_ne_u32_e64 s16, 0, v99
	v_lshlrev_b32_e32 v88, 8, v88
	v_cndmask_b32_e64 v99, 0, v88, s16
.LBB4_4705:                             ;   in Loop: Header=BB4_4506 Depth=3
	s_or_b32 exec_lo, exec_lo, s72
.LBB4_4706:                             ;   in Loop: Header=BB4_4506 Depth=3
	s_or_b32 exec_lo, exec_lo, s23
	v_and_b32_sdwa v89, v14, v119 dst_sel:DWORD dst_unused:UNUSED_PAD src0_sel:WORD_1 src1_sel:DWORD
	s_mov_b32 s17, 0
	s_mov_b32 s23, exec_lo
	v_cmpx_lt_i16_e32 0x7f, v89
	s_xor_b32 s23, exec_lo, s23
	s_cbranch_execz .LBB4_4864
; %bb.4707:                             ;   in Loop: Header=BB4_4506 Depth=3
	s_mov_b32 s17, -1
	s_mov_b32 s72, exec_lo
	v_cmpx_eq_u16_e32 0x80, v89
; %bb.4708:                             ;   in Loop: Header=BB4_4506 Depth=3
	s_xor_b32 s17, exec_lo, -1
; %bb.4709:                             ;   in Loop: Header=BB4_4506 Depth=3
	s_or_b32 exec_lo, exec_lo, s72
	s_and_b32 s17, s17, exec_lo
                                        ; implicit-def: $vgpr89
	s_or_saveexec_b32 s23, s23
	v_mov_b32_e32 v88, 0x7f800001
	s_xor_b32 exec_lo, exec_lo, s23
	s_cbranch_execnz .LBB4_4865
.LBB4_4710:                             ;   in Loop: Header=BB4_4506 Depth=3
	s_or_b32 exec_lo, exec_lo, s23
	s_and_saveexec_b32 s23, s17
	s_cbranch_execz .LBB4_4712
.LBB4_4711:                             ;   in Loop: Header=BB4_4506 Depth=3
	v_bfe_u32 v88, v14, 16, 2
	v_bfe_u32 v91, v14, 18, 5
	v_lshlrev_b32_e32 v92, 8, v14
	v_ffbh_u32_e32 v89, v88
	v_cmp_eq_u32_e64 s16, 0, v91
	v_min_u32_e32 v89, 32, v89
	v_subrev_nc_u32_e32 v90, 29, v89
	v_sub_nc_u32_e32 v89, 30, v89
	v_lshlrev_b32_sdwa v90, v90, v14 dst_sel:DWORD dst_unused:UNUSED_PAD src0_sel:DWORD src1_sel:WORD_1
	v_cndmask_b32_e64 v89, v91, v89, s16
	v_and_b32_e32 v90, 3, v90
	v_lshl_add_u32 v89, v89, 23, 0x37800000
	v_cndmask_b32_e64 v88, v88, v90, s16
	v_and_b32_e32 v90, 0x80000000, v92
	v_lshlrev_b32_e32 v88, 21, v88
	v_or3_b32 v88, v90, v89, v88
.LBB4_4712:                             ;   in Loop: Header=BB4_4506 Depth=3
	s_or_b32 exec_lo, exec_lo, s23
	v_and_b32_sdwa v90, v10, v119 dst_sel:DWORD dst_unused:UNUSED_PAD src0_sel:WORD_1 src1_sel:DWORD
	s_mov_b32 s17, 0
	s_mov_b32 s23, exec_lo
	v_cmpx_lt_i16_e32 0x7f, v90
	s_xor_b32 s23, exec_lo, s23
	s_cbranch_execz .LBB4_4866
; %bb.4713:                             ;   in Loop: Header=BB4_4506 Depth=3
	s_mov_b32 s17, -1
	s_mov_b32 s72, exec_lo
	v_cmpx_eq_u16_e32 0x80, v90
; %bb.4714:                             ;   in Loop: Header=BB4_4506 Depth=3
	s_xor_b32 s17, exec_lo, -1
; %bb.4715:                             ;   in Loop: Header=BB4_4506 Depth=3
	s_or_b32 exec_lo, exec_lo, s72
	s_and_b32 s17, s17, exec_lo
                                        ; implicit-def: $vgpr90
	s_or_saveexec_b32 s23, s23
	v_mov_b32_e32 v89, 0x7f800001
	s_xor_b32 exec_lo, exec_lo, s23
	s_cbranch_execnz .LBB4_4867
.LBB4_4716:                             ;   in Loop: Header=BB4_4506 Depth=3
	s_or_b32 exec_lo, exec_lo, s23
	s_and_saveexec_b32 s23, s17
	s_cbranch_execz .LBB4_4718
.LBB4_4717:                             ;   in Loop: Header=BB4_4506 Depth=3
	v_and_b32_sdwa v89, v10, v40 dst_sel:DWORD dst_unused:UNUSED_PAD src0_sel:WORD_1 src1_sel:DWORD
	v_bfe_u32 v92, v10, 18, 5
	v_lshlrev_b32_sdwa v93, v118, v10 dst_sel:DWORD dst_unused:UNUSED_PAD src0_sel:DWORD src1_sel:WORD_1
	v_ffbh_u32_e32 v90, v89
	v_cmp_eq_u32_e64 s16, 0, v92
	v_min_u32_e32 v90, 32, v90
	v_subrev_nc_u32_e32 v91, 29, v90
	v_sub_nc_u32_e32 v90, 30, v90
	v_lshlrev_b32_sdwa v91, v91, v10 dst_sel:DWORD dst_unused:UNUSED_PAD src0_sel:DWORD src1_sel:WORD_1
	v_cndmask_b32_e64 v90, v92, v90, s16
	v_and_b32_e32 v91, 3, v91
	v_lshl_add_u32 v90, v90, 23, 0x37800000
	v_cndmask_b32_e64 v89, v89, v91, s16
	v_and_b32_e32 v91, 0x80000000, v93
	v_lshlrev_b32_e32 v89, 21, v89
	v_or3_b32 v89, v91, v90, v89
.LBB4_4718:                             ;   in Loop: Header=BB4_4506 Depth=3
	s_or_b32 exec_lo, exec_lo, s23
	v_mul_f32_e32 v89, v88, v89
	v_and_b32_e32 v88, 0x7f800000, v89
	v_cmp_ne_u32_e64 s16, 0x7f800000, v88
	v_mov_b32_e32 v88, 0x80
	s_and_saveexec_b32 s23, s16
	s_cbranch_execz .LBB4_4726
; %bb.4719:                             ;   in Loop: Header=BB4_4506 Depth=3
	v_mov_b32_e32 v88, 0
	s_mov_b32 s72, exec_lo
	v_cmpx_ne_u32_e32 0, v89
	s_cbranch_execz .LBB4_4725
; %bb.4720:                             ;   in Loop: Header=BB4_4506 Depth=3
	v_bfe_u32 v88, v89, 23, 8
	v_and_b32_e32 v90, 0x7fffff, v89
	v_sub_nc_u32_e32 v91, 0x70, v88
	v_cmp_gt_u32_e64 s16, 0x71, v88
	v_or_b32_e32 v92, 0x800000, v90
	v_cndmask_b32_e64 v91, 0, v91, s16
	v_cmp_eq_u32_e64 s16, 0, v88
	v_add_nc_u32_e32 v88, 0xffffff91, v88
	v_cndmask_b32_e64 v91, v91, 0x6f, s16
	v_cndmask_b32_e64 v90, v92, v90, s16
	;; [unrolled: 1-line block ×3, first 2 shown]
	v_lshl_add_u32 v92, 0x200000, v91, -1
	v_lshrrev_b32_e32 v93, v91, v90
	v_lshlrev_b32_e64 v95, v91, 0x100000
	v_add_nc_u32_e32 v91, v91, v88
	v_and_b32_e32 v90, v92, v90
	v_bfe_u32 v94, v93, 21, 1
	v_cmp_eq_u32_e64 s17, v90, v95
	v_add_nc_u32_e32 v92, -1, v94
	v_cndmask_b32_e64 v90, 0, v92, s17
	v_lshrrev_b32_e32 v92, 23, v93
	s_mov_b32 s17, exec_lo
	v_add_nc_u32_e32 v90, v90, v93
	v_xor_b32_e32 v92, 1, v92
	v_and_b32_e32 v88, 0x1fffff, v90
	v_add_nc_u32_e32 v90, v88, v93
                                        ; implicit-def: $vgpr88
	v_cmpx_ne_u32_e64 v91, v92
	s_xor_b32 s17, exec_lo, s17
; %bb.4721:                             ;   in Loop: Header=BB4_4506 Depth=3
	v_cmp_lt_u32_e64 s16, 0xffffff, v90
	v_sub_nc_u32_e32 v88, v91, v92
	v_cndmask_b32_e64 v91, 0, 1, s16
	v_add_co_ci_u32_e64 v88, null, 0, v88, s16
	v_lshrrev_b32_e32 v90, v91, v90
; %bb.4722:                             ;   in Loop: Header=BB4_4506 Depth=3
	s_andn2_saveexec_b32 s16, s17
; %bb.4723:                             ;   in Loop: Header=BB4_4506 Depth=3
	v_bfe_u32 v88, v90, 23, 1
; %bb.4724:                             ;   in Loop: Header=BB4_4506 Depth=3
	s_or_b32 exec_lo, exec_lo, s16
	v_lshrrev_b32_e32 v90, 21, v90
	v_min_i32_e32 v91, 31, v88
	v_cmp_gt_i32_e64 s16, 32, v88
	v_and_b32_sdwa v89, v89, v116 dst_sel:DWORD dst_unused:UNUSED_PAD src0_sel:BYTE_3 src1_sel:DWORD
	v_lshlrev_b32_e32 v91, 2, v91
	v_cndmask_b32_e64 v90, 3, v90, s16
	v_and_b32_e32 v91, 0xfc, v91
	v_and_b32_e32 v92, 3, v90
	v_or_b32_e32 v88, v88, v90
	v_or3_b32 v89, v91, v89, v92
	v_cmp_ne_u32_e64 s16, 0, v88
	v_cndmask_b32_e64 v88, 0, v89, s16
.LBB4_4725:                             ;   in Loop: Header=BB4_4506 Depth=3
	s_or_b32 exec_lo, exec_lo, s72
.LBB4_4726:                             ;   in Loop: Header=BB4_4506 Depth=3
	s_or_b32 exec_lo, exec_lo, s23
	v_cmp_gt_i16_sdwa s17, v14, v115 src0_sel:BYTE_3 src1_sel:DWORD
	s_mov_b32 s16, 0
	s_and_saveexec_b32 s23, s17
	s_xor_b32 s17, exec_lo, s23
	s_cbranch_execz .LBB4_4868
; %bb.4727:                             ;   in Loop: Header=BB4_4506 Depth=3
	v_cmp_eq_u16_sdwa s72, v14, v116 src0_sel:BYTE_3 src1_sel:DWORD
	s_mov_b32 s16, -1
	s_and_saveexec_b32 s23, s72
; %bb.4728:                             ;   in Loop: Header=BB4_4506 Depth=3
	s_xor_b32 s16, exec_lo, -1
; %bb.4729:                             ;   in Loop: Header=BB4_4506 Depth=3
	s_or_b32 exec_lo, exec_lo, s23
	s_and_b32 s16, s16, exec_lo
	s_or_saveexec_b32 s17, s17
	v_mov_b32_e32 v89, 0x7f800001
	s_xor_b32 exec_lo, exec_lo, s17
	s_cbranch_execnz .LBB4_4869
.LBB4_4730:                             ;   in Loop: Header=BB4_4506 Depth=3
	s_or_b32 exec_lo, exec_lo, s17
	s_and_saveexec_b32 s17, s16
	s_cbranch_execz .LBB4_4732
.LBB4_4731:                             ;   in Loop: Header=BB4_4506 Depth=3
	v_bfe_u32 v89, v14, 24, 2
	v_bfe_u32 v92, v14, 26, 5
	v_ffbh_u32_e32 v90, v89
	v_cmp_eq_u32_e64 s16, 0, v92
	v_min_u32_e32 v90, 32, v90
	v_subrev_nc_u32_e32 v91, 29, v90
	v_sub_nc_u32_e32 v90, 30, v90
	v_lshlrev_b32_sdwa v91, v91, v14 dst_sel:DWORD dst_unused:UNUSED_PAD src0_sel:DWORD src1_sel:BYTE_3
	v_cndmask_b32_e64 v90, v92, v90, s16
	v_and_b32_e32 v14, 0x80000000, v14
	v_and_b32_e32 v91, 3, v91
	v_lshl_add_u32 v90, v90, 23, 0x37800000
	v_cndmask_b32_e64 v89, v89, v91, s16
	v_lshlrev_b32_e32 v89, 21, v89
	v_or3_b32 v89, v14, v90, v89
.LBB4_4732:                             ;   in Loop: Header=BB4_4506 Depth=3
	s_or_b32 exec_lo, exec_lo, s17
	v_cmp_gt_i16_sdwa s17, v10, v115 src0_sel:BYTE_3 src1_sel:DWORD
	s_mov_b32 s16, 0
	s_and_saveexec_b32 s23, s17
	s_xor_b32 s17, exec_lo, s23
	s_cbranch_execz .LBB4_4870
; %bb.4733:                             ;   in Loop: Header=BB4_4506 Depth=3
	v_cmp_eq_u16_sdwa s72, v10, v116 src0_sel:BYTE_3 src1_sel:DWORD
	s_mov_b32 s16, -1
	s_and_saveexec_b32 s23, s72
; %bb.4734:                             ;   in Loop: Header=BB4_4506 Depth=3
	s_xor_b32 s16, exec_lo, -1
; %bb.4735:                             ;   in Loop: Header=BB4_4506 Depth=3
	s_or_b32 exec_lo, exec_lo, s23
	s_and_b32 s16, s16, exec_lo
	s_or_saveexec_b32 s17, s17
	v_mov_b32_e32 v14, 0x7f800001
	s_xor_b32 exec_lo, exec_lo, s17
	s_cbranch_execnz .LBB4_4871
.LBB4_4736:                             ;   in Loop: Header=BB4_4506 Depth=3
	s_or_b32 exec_lo, exec_lo, s17
	s_and_saveexec_b32 s17, s16
	s_cbranch_execz .LBB4_4738
.LBB4_4737:                             ;   in Loop: Header=BB4_4506 Depth=3
	v_and_b32_sdwa v14, v10, v40 dst_sel:DWORD dst_unused:UNUSED_PAD src0_sel:BYTE_3 src1_sel:DWORD
	v_bfe_u32 v92, v10, 26, 5
	v_ffbh_u32_e32 v90, v14
	v_cmp_eq_u32_e64 s16, 0, v92
	v_min_u32_e32 v90, 32, v90
	v_subrev_nc_u32_e32 v91, 29, v90
	v_sub_nc_u32_e32 v90, 30, v90
	v_lshlrev_b32_sdwa v91, v91, v10 dst_sel:DWORD dst_unused:UNUSED_PAD src0_sel:DWORD src1_sel:BYTE_3
	v_cndmask_b32_e64 v90, v92, v90, s16
	v_and_b32_e32 v10, 0x80000000, v10
	v_and_b32_e32 v91, 3, v91
	v_lshl_add_u32 v90, v90, 23, 0x37800000
	v_cndmask_b32_e64 v14, v14, v91, s16
	v_lshlrev_b32_e32 v14, 21, v14
	v_or3_b32 v14, v10, v90, v14
.LBB4_4738:                             ;   in Loop: Header=BB4_4506 Depth=3
	s_or_b32 exec_lo, exec_lo, s17
	v_mul_f32_e32 v14, v89, v14
	v_and_b32_e32 v10, 0x7f800000, v14
	v_cmp_ne_u32_e64 s16, 0x7f800000, v10
	v_mov_b32_e32 v10, 0x8000
	s_and_saveexec_b32 s23, s16
	s_cbranch_execz .LBB4_4746
; %bb.4739:                             ;   in Loop: Header=BB4_4506 Depth=3
	v_mov_b32_e32 v10, 0
	s_mov_b32 s72, exec_lo
	v_cmpx_ne_u32_e32 0, v14
	s_cbranch_execz .LBB4_4745
; %bb.4740:                             ;   in Loop: Header=BB4_4506 Depth=3
	v_bfe_u32 v10, v14, 23, 8
	v_and_b32_e32 v89, 0x7fffff, v14
	v_sub_nc_u32_e32 v90, 0x70, v10
	v_cmp_gt_u32_e64 s16, 0x71, v10
	v_or_b32_e32 v91, 0x800000, v89
	v_cndmask_b32_e64 v90, 0, v90, s16
	v_cmp_eq_u32_e64 s16, 0, v10
	v_add_nc_u32_e32 v10, 0xffffff91, v10
	v_cndmask_b32_e64 v90, v90, 0x6f, s16
	v_cndmask_b32_e64 v89, v91, v89, s16
	;; [unrolled: 1-line block ×3, first 2 shown]
	v_lshl_add_u32 v91, 0x200000, v90, -1
	v_lshrrev_b32_e32 v92, v90, v89
	v_lshlrev_b32_e64 v94, v90, 0x100000
	v_add_nc_u32_e32 v90, v90, v10
	v_and_b32_e32 v89, v91, v89
	v_bfe_u32 v93, v92, 21, 1
	v_cmp_eq_u32_e64 s17, v89, v94
	v_add_nc_u32_e32 v91, -1, v93
	v_cndmask_b32_e64 v89, 0, v91, s17
	v_lshrrev_b32_e32 v91, 23, v92
	s_mov_b32 s17, exec_lo
	v_add_nc_u32_e32 v89, v89, v92
	v_xor_b32_e32 v91, 1, v91
	v_and_b32_e32 v10, 0x1fffff, v89
	v_add_nc_u32_e32 v89, v10, v92
                                        ; implicit-def: $vgpr10
	v_cmpx_ne_u32_e64 v90, v91
	s_xor_b32 s17, exec_lo, s17
; %bb.4741:                             ;   in Loop: Header=BB4_4506 Depth=3
	v_cmp_lt_u32_e64 s16, 0xffffff, v89
	v_sub_nc_u32_e32 v10, v90, v91
	v_cndmask_b32_e64 v90, 0, 1, s16
	v_add_co_ci_u32_e64 v10, null, 0, v10, s16
	v_lshrrev_b32_e32 v89, v90, v89
; %bb.4742:                             ;   in Loop: Header=BB4_4506 Depth=3
	s_andn2_saveexec_b32 s16, s17
; %bb.4743:                             ;   in Loop: Header=BB4_4506 Depth=3
	v_bfe_u32 v10, v89, 23, 1
; %bb.4744:                             ;   in Loop: Header=BB4_4506 Depth=3
	s_or_b32 exec_lo, exec_lo, s16
	v_lshrrev_b32_e32 v89, 21, v89
	v_min_i32_e32 v90, 31, v10
	v_cmp_gt_i32_e64 s16, 32, v10
	v_and_b32_sdwa v14, v14, v116 dst_sel:DWORD dst_unused:UNUSED_PAD src0_sel:BYTE_3 src1_sel:DWORD
	v_lshlrev_b32_e32 v90, 2, v90
	v_cndmask_b32_e64 v89, 3, v89, s16
	v_and_b32_e32 v90, 0xfc, v90
	v_and_b32_e32 v91, 3, v89
	v_or_b32_e32 v10, v10, v89
	v_or3_b32 v14, v14, v90, v91
	v_cmp_ne_u32_e64 s16, 0, v10
	v_lshlrev_b32_e32 v14, 8, v14
	v_cndmask_b32_e64 v10, 0, v14, s16
.LBB4_4745:                             ;   in Loop: Header=BB4_4506 Depth=3
	s_or_b32 exec_lo, exec_lo, s72
.LBB4_4746:                             ;   in Loop: Header=BB4_4506 Depth=3
	s_or_b32 exec_lo, exec_lo, s23
	v_cmp_gt_i16_sdwa s17, v15, v115 src0_sel:BYTE_0 src1_sel:DWORD
	s_mov_b32 s16, 0
	s_and_saveexec_b32 s23, s17
	s_xor_b32 s17, exec_lo, s23
	s_cbranch_execz .LBB4_4872
; %bb.4747:                             ;   in Loop: Header=BB4_4506 Depth=3
	v_cmp_eq_u16_sdwa s72, v15, v116 src0_sel:BYTE_0 src1_sel:DWORD
	s_mov_b32 s16, -1
	s_and_saveexec_b32 s23, s72
; %bb.4748:                             ;   in Loop: Header=BB4_4506 Depth=3
	s_xor_b32 s16, exec_lo, -1
; %bb.4749:                             ;   in Loop: Header=BB4_4506 Depth=3
	s_or_b32 exec_lo, exec_lo, s23
	s_and_b32 s16, s16, exec_lo
	s_or_saveexec_b32 s17, s17
	v_mov_b32_e32 v14, 0x7f800001
	s_xor_b32 exec_lo, exec_lo, s17
	s_cbranch_execnz .LBB4_4873
.LBB4_4750:                             ;   in Loop: Header=BB4_4506 Depth=3
	s_or_b32 exec_lo, exec_lo, s17
	s_and_saveexec_b32 s17, s16
	s_cbranch_execz .LBB4_4752
.LBB4_4751:                             ;   in Loop: Header=BB4_4506 Depth=3
	v_and_b32_e32 v14, 3, v15
	v_bfe_u32 v91, v15, 2, 5
	v_lshlrev_b32_e32 v92, 24, v15
	v_ffbh_u32_e32 v89, v14
	v_cmp_eq_u32_e64 s16, 0, v91
	v_min_u32_e32 v89, 32, v89
	v_subrev_nc_u32_e32 v90, 29, v89
	v_sub_nc_u32_e32 v89, 30, v89
	v_lshlrev_b32_e32 v90, v90, v15
	v_cndmask_b32_e64 v89, v91, v89, s16
	v_and_b32_e32 v90, 3, v90
	v_lshl_add_u32 v89, v89, 23, 0x37800000
	v_cndmask_b32_e64 v14, v14, v90, s16
	v_and_b32_e32 v90, 0x80000000, v92
	v_lshlrev_b32_e32 v14, 21, v14
	v_or3_b32 v14, v90, v89, v14
.LBB4_4752:                             ;   in Loop: Header=BB4_4506 Depth=3
	s_or_b32 exec_lo, exec_lo, s17
	v_cmp_gt_i16_sdwa s17, v11, v115 src0_sel:BYTE_0 src1_sel:DWORD
	s_mov_b32 s16, 0
	s_and_saveexec_b32 s23, s17
	s_xor_b32 s17, exec_lo, s23
	s_cbranch_execz .LBB4_4874
; %bb.4753:                             ;   in Loop: Header=BB4_4506 Depth=3
	v_cmp_eq_u16_sdwa s72, v11, v116 src0_sel:BYTE_0 src1_sel:DWORD
	s_mov_b32 s16, -1
	s_and_saveexec_b32 s23, s72
; %bb.4754:                             ;   in Loop: Header=BB4_4506 Depth=3
	s_xor_b32 s16, exec_lo, -1
; %bb.4755:                             ;   in Loop: Header=BB4_4506 Depth=3
	s_or_b32 exec_lo, exec_lo, s23
	s_and_b32 s16, s16, exec_lo
	s_or_saveexec_b32 s17, s17
	v_mov_b32_e32 v89, 0x7f800001
	s_xor_b32 exec_lo, exec_lo, s17
	s_cbranch_execnz .LBB4_4875
.LBB4_4756:                             ;   in Loop: Header=BB4_4506 Depth=3
	s_or_b32 exec_lo, exec_lo, s17
	s_and_saveexec_b32 s17, s16
	s_cbranch_execz .LBB4_4758
.LBB4_4757:                             ;   in Loop: Header=BB4_4506 Depth=3
	v_and_b32_e32 v89, 3, v11
	v_bfe_u32 v92, v11, 2, 5
	v_lshlrev_b32_e32 v93, 24, v11
	v_ffbh_u32_e32 v90, v89
	v_cmp_eq_u32_e64 s16, 0, v92
	v_min_u32_e32 v90, 32, v90
	v_subrev_nc_u32_e32 v91, 29, v90
	v_sub_nc_u32_e32 v90, 30, v90
	v_lshlrev_b32_e32 v91, v91, v11
	v_cndmask_b32_e64 v90, v92, v90, s16
	v_and_b32_e32 v91, 3, v91
	v_lshl_add_u32 v90, v90, 23, 0x37800000
	v_cndmask_b32_e64 v89, v89, v91, s16
	v_and_b32_e32 v91, 0x80000000, v93
	v_lshlrev_b32_e32 v89, 21, v89
	v_or3_b32 v89, v91, v90, v89
.LBB4_4758:                             ;   in Loop: Header=BB4_4506 Depth=3
	s_or_b32 exec_lo, exec_lo, s17
	v_mul_f32_e32 v89, v14, v89
	v_and_b32_e32 v14, 0x7f800000, v89
	v_cmp_ne_u32_e64 s16, 0x7f800000, v14
	v_mov_b32_e32 v14, 0x80
	s_and_saveexec_b32 s23, s16
	s_cbranch_execz .LBB4_4766
; %bb.4759:                             ;   in Loop: Header=BB4_4506 Depth=3
	v_mov_b32_e32 v14, 0
	s_mov_b32 s72, exec_lo
	v_cmpx_ne_u32_e32 0, v89
	s_cbranch_execz .LBB4_4765
; %bb.4760:                             ;   in Loop: Header=BB4_4506 Depth=3
	v_bfe_u32 v14, v89, 23, 8
	v_and_b32_e32 v90, 0x7fffff, v89
	v_sub_nc_u32_e32 v91, 0x70, v14
	v_cmp_gt_u32_e64 s16, 0x71, v14
	v_or_b32_e32 v92, 0x800000, v90
	v_cndmask_b32_e64 v91, 0, v91, s16
	v_cmp_eq_u32_e64 s16, 0, v14
	v_add_nc_u32_e32 v14, 0xffffff91, v14
	v_cndmask_b32_e64 v91, v91, 0x6f, s16
	v_cndmask_b32_e64 v90, v92, v90, s16
	;; [unrolled: 1-line block ×3, first 2 shown]
	v_lshl_add_u32 v92, 0x200000, v91, -1
	v_lshrrev_b32_e32 v93, v91, v90
	v_lshlrev_b32_e64 v95, v91, 0x100000
	v_add_nc_u32_e32 v91, v91, v14
	v_and_b32_e32 v90, v92, v90
	v_bfe_u32 v94, v93, 21, 1
	v_cmp_eq_u32_e64 s17, v90, v95
	v_add_nc_u32_e32 v92, -1, v94
	v_cndmask_b32_e64 v90, 0, v92, s17
	v_lshrrev_b32_e32 v92, 23, v93
	s_mov_b32 s17, exec_lo
	v_add_nc_u32_e32 v90, v90, v93
	v_xor_b32_e32 v92, 1, v92
	v_and_b32_e32 v14, 0x1fffff, v90
	v_add_nc_u32_e32 v90, v14, v93
                                        ; implicit-def: $vgpr14
	v_cmpx_ne_u32_e64 v91, v92
	s_xor_b32 s17, exec_lo, s17
; %bb.4761:                             ;   in Loop: Header=BB4_4506 Depth=3
	v_cmp_lt_u32_e64 s16, 0xffffff, v90
	v_sub_nc_u32_e32 v14, v91, v92
	v_cndmask_b32_e64 v91, 0, 1, s16
	v_add_co_ci_u32_e64 v14, null, 0, v14, s16
	v_lshrrev_b32_e32 v90, v91, v90
; %bb.4762:                             ;   in Loop: Header=BB4_4506 Depth=3
	s_andn2_saveexec_b32 s16, s17
; %bb.4763:                             ;   in Loop: Header=BB4_4506 Depth=3
	v_bfe_u32 v14, v90, 23, 1
; %bb.4764:                             ;   in Loop: Header=BB4_4506 Depth=3
	s_or_b32 exec_lo, exec_lo, s16
	v_lshrrev_b32_e32 v90, 21, v90
	v_min_i32_e32 v91, 31, v14
	v_cmp_gt_i32_e64 s16, 32, v14
	v_and_b32_sdwa v89, v89, v116 dst_sel:DWORD dst_unused:UNUSED_PAD src0_sel:BYTE_3 src1_sel:DWORD
	v_lshlrev_b32_e32 v91, 2, v91
	v_cndmask_b32_e64 v90, 3, v90, s16
	v_and_b32_e32 v91, 0xfc, v91
	v_and_b32_e32 v92, 3, v90
	v_or_b32_e32 v14, v14, v90
	v_or3_b32 v89, v91, v89, v92
	v_cmp_ne_u32_e64 s16, 0, v14
	v_cndmask_b32_e64 v14, 0, v89, s16
.LBB4_4765:                             ;   in Loop: Header=BB4_4506 Depth=3
	s_or_b32 exec_lo, exec_lo, s72
.LBB4_4766:                             ;   in Loop: Header=BB4_4506 Depth=3
	s_or_b32 exec_lo, exec_lo, s23
	v_cmp_gt_i16_sdwa s17, v15, v115 src0_sel:BYTE_1 src1_sel:DWORD
	s_mov_b32 s16, 0
	s_and_saveexec_b32 s23, s17
	s_xor_b32 s17, exec_lo, s23
	s_cbranch_execz .LBB4_4876
; %bb.4767:                             ;   in Loop: Header=BB4_4506 Depth=3
	v_cmp_eq_u16_sdwa s72, v15, v116 src0_sel:BYTE_1 src1_sel:DWORD
	s_mov_b32 s16, -1
	s_and_saveexec_b32 s23, s72
; %bb.4768:                             ;   in Loop: Header=BB4_4506 Depth=3
	s_xor_b32 s16, exec_lo, -1
; %bb.4769:                             ;   in Loop: Header=BB4_4506 Depth=3
	s_or_b32 exec_lo, exec_lo, s23
	s_and_b32 s16, s16, exec_lo
	s_or_saveexec_b32 s17, s17
	v_mov_b32_e32 v89, 0x7f800001
	s_xor_b32 exec_lo, exec_lo, s17
	s_cbranch_execnz .LBB4_4877
.LBB4_4770:                             ;   in Loop: Header=BB4_4506 Depth=3
	s_or_b32 exec_lo, exec_lo, s17
	s_and_saveexec_b32 s17, s16
	s_cbranch_execz .LBB4_4772
.LBB4_4771:                             ;   in Loop: Header=BB4_4506 Depth=3
	v_and_b32_sdwa v89, v117, v15 dst_sel:DWORD dst_unused:UNUSED_PAD src0_sel:DWORD src1_sel:BYTE_1
	v_and_b32_e32 v90, 3, v89
	v_bfe_u32 v93, v89, 2, 5
	v_ffbh_u32_e32 v91, v90
	v_cmp_eq_u32_e64 s16, 0, v93
	v_min_u32_e32 v91, 32, v91
	v_subrev_nc_u32_e32 v92, 29, v91
	v_sub_nc_u32_e32 v91, 30, v91
	v_lshlrev_b32_e32 v89, v92, v89
	v_lshlrev_b32_sdwa v92, v118, v15 dst_sel:DWORD dst_unused:UNUSED_PAD src0_sel:DWORD src1_sel:BYTE_1
	v_cndmask_b32_e64 v91, v93, v91, s16
	v_and_b32_e32 v89, 3, v89
	v_lshl_add_u32 v91, v91, 23, 0x37800000
	v_cndmask_b32_e64 v89, v90, v89, s16
	v_and_b32_e32 v90, 0x80000000, v92
	v_lshlrev_b32_e32 v89, 21, v89
	v_or3_b32 v89, v90, v91, v89
.LBB4_4772:                             ;   in Loop: Header=BB4_4506 Depth=3
	s_or_b32 exec_lo, exec_lo, s17
	v_cmp_gt_i16_sdwa s17, v11, v115 src0_sel:BYTE_1 src1_sel:DWORD
	s_mov_b32 s16, 0
	s_and_saveexec_b32 s23, s17
	s_xor_b32 s17, exec_lo, s23
	s_cbranch_execz .LBB4_4878
; %bb.4773:                             ;   in Loop: Header=BB4_4506 Depth=3
	v_cmp_eq_u16_sdwa s72, v11, v116 src0_sel:BYTE_1 src1_sel:DWORD
	s_mov_b32 s16, -1
	s_and_saveexec_b32 s23, s72
; %bb.4774:                             ;   in Loop: Header=BB4_4506 Depth=3
	s_xor_b32 s16, exec_lo, -1
; %bb.4775:                             ;   in Loop: Header=BB4_4506 Depth=3
	s_or_b32 exec_lo, exec_lo, s23
	s_and_b32 s16, s16, exec_lo
	s_or_saveexec_b32 s17, s17
	v_mov_b32_e32 v90, 0x7f800001
	s_xor_b32 exec_lo, exec_lo, s17
	s_cbranch_execnz .LBB4_4879
.LBB4_4776:                             ;   in Loop: Header=BB4_4506 Depth=3
	s_or_b32 exec_lo, exec_lo, s17
	s_and_saveexec_b32 s17, s16
	s_cbranch_execz .LBB4_4778
.LBB4_4777:                             ;   in Loop: Header=BB4_4506 Depth=3
	v_and_b32_sdwa v90, v117, v11 dst_sel:DWORD dst_unused:UNUSED_PAD src0_sel:DWORD src1_sel:BYTE_1
	v_and_b32_e32 v91, 3, v90
	v_bfe_u32 v94, v90, 2, 5
	v_ffbh_u32_e32 v92, v91
	v_cmp_eq_u32_e64 s16, 0, v94
	v_min_u32_e32 v92, 32, v92
	v_subrev_nc_u32_e32 v93, 29, v92
	v_sub_nc_u32_e32 v92, 30, v92
	v_lshlrev_b32_e32 v90, v93, v90
	v_lshlrev_b32_sdwa v93, v118, v11 dst_sel:DWORD dst_unused:UNUSED_PAD src0_sel:DWORD src1_sel:BYTE_1
	v_cndmask_b32_e64 v92, v94, v92, s16
	v_and_b32_e32 v90, 3, v90
	v_lshl_add_u32 v92, v92, 23, 0x37800000
	v_cndmask_b32_e64 v90, v91, v90, s16
	v_and_b32_e32 v91, 0x80000000, v93
	v_lshlrev_b32_e32 v90, 21, v90
	v_or3_b32 v90, v91, v92, v90
.LBB4_4778:                             ;   in Loop: Header=BB4_4506 Depth=3
	s_or_b32 exec_lo, exec_lo, s17
	v_mul_f32_e32 v90, v89, v90
	v_and_b32_e32 v89, 0x7f800000, v90
	v_cmp_ne_u32_e64 s16, 0x7f800000, v89
	v_mov_b32_e32 v89, 0x8000
	s_and_saveexec_b32 s23, s16
	s_cbranch_execz .LBB4_4786
; %bb.4779:                             ;   in Loop: Header=BB4_4506 Depth=3
	v_mov_b32_e32 v89, 0
	s_mov_b32 s72, exec_lo
	v_cmpx_ne_u32_e32 0, v90
	s_cbranch_execz .LBB4_4785
; %bb.4780:                             ;   in Loop: Header=BB4_4506 Depth=3
	v_bfe_u32 v89, v90, 23, 8
	v_and_b32_e32 v91, 0x7fffff, v90
	v_sub_nc_u32_e32 v92, 0x70, v89
	v_cmp_gt_u32_e64 s16, 0x71, v89
	v_or_b32_e32 v93, 0x800000, v91
	v_cndmask_b32_e64 v92, 0, v92, s16
	v_cmp_eq_u32_e64 s16, 0, v89
	v_add_nc_u32_e32 v89, 0xffffff91, v89
	v_cndmask_b32_e64 v92, v92, 0x6f, s16
	v_cndmask_b32_e64 v91, v93, v91, s16
	;; [unrolled: 1-line block ×3, first 2 shown]
	v_lshl_add_u32 v93, 0x200000, v92, -1
	v_lshrrev_b32_e32 v94, v92, v91
	v_lshlrev_b32_e64 v104, v92, 0x100000
	v_add_nc_u32_e32 v92, v92, v89
	v_and_b32_e32 v91, v93, v91
	v_bfe_u32 v95, v94, 21, 1
	v_cmp_eq_u32_e64 s17, v91, v104
	v_add_nc_u32_e32 v93, -1, v95
	v_cndmask_b32_e64 v91, 0, v93, s17
	v_lshrrev_b32_e32 v93, 23, v94
	s_mov_b32 s17, exec_lo
	v_add_nc_u32_e32 v91, v91, v94
	v_xor_b32_e32 v93, 1, v93
	v_and_b32_e32 v89, 0x1fffff, v91
	v_add_nc_u32_e32 v91, v89, v94
                                        ; implicit-def: $vgpr89
	v_cmpx_ne_u32_e64 v92, v93
	s_xor_b32 s17, exec_lo, s17
; %bb.4781:                             ;   in Loop: Header=BB4_4506 Depth=3
	v_cmp_lt_u32_e64 s16, 0xffffff, v91
	v_sub_nc_u32_e32 v89, v92, v93
	v_cndmask_b32_e64 v92, 0, 1, s16
	v_add_co_ci_u32_e64 v89, null, 0, v89, s16
	v_lshrrev_b32_e32 v91, v92, v91
; %bb.4782:                             ;   in Loop: Header=BB4_4506 Depth=3
	s_andn2_saveexec_b32 s16, s17
; %bb.4783:                             ;   in Loop: Header=BB4_4506 Depth=3
	v_bfe_u32 v89, v91, 23, 1
; %bb.4784:                             ;   in Loop: Header=BB4_4506 Depth=3
	s_or_b32 exec_lo, exec_lo, s16
	v_lshrrev_b32_e32 v91, 21, v91
	v_min_i32_e32 v92, 31, v89
	v_cmp_gt_i32_e64 s16, 32, v89
	v_and_b32_sdwa v90, v90, v116 dst_sel:DWORD dst_unused:UNUSED_PAD src0_sel:BYTE_3 src1_sel:DWORD
	v_lshlrev_b32_e32 v92, 2, v92
	v_cndmask_b32_e64 v91, 3, v91, s16
	v_and_b32_e32 v92, 0xfc, v92
	v_and_b32_e32 v93, 3, v91
	v_or_b32_e32 v89, v89, v91
	v_or3_b32 v90, v90, v92, v93
	v_cmp_ne_u32_e64 s16, 0, v89
	v_lshlrev_b32_e32 v90, 8, v90
	v_cndmask_b32_e64 v89, 0, v90, s16
.LBB4_4785:                             ;   in Loop: Header=BB4_4506 Depth=3
	s_or_b32 exec_lo, exec_lo, s72
.LBB4_4786:                             ;   in Loop: Header=BB4_4506 Depth=3
	s_or_b32 exec_lo, exec_lo, s23
	v_and_b32_sdwa v91, v15, v119 dst_sel:DWORD dst_unused:UNUSED_PAD src0_sel:WORD_1 src1_sel:DWORD
	s_mov_b32 s17, 0
	s_mov_b32 s23, exec_lo
	v_cmpx_lt_i16_e32 0x7f, v91
	s_xor_b32 s23, exec_lo, s23
	s_cbranch_execz .LBB4_4880
; %bb.4787:                             ;   in Loop: Header=BB4_4506 Depth=3
	s_mov_b32 s17, -1
	s_mov_b32 s72, exec_lo
	v_cmpx_eq_u16_e32 0x80, v91
; %bb.4788:                             ;   in Loop: Header=BB4_4506 Depth=3
	s_xor_b32 s17, exec_lo, -1
; %bb.4789:                             ;   in Loop: Header=BB4_4506 Depth=3
	s_or_b32 exec_lo, exec_lo, s72
	s_and_b32 s17, s17, exec_lo
                                        ; implicit-def: $vgpr91
	s_or_saveexec_b32 s23, s23
	v_mov_b32_e32 v90, 0x7f800001
	s_xor_b32 exec_lo, exec_lo, s23
	s_cbranch_execnz .LBB4_4881
.LBB4_4790:                             ;   in Loop: Header=BB4_4506 Depth=3
	s_or_b32 exec_lo, exec_lo, s23
	s_and_saveexec_b32 s23, s17
	s_cbranch_execz .LBB4_4792
.LBB4_4791:                             ;   in Loop: Header=BB4_4506 Depth=3
	v_bfe_u32 v90, v15, 16, 2
	v_bfe_u32 v93, v15, 18, 5
	v_lshlrev_b32_e32 v94, 8, v15
	v_ffbh_u32_e32 v91, v90
	v_cmp_eq_u32_e64 s16, 0, v93
	v_min_u32_e32 v91, 32, v91
	v_subrev_nc_u32_e32 v92, 29, v91
	v_sub_nc_u32_e32 v91, 30, v91
	v_lshlrev_b32_sdwa v92, v92, v15 dst_sel:DWORD dst_unused:UNUSED_PAD src0_sel:DWORD src1_sel:WORD_1
	v_cndmask_b32_e64 v91, v93, v91, s16
	v_and_b32_e32 v92, 3, v92
	v_lshl_add_u32 v91, v91, 23, 0x37800000
	v_cndmask_b32_e64 v90, v90, v92, s16
	v_and_b32_e32 v92, 0x80000000, v94
	v_lshlrev_b32_e32 v90, 21, v90
	v_or3_b32 v90, v92, v91, v90
.LBB4_4792:                             ;   in Loop: Header=BB4_4506 Depth=3
	s_or_b32 exec_lo, exec_lo, s23
	v_and_b32_sdwa v92, v11, v119 dst_sel:DWORD dst_unused:UNUSED_PAD src0_sel:WORD_1 src1_sel:DWORD
	s_mov_b32 s17, 0
	s_mov_b32 s23, exec_lo
	v_cmpx_lt_i16_e32 0x7f, v92
	s_xor_b32 s23, exec_lo, s23
	s_cbranch_execz .LBB4_4882
; %bb.4793:                             ;   in Loop: Header=BB4_4506 Depth=3
	s_mov_b32 s17, -1
	s_mov_b32 s72, exec_lo
	v_cmpx_eq_u16_e32 0x80, v92
; %bb.4794:                             ;   in Loop: Header=BB4_4506 Depth=3
	s_xor_b32 s17, exec_lo, -1
; %bb.4795:                             ;   in Loop: Header=BB4_4506 Depth=3
	s_or_b32 exec_lo, exec_lo, s72
	s_and_b32 s17, s17, exec_lo
                                        ; implicit-def: $vgpr92
	s_or_saveexec_b32 s23, s23
	v_mov_b32_e32 v91, 0x7f800001
	s_xor_b32 exec_lo, exec_lo, s23
	s_cbranch_execnz .LBB4_4883
.LBB4_4796:                             ;   in Loop: Header=BB4_4506 Depth=3
	s_or_b32 exec_lo, exec_lo, s23
	s_and_saveexec_b32 s23, s17
	s_cbranch_execz .LBB4_4798
.LBB4_4797:                             ;   in Loop: Header=BB4_4506 Depth=3
	v_and_b32_sdwa v91, v11, v40 dst_sel:DWORD dst_unused:UNUSED_PAD src0_sel:WORD_1 src1_sel:DWORD
	v_bfe_u32 v94, v11, 18, 5
	v_lshlrev_b32_sdwa v95, v118, v11 dst_sel:DWORD dst_unused:UNUSED_PAD src0_sel:DWORD src1_sel:WORD_1
	v_ffbh_u32_e32 v92, v91
	v_cmp_eq_u32_e64 s16, 0, v94
	v_min_u32_e32 v92, 32, v92
	v_subrev_nc_u32_e32 v93, 29, v92
	v_sub_nc_u32_e32 v92, 30, v92
	v_lshlrev_b32_sdwa v93, v93, v11 dst_sel:DWORD dst_unused:UNUSED_PAD src0_sel:DWORD src1_sel:WORD_1
	v_cndmask_b32_e64 v92, v94, v92, s16
	v_and_b32_e32 v93, 3, v93
	v_lshl_add_u32 v92, v92, 23, 0x37800000
	v_cndmask_b32_e64 v91, v91, v93, s16
	v_and_b32_e32 v93, 0x80000000, v95
	v_lshlrev_b32_e32 v91, 21, v91
	v_or3_b32 v91, v93, v92, v91
.LBB4_4798:                             ;   in Loop: Header=BB4_4506 Depth=3
	s_or_b32 exec_lo, exec_lo, s23
	v_mul_f32_e32 v91, v90, v91
	v_and_b32_e32 v90, 0x7f800000, v91
	v_cmp_ne_u32_e64 s16, 0x7f800000, v90
	v_mov_b32_e32 v90, 0x80
	s_and_saveexec_b32 s23, s16
	s_cbranch_execz .LBB4_4806
; %bb.4799:                             ;   in Loop: Header=BB4_4506 Depth=3
	v_mov_b32_e32 v90, 0
	s_mov_b32 s72, exec_lo
	v_cmpx_ne_u32_e32 0, v91
	s_cbranch_execz .LBB4_4805
; %bb.4800:                             ;   in Loop: Header=BB4_4506 Depth=3
	v_bfe_u32 v90, v91, 23, 8
	v_and_b32_e32 v92, 0x7fffff, v91
	v_sub_nc_u32_e32 v93, 0x70, v90
	v_cmp_gt_u32_e64 s16, 0x71, v90
	v_or_b32_e32 v94, 0x800000, v92
	v_cndmask_b32_e64 v93, 0, v93, s16
	v_cmp_eq_u32_e64 s16, 0, v90
	v_add_nc_u32_e32 v90, 0xffffff91, v90
	v_cndmask_b32_e64 v93, v93, 0x6f, s16
	v_cndmask_b32_e64 v92, v94, v92, s16
	;; [unrolled: 1-line block ×3, first 2 shown]
	v_lshl_add_u32 v94, 0x200000, v93, -1
	v_lshrrev_b32_e32 v95, v93, v92
	v_lshlrev_b32_e64 v105, v93, 0x100000
	v_add_nc_u32_e32 v93, v93, v90
	v_and_b32_e32 v92, v94, v92
	v_bfe_u32 v104, v95, 21, 1
	v_cmp_eq_u32_e64 s17, v92, v105
	v_add_nc_u32_e32 v94, -1, v104
	v_cndmask_b32_e64 v92, 0, v94, s17
	v_lshrrev_b32_e32 v94, 23, v95
	s_mov_b32 s17, exec_lo
	v_add_nc_u32_e32 v92, v92, v95
	v_xor_b32_e32 v94, 1, v94
	v_and_b32_e32 v90, 0x1fffff, v92
	v_add_nc_u32_e32 v92, v90, v95
                                        ; implicit-def: $vgpr90
	v_cmpx_ne_u32_e64 v93, v94
	s_xor_b32 s17, exec_lo, s17
; %bb.4801:                             ;   in Loop: Header=BB4_4506 Depth=3
	v_cmp_lt_u32_e64 s16, 0xffffff, v92
	v_sub_nc_u32_e32 v90, v93, v94
	v_cndmask_b32_e64 v93, 0, 1, s16
	v_add_co_ci_u32_e64 v90, null, 0, v90, s16
	v_lshrrev_b32_e32 v92, v93, v92
; %bb.4802:                             ;   in Loop: Header=BB4_4506 Depth=3
	s_andn2_saveexec_b32 s16, s17
; %bb.4803:                             ;   in Loop: Header=BB4_4506 Depth=3
	v_bfe_u32 v90, v92, 23, 1
; %bb.4804:                             ;   in Loop: Header=BB4_4506 Depth=3
	s_or_b32 exec_lo, exec_lo, s16
	v_lshrrev_b32_e32 v92, 21, v92
	v_min_i32_e32 v93, 31, v90
	v_cmp_gt_i32_e64 s16, 32, v90
	v_and_b32_sdwa v91, v91, v116 dst_sel:DWORD dst_unused:UNUSED_PAD src0_sel:BYTE_3 src1_sel:DWORD
	v_lshlrev_b32_e32 v93, 2, v93
	v_cndmask_b32_e64 v92, 3, v92, s16
	v_and_b32_e32 v93, 0xfc, v93
	v_and_b32_e32 v94, 3, v92
	v_or_b32_e32 v90, v90, v92
	v_or3_b32 v91, v93, v91, v94
	v_cmp_ne_u32_e64 s16, 0, v90
	v_cndmask_b32_e64 v90, 0, v91, s16
.LBB4_4805:                             ;   in Loop: Header=BB4_4506 Depth=3
	s_or_b32 exec_lo, exec_lo, s72
.LBB4_4806:                             ;   in Loop: Header=BB4_4506 Depth=3
	s_or_b32 exec_lo, exec_lo, s23
	v_cmp_gt_i16_sdwa s17, v15, v115 src0_sel:BYTE_3 src1_sel:DWORD
	s_mov_b32 s16, 0
	s_and_saveexec_b32 s23, s17
	s_xor_b32 s17, exec_lo, s23
	s_cbranch_execz .LBB4_4884
; %bb.4807:                             ;   in Loop: Header=BB4_4506 Depth=3
	v_cmp_eq_u16_sdwa s72, v15, v116 src0_sel:BYTE_3 src1_sel:DWORD
	s_mov_b32 s16, -1
	s_and_saveexec_b32 s23, s72
; %bb.4808:                             ;   in Loop: Header=BB4_4506 Depth=3
	s_xor_b32 s16, exec_lo, -1
; %bb.4809:                             ;   in Loop: Header=BB4_4506 Depth=3
	s_or_b32 exec_lo, exec_lo, s23
	s_and_b32 s16, s16, exec_lo
	s_or_saveexec_b32 s17, s17
	v_mov_b32_e32 v91, 0x7f800001
	s_xor_b32 exec_lo, exec_lo, s17
	s_cbranch_execnz .LBB4_4885
.LBB4_4810:                             ;   in Loop: Header=BB4_4506 Depth=3
	s_or_b32 exec_lo, exec_lo, s17
	s_and_saveexec_b32 s17, s16
	s_cbranch_execz .LBB4_4812
.LBB4_4811:                             ;   in Loop: Header=BB4_4506 Depth=3
	v_bfe_u32 v91, v15, 24, 2
	v_bfe_u32 v94, v15, 26, 5
	v_ffbh_u32_e32 v92, v91
	v_cmp_eq_u32_e64 s16, 0, v94
	v_min_u32_e32 v92, 32, v92
	v_subrev_nc_u32_e32 v93, 29, v92
	v_sub_nc_u32_e32 v92, 30, v92
	v_lshlrev_b32_sdwa v93, v93, v15 dst_sel:DWORD dst_unused:UNUSED_PAD src0_sel:DWORD src1_sel:BYTE_3
	v_cndmask_b32_e64 v92, v94, v92, s16
	v_and_b32_e32 v15, 0x80000000, v15
	v_and_b32_e32 v93, 3, v93
	v_lshl_add_u32 v92, v92, 23, 0x37800000
	v_cndmask_b32_e64 v91, v91, v93, s16
	v_lshlrev_b32_e32 v91, 21, v91
	v_or3_b32 v91, v15, v92, v91
.LBB4_4812:                             ;   in Loop: Header=BB4_4506 Depth=3
	s_or_b32 exec_lo, exec_lo, s17
	v_cmp_gt_i16_sdwa s17, v11, v115 src0_sel:BYTE_3 src1_sel:DWORD
	s_mov_b32 s16, 0
	s_and_saveexec_b32 s23, s17
	s_xor_b32 s17, exec_lo, s23
	s_cbranch_execz .LBB4_4886
; %bb.4813:                             ;   in Loop: Header=BB4_4506 Depth=3
	v_cmp_eq_u16_sdwa s72, v11, v116 src0_sel:BYTE_3 src1_sel:DWORD
	s_mov_b32 s16, -1
	s_and_saveexec_b32 s23, s72
; %bb.4814:                             ;   in Loop: Header=BB4_4506 Depth=3
	s_xor_b32 s16, exec_lo, -1
; %bb.4815:                             ;   in Loop: Header=BB4_4506 Depth=3
	s_or_b32 exec_lo, exec_lo, s23
	s_and_b32 s16, s16, exec_lo
	s_or_saveexec_b32 s17, s17
	v_mov_b32_e32 v15, 0x7f800001
	s_xor_b32 exec_lo, exec_lo, s17
	s_cbranch_execnz .LBB4_4887
.LBB4_4816:                             ;   in Loop: Header=BB4_4506 Depth=3
	s_or_b32 exec_lo, exec_lo, s17
	s_and_saveexec_b32 s17, s16
	s_cbranch_execz .LBB4_4818
.LBB4_4817:                             ;   in Loop: Header=BB4_4506 Depth=3
	v_and_b32_sdwa v15, v11, v40 dst_sel:DWORD dst_unused:UNUSED_PAD src0_sel:BYTE_3 src1_sel:DWORD
	v_bfe_u32 v94, v11, 26, 5
	v_ffbh_u32_e32 v92, v15
	v_cmp_eq_u32_e64 s16, 0, v94
	v_min_u32_e32 v92, 32, v92
	v_subrev_nc_u32_e32 v93, 29, v92
	v_sub_nc_u32_e32 v92, 30, v92
	v_lshlrev_b32_sdwa v93, v93, v11 dst_sel:DWORD dst_unused:UNUSED_PAD src0_sel:DWORD src1_sel:BYTE_3
	v_cndmask_b32_e64 v92, v94, v92, s16
	v_and_b32_e32 v11, 0x80000000, v11
	v_and_b32_e32 v93, 3, v93
	v_lshl_add_u32 v92, v92, 23, 0x37800000
	v_cndmask_b32_e64 v15, v15, v93, s16
	v_lshlrev_b32_e32 v15, 21, v15
	v_or3_b32 v15, v11, v92, v15
.LBB4_4818:                             ;   in Loop: Header=BB4_4506 Depth=3
	s_or_b32 exec_lo, exec_lo, s17
	v_mul_f32_e32 v11, v91, v15
	v_and_b32_e32 v15, 0x7f800000, v11
	v_cmp_ne_u32_e64 s16, 0x7f800000, v15
	v_mov_b32_e32 v15, 0x8000
	s_and_saveexec_b32 s23, s16
	s_cbranch_execz .LBB4_4505
; %bb.4819:                             ;   in Loop: Header=BB4_4506 Depth=3
	v_mov_b32_e32 v15, 0
	s_mov_b32 s72, exec_lo
	v_cmpx_ne_u32_e32 0, v11
	s_cbranch_execz .LBB4_4504
; %bb.4820:                             ;   in Loop: Header=BB4_4506 Depth=3
	v_bfe_u32 v15, v11, 23, 8
	v_and_b32_e32 v91, 0x7fffff, v11
	v_sub_nc_u32_e32 v92, 0x70, v15
	v_cmp_gt_u32_e64 s16, 0x71, v15
	v_or_b32_e32 v93, 0x800000, v91
	v_cndmask_b32_e64 v92, 0, v92, s16
	v_cmp_eq_u32_e64 s16, 0, v15
	v_add_nc_u32_e32 v15, 0xffffff91, v15
	v_cndmask_b32_e64 v92, v92, 0x6f, s16
	v_cndmask_b32_e64 v91, v93, v91, s16
	;; [unrolled: 1-line block ×3, first 2 shown]
	v_lshl_add_u32 v93, 0x200000, v92, -1
	v_lshrrev_b32_e32 v94, v92, v91
	v_lshlrev_b32_e64 v104, v92, 0x100000
	v_add_nc_u32_e32 v92, v92, v15
	v_and_b32_e32 v91, v93, v91
	v_bfe_u32 v95, v94, 21, 1
	v_cmp_eq_u32_e64 s17, v91, v104
	v_add_nc_u32_e32 v93, -1, v95
	v_cndmask_b32_e64 v91, 0, v93, s17
	v_lshrrev_b32_e32 v93, 23, v94
	s_mov_b32 s17, exec_lo
	v_add_nc_u32_e32 v91, v91, v94
	v_xor_b32_e32 v93, 1, v93
	v_and_b32_e32 v15, 0x1fffff, v91
	v_add_nc_u32_e32 v91, v15, v94
                                        ; implicit-def: $vgpr15
	v_cmpx_ne_u32_e64 v92, v93
	s_xor_b32 s17, exec_lo, s17
; %bb.4821:                             ;   in Loop: Header=BB4_4506 Depth=3
	v_cmp_lt_u32_e64 s16, 0xffffff, v91
	v_sub_nc_u32_e32 v15, v92, v93
	v_cndmask_b32_e64 v92, 0, 1, s16
	v_add_co_ci_u32_e64 v15, null, 0, v15, s16
	v_lshrrev_b32_e32 v91, v92, v91
; %bb.4822:                             ;   in Loop: Header=BB4_4506 Depth=3
	s_andn2_saveexec_b32 s16, s17
	s_cbranch_execz .LBB4_4503
; %bb.4823:                             ;   in Loop: Header=BB4_4506 Depth=3
	v_bfe_u32 v15, v91, 23, 1
	s_branch .LBB4_4503
.LBB4_4824:                             ;   in Loop: Header=BB4_4506 Depth=3
	s_or_saveexec_b32 s17, s17
	v_mov_b32_e32 v86, 0x7f800001
	s_xor_b32 exec_lo, exec_lo, s17
	s_cbranch_execz .LBB4_4510
.LBB4_4825:                             ;   in Loop: Header=BB4_4506 Depth=3
	v_cmp_ne_u16_sdwa s23, v12, v2 src0_sel:BYTE_0 src1_sel:DWORD
	v_mov_b32_e32 v86, 0
	s_andn2_b32 s16, s16, exec_lo
	s_and_b32 s23, s23, exec_lo
	s_or_b32 s16, s16, s23
	s_or_b32 exec_lo, exec_lo, s17
	s_and_saveexec_b32 s17, s16
	s_cbranch_execnz .LBB4_4511
	s_branch .LBB4_4512
.LBB4_4826:                             ;   in Loop: Header=BB4_4506 Depth=3
	s_or_saveexec_b32 s17, s17
	v_mov_b32_e32 v87, 0x7f800001
	s_xor_b32 exec_lo, exec_lo, s17
	s_cbranch_execz .LBB4_4516
.LBB4_4827:                             ;   in Loop: Header=BB4_4506 Depth=3
	v_cmp_ne_u16_sdwa s23, v8, v2 src0_sel:BYTE_0 src1_sel:DWORD
	v_mov_b32_e32 v87, 0
	s_andn2_b32 s16, s16, exec_lo
	s_and_b32 s23, s23, exec_lo
	s_or_b32 s16, s16, s23
	s_or_b32 exec_lo, exec_lo, s17
	s_and_saveexec_b32 s17, s16
	s_cbranch_execnz .LBB4_4517
	s_branch .LBB4_4518
.LBB4_4828:                             ;   in Loop: Header=BB4_4506 Depth=3
	s_or_saveexec_b32 s17, s17
	v_mov_b32_e32 v87, 0x7f800001
	s_xor_b32 exec_lo, exec_lo, s17
	s_cbranch_execz .LBB4_4530
.LBB4_4829:                             ;   in Loop: Header=BB4_4506 Depth=3
	v_cmp_ne_u16_sdwa s23, v12, v2 src0_sel:BYTE_1 src1_sel:DWORD
	v_mov_b32_e32 v87, 0
	s_andn2_b32 s16, s16, exec_lo
	s_and_b32 s23, s23, exec_lo
	s_or_b32 s16, s16, s23
	s_or_b32 exec_lo, exec_lo, s17
	s_and_saveexec_b32 s17, s16
	s_cbranch_execnz .LBB4_4531
	s_branch .LBB4_4532
.LBB4_4830:                             ;   in Loop: Header=BB4_4506 Depth=3
	s_or_saveexec_b32 s17, s17
	v_mov_b32_e32 v96, 0x7f800001
	s_xor_b32 exec_lo, exec_lo, s17
	s_cbranch_execz .LBB4_4536
.LBB4_4831:                             ;   in Loop: Header=BB4_4506 Depth=3
	v_cmp_ne_u16_sdwa s23, v8, v2 src0_sel:BYTE_1 src1_sel:DWORD
	v_mov_b32_e32 v96, 0
	s_andn2_b32 s16, s16, exec_lo
	s_and_b32 s23, s23, exec_lo
	s_or_b32 s16, s16, s23
	s_or_b32 exec_lo, exec_lo, s17
	s_and_saveexec_b32 s17, s16
	s_cbranch_execnz .LBB4_4537
	s_branch .LBB4_4538
.LBB4_4832:                             ;   in Loop: Header=BB4_4506 Depth=3
	s_or_saveexec_b32 s23, s23
	v_mov_b32_e32 v96, 0x7f800001
	s_xor_b32 exec_lo, exec_lo, s23
	s_cbranch_execz .LBB4_4550
.LBB4_4833:                             ;   in Loop: Header=BB4_4506 Depth=3
	v_cmp_ne_u16_e64 s16, 0, v97
	v_mov_b32_e32 v96, 0
	s_andn2_b32 s17, s17, exec_lo
	s_and_b32 s16, s16, exec_lo
	s_or_b32 s17, s17, s16
	s_or_b32 exec_lo, exec_lo, s23
	s_and_saveexec_b32 s23, s17
	s_cbranch_execnz .LBB4_4551
	s_branch .LBB4_4552
.LBB4_4834:                             ;   in Loop: Header=BB4_4506 Depth=3
	s_or_saveexec_b32 s23, s23
	v_mov_b32_e32 v97, 0x7f800001
	s_xor_b32 exec_lo, exec_lo, s23
	s_cbranch_execz .LBB4_4556
.LBB4_4835:                             ;   in Loop: Header=BB4_4506 Depth=3
	v_cmp_ne_u16_e64 s16, 0, v98
	v_mov_b32_e32 v97, 0
	s_andn2_b32 s17, s17, exec_lo
	s_and_b32 s16, s16, exec_lo
	s_or_b32 s17, s17, s16
	s_or_b32 exec_lo, exec_lo, s23
	s_and_saveexec_b32 s23, s17
	s_cbranch_execnz .LBB4_4557
	s_branch .LBB4_4558
.LBB4_4836:                             ;   in Loop: Header=BB4_4506 Depth=3
	s_or_saveexec_b32 s17, s17
	v_mov_b32_e32 v97, 0x7f800001
	s_xor_b32 exec_lo, exec_lo, s17
	s_cbranch_execz .LBB4_4570
.LBB4_4837:                             ;   in Loop: Header=BB4_4506 Depth=3
	v_cmp_ne_u16_sdwa s23, v12, v2 src0_sel:BYTE_3 src1_sel:DWORD
	v_mov_b32_e32 v97, 0
	s_andn2_b32 s16, s16, exec_lo
	s_and_b32 s23, s23, exec_lo
	s_or_b32 s16, s16, s23
	s_or_b32 exec_lo, exec_lo, s17
	s_and_saveexec_b32 s17, s16
	s_cbranch_execnz .LBB4_4571
	s_branch .LBB4_4572
.LBB4_4838:                             ;   in Loop: Header=BB4_4506 Depth=3
	s_or_saveexec_b32 s17, s17
	v_mov_b32_e32 v12, 0x7f800001
	s_xor_b32 exec_lo, exec_lo, s17
	s_cbranch_execz .LBB4_4576
.LBB4_4839:                             ;   in Loop: Header=BB4_4506 Depth=3
	v_cmp_ne_u16_sdwa s23, v8, v2 src0_sel:BYTE_3 src1_sel:DWORD
	v_mov_b32_e32 v12, 0
	s_andn2_b32 s16, s16, exec_lo
	s_and_b32 s23, s23, exec_lo
	s_or_b32 s16, s16, s23
	s_or_b32 exec_lo, exec_lo, s17
	s_and_saveexec_b32 s17, s16
	s_cbranch_execnz .LBB4_4577
	s_branch .LBB4_4578
.LBB4_4840:                             ;   in Loop: Header=BB4_4506 Depth=3
	s_or_saveexec_b32 s17, s17
	v_mov_b32_e32 v12, 0x7f800001
	s_xor_b32 exec_lo, exec_lo, s17
	s_cbranch_execz .LBB4_4590
.LBB4_4841:                             ;   in Loop: Header=BB4_4506 Depth=3
	v_cmp_ne_u16_sdwa s23, v13, v2 src0_sel:BYTE_0 src1_sel:DWORD
	v_mov_b32_e32 v12, 0
	s_andn2_b32 s16, s16, exec_lo
	s_and_b32 s23, s23, exec_lo
	s_or_b32 s16, s16, s23
	s_or_b32 exec_lo, exec_lo, s17
	s_and_saveexec_b32 s17, s16
	s_cbranch_execnz .LBB4_4591
	s_branch .LBB4_4592
.LBB4_4842:                             ;   in Loop: Header=BB4_4506 Depth=3
	s_or_saveexec_b32 s17, s17
	v_mov_b32_e32 v97, 0x7f800001
	s_xor_b32 exec_lo, exec_lo, s17
	s_cbranch_execz .LBB4_4596
.LBB4_4843:                             ;   in Loop: Header=BB4_4506 Depth=3
	v_cmp_ne_u16_sdwa s23, v9, v2 src0_sel:BYTE_0 src1_sel:DWORD
	v_mov_b32_e32 v97, 0
	s_andn2_b32 s16, s16, exec_lo
	s_and_b32 s23, s23, exec_lo
	s_or_b32 s16, s16, s23
	s_or_b32 exec_lo, exec_lo, s17
	s_and_saveexec_b32 s17, s16
	s_cbranch_execnz .LBB4_4597
	s_branch .LBB4_4598
.LBB4_4844:                             ;   in Loop: Header=BB4_4506 Depth=3
	s_or_saveexec_b32 s17, s17
	v_mov_b32_e32 v97, 0x7f800001
	s_xor_b32 exec_lo, exec_lo, s17
	s_cbranch_execz .LBB4_4610
.LBB4_4845:                             ;   in Loop: Header=BB4_4506 Depth=3
	v_cmp_ne_u16_sdwa s23, v13, v2 src0_sel:BYTE_1 src1_sel:DWORD
	v_mov_b32_e32 v97, 0
	s_andn2_b32 s16, s16, exec_lo
	s_and_b32 s23, s23, exec_lo
	s_or_b32 s16, s16, s23
	s_or_b32 exec_lo, exec_lo, s17
	s_and_saveexec_b32 s17, s16
	s_cbranch_execnz .LBB4_4611
	s_branch .LBB4_4612
.LBB4_4846:                             ;   in Loop: Header=BB4_4506 Depth=3
	s_or_saveexec_b32 s17, s17
	v_mov_b32_e32 v98, 0x7f800001
	s_xor_b32 exec_lo, exec_lo, s17
	s_cbranch_execz .LBB4_4616
.LBB4_4847:                             ;   in Loop: Header=BB4_4506 Depth=3
	v_cmp_ne_u16_sdwa s23, v9, v2 src0_sel:BYTE_1 src1_sel:DWORD
	v_mov_b32_e32 v98, 0
	s_andn2_b32 s16, s16, exec_lo
	s_and_b32 s23, s23, exec_lo
	s_or_b32 s16, s16, s23
	s_or_b32 exec_lo, exec_lo, s17
	s_and_saveexec_b32 s17, s16
	s_cbranch_execnz .LBB4_4617
	s_branch .LBB4_4618
.LBB4_4848:                             ;   in Loop: Header=BB4_4506 Depth=3
	s_or_saveexec_b32 s23, s23
	v_mov_b32_e32 v98, 0x7f800001
	s_xor_b32 exec_lo, exec_lo, s23
	s_cbranch_execz .LBB4_4630
.LBB4_4849:                             ;   in Loop: Header=BB4_4506 Depth=3
	v_cmp_ne_u16_e64 s16, 0, v99
	v_mov_b32_e32 v98, 0
	s_andn2_b32 s17, s17, exec_lo
	s_and_b32 s16, s16, exec_lo
	s_or_b32 s17, s17, s16
	s_or_b32 exec_lo, exec_lo, s23
	s_and_saveexec_b32 s23, s17
	s_cbranch_execnz .LBB4_4631
	s_branch .LBB4_4632
.LBB4_4850:                             ;   in Loop: Header=BB4_4506 Depth=3
	s_or_saveexec_b32 s23, s23
	v_mov_b32_e32 v99, 0x7f800001
	s_xor_b32 exec_lo, exec_lo, s23
	s_cbranch_execz .LBB4_4636
.LBB4_4851:                             ;   in Loop: Header=BB4_4506 Depth=3
	v_cmp_ne_u16_e64 s16, 0, v88
	v_mov_b32_e32 v99, 0
	s_andn2_b32 s17, s17, exec_lo
	s_and_b32 s16, s16, exec_lo
	s_or_b32 s17, s17, s16
	s_or_b32 exec_lo, exec_lo, s23
	s_and_saveexec_b32 s23, s17
	s_cbranch_execnz .LBB4_4637
	s_branch .LBB4_4638
.LBB4_4852:                             ;   in Loop: Header=BB4_4506 Depth=3
	s_or_saveexec_b32 s17, s17
	v_mov_b32_e32 v99, 0x7f800001
	s_xor_b32 exec_lo, exec_lo, s17
	s_cbranch_execz .LBB4_4650
.LBB4_4853:                             ;   in Loop: Header=BB4_4506 Depth=3
	v_cmp_ne_u16_sdwa s23, v13, v2 src0_sel:BYTE_3 src1_sel:DWORD
	v_mov_b32_e32 v99, 0
	s_andn2_b32 s16, s16, exec_lo
	s_and_b32 s23, s23, exec_lo
	s_or_b32 s16, s16, s23
	s_or_b32 exec_lo, exec_lo, s17
	s_and_saveexec_b32 s17, s16
	s_cbranch_execnz .LBB4_4651
	s_branch .LBB4_4652
.LBB4_4854:                             ;   in Loop: Header=BB4_4506 Depth=3
	s_or_saveexec_b32 s17, s17
	v_mov_b32_e32 v13, 0x7f800001
	s_xor_b32 exec_lo, exec_lo, s17
	s_cbranch_execz .LBB4_4656
.LBB4_4855:                             ;   in Loop: Header=BB4_4506 Depth=3
	v_cmp_ne_u16_sdwa s23, v9, v2 src0_sel:BYTE_3 src1_sel:DWORD
	v_mov_b32_e32 v13, 0
	s_andn2_b32 s16, s16, exec_lo
	s_and_b32 s23, s23, exec_lo
	s_or_b32 s16, s16, s23
	s_or_b32 exec_lo, exec_lo, s17
	s_and_saveexec_b32 s17, s16
	s_cbranch_execnz .LBB4_4657
	s_branch .LBB4_4658
.LBB4_4856:                             ;   in Loop: Header=BB4_4506 Depth=3
	s_or_saveexec_b32 s17, s17
	v_mov_b32_e32 v13, 0x7f800001
	s_xor_b32 exec_lo, exec_lo, s17
	s_cbranch_execz .LBB4_4670
.LBB4_4857:                             ;   in Loop: Header=BB4_4506 Depth=3
	v_cmp_ne_u16_sdwa s23, v14, v2 src0_sel:BYTE_0 src1_sel:DWORD
	v_mov_b32_e32 v13, 0
	s_andn2_b32 s16, s16, exec_lo
	s_and_b32 s23, s23, exec_lo
	s_or_b32 s16, s16, s23
	s_or_b32 exec_lo, exec_lo, s17
	s_and_saveexec_b32 s17, s16
	s_cbranch_execnz .LBB4_4671
	s_branch .LBB4_4672
.LBB4_4858:                             ;   in Loop: Header=BB4_4506 Depth=3
	s_or_saveexec_b32 s17, s17
	v_mov_b32_e32 v99, 0x7f800001
	s_xor_b32 exec_lo, exec_lo, s17
	s_cbranch_execz .LBB4_4676
.LBB4_4859:                             ;   in Loop: Header=BB4_4506 Depth=3
	v_cmp_ne_u16_sdwa s23, v10, v2 src0_sel:BYTE_0 src1_sel:DWORD
	v_mov_b32_e32 v99, 0
	s_andn2_b32 s16, s16, exec_lo
	s_and_b32 s23, s23, exec_lo
	s_or_b32 s16, s16, s23
	s_or_b32 exec_lo, exec_lo, s17
	s_and_saveexec_b32 s17, s16
	s_cbranch_execnz .LBB4_4677
	s_branch .LBB4_4678
.LBB4_4860:                             ;   in Loop: Header=BB4_4506 Depth=3
	s_or_saveexec_b32 s17, s17
	v_mov_b32_e32 v99, 0x7f800001
	s_xor_b32 exec_lo, exec_lo, s17
	s_cbranch_execz .LBB4_4690
.LBB4_4861:                             ;   in Loop: Header=BB4_4506 Depth=3
	v_cmp_ne_u16_sdwa s23, v14, v2 src0_sel:BYTE_1 src1_sel:DWORD
	v_mov_b32_e32 v99, 0
	s_andn2_b32 s16, s16, exec_lo
	s_and_b32 s23, s23, exec_lo
	s_or_b32 s16, s16, s23
	s_or_b32 exec_lo, exec_lo, s17
	s_and_saveexec_b32 s17, s16
	s_cbranch_execnz .LBB4_4691
	s_branch .LBB4_4692
.LBB4_4862:                             ;   in Loop: Header=BB4_4506 Depth=3
	s_or_saveexec_b32 s17, s17
	v_mov_b32_e32 v88, 0x7f800001
	s_xor_b32 exec_lo, exec_lo, s17
	s_cbranch_execz .LBB4_4696
.LBB4_4863:                             ;   in Loop: Header=BB4_4506 Depth=3
	v_cmp_ne_u16_sdwa s23, v10, v2 src0_sel:BYTE_1 src1_sel:DWORD
	v_mov_b32_e32 v88, 0
	s_andn2_b32 s16, s16, exec_lo
	s_and_b32 s23, s23, exec_lo
	s_or_b32 s16, s16, s23
	s_or_b32 exec_lo, exec_lo, s17
	s_and_saveexec_b32 s17, s16
	s_cbranch_execnz .LBB4_4697
	s_branch .LBB4_4698
.LBB4_4864:                             ;   in Loop: Header=BB4_4506 Depth=3
	s_or_saveexec_b32 s23, s23
	v_mov_b32_e32 v88, 0x7f800001
	s_xor_b32 exec_lo, exec_lo, s23
	s_cbranch_execz .LBB4_4710
.LBB4_4865:                             ;   in Loop: Header=BB4_4506 Depth=3
	v_cmp_ne_u16_e64 s16, 0, v89
	v_mov_b32_e32 v88, 0
	s_andn2_b32 s17, s17, exec_lo
	s_and_b32 s16, s16, exec_lo
	s_or_b32 s17, s17, s16
	s_or_b32 exec_lo, exec_lo, s23
	s_and_saveexec_b32 s23, s17
	s_cbranch_execnz .LBB4_4711
	s_branch .LBB4_4712
.LBB4_4866:                             ;   in Loop: Header=BB4_4506 Depth=3
	s_or_saveexec_b32 s23, s23
	v_mov_b32_e32 v89, 0x7f800001
	s_xor_b32 exec_lo, exec_lo, s23
	s_cbranch_execz .LBB4_4716
.LBB4_4867:                             ;   in Loop: Header=BB4_4506 Depth=3
	v_cmp_ne_u16_e64 s16, 0, v90
	v_mov_b32_e32 v89, 0
	s_andn2_b32 s17, s17, exec_lo
	s_and_b32 s16, s16, exec_lo
	s_or_b32 s17, s17, s16
	s_or_b32 exec_lo, exec_lo, s23
	s_and_saveexec_b32 s23, s17
	s_cbranch_execnz .LBB4_4717
	s_branch .LBB4_4718
.LBB4_4868:                             ;   in Loop: Header=BB4_4506 Depth=3
	s_or_saveexec_b32 s17, s17
	v_mov_b32_e32 v89, 0x7f800001
	s_xor_b32 exec_lo, exec_lo, s17
	s_cbranch_execz .LBB4_4730
.LBB4_4869:                             ;   in Loop: Header=BB4_4506 Depth=3
	v_cmp_ne_u16_sdwa s23, v14, v2 src0_sel:BYTE_3 src1_sel:DWORD
	v_mov_b32_e32 v89, 0
	s_andn2_b32 s16, s16, exec_lo
	s_and_b32 s23, s23, exec_lo
	s_or_b32 s16, s16, s23
	s_or_b32 exec_lo, exec_lo, s17
	s_and_saveexec_b32 s17, s16
	s_cbranch_execnz .LBB4_4731
	s_branch .LBB4_4732
.LBB4_4870:                             ;   in Loop: Header=BB4_4506 Depth=3
	s_or_saveexec_b32 s17, s17
	v_mov_b32_e32 v14, 0x7f800001
	s_xor_b32 exec_lo, exec_lo, s17
	s_cbranch_execz .LBB4_4736
.LBB4_4871:                             ;   in Loop: Header=BB4_4506 Depth=3
	v_cmp_ne_u16_sdwa s23, v10, v2 src0_sel:BYTE_3 src1_sel:DWORD
	v_mov_b32_e32 v14, 0
	s_andn2_b32 s16, s16, exec_lo
	s_and_b32 s23, s23, exec_lo
	s_or_b32 s16, s16, s23
	s_or_b32 exec_lo, exec_lo, s17
	s_and_saveexec_b32 s17, s16
	s_cbranch_execnz .LBB4_4737
	s_branch .LBB4_4738
.LBB4_4872:                             ;   in Loop: Header=BB4_4506 Depth=3
	s_or_saveexec_b32 s17, s17
	v_mov_b32_e32 v14, 0x7f800001
	s_xor_b32 exec_lo, exec_lo, s17
	s_cbranch_execz .LBB4_4750
.LBB4_4873:                             ;   in Loop: Header=BB4_4506 Depth=3
	v_cmp_ne_u16_sdwa s23, v15, v2 src0_sel:BYTE_0 src1_sel:DWORD
	v_mov_b32_e32 v14, 0
	s_andn2_b32 s16, s16, exec_lo
	s_and_b32 s23, s23, exec_lo
	s_or_b32 s16, s16, s23
	s_or_b32 exec_lo, exec_lo, s17
	s_and_saveexec_b32 s17, s16
	s_cbranch_execnz .LBB4_4751
	s_branch .LBB4_4752
.LBB4_4874:                             ;   in Loop: Header=BB4_4506 Depth=3
	s_or_saveexec_b32 s17, s17
	v_mov_b32_e32 v89, 0x7f800001
	s_xor_b32 exec_lo, exec_lo, s17
	s_cbranch_execz .LBB4_4756
.LBB4_4875:                             ;   in Loop: Header=BB4_4506 Depth=3
	v_cmp_ne_u16_sdwa s23, v11, v2 src0_sel:BYTE_0 src1_sel:DWORD
	v_mov_b32_e32 v89, 0
	s_andn2_b32 s16, s16, exec_lo
	s_and_b32 s23, s23, exec_lo
	s_or_b32 s16, s16, s23
	s_or_b32 exec_lo, exec_lo, s17
	s_and_saveexec_b32 s17, s16
	s_cbranch_execnz .LBB4_4757
	s_branch .LBB4_4758
.LBB4_4876:                             ;   in Loop: Header=BB4_4506 Depth=3
	s_or_saveexec_b32 s17, s17
	v_mov_b32_e32 v89, 0x7f800001
	s_xor_b32 exec_lo, exec_lo, s17
	s_cbranch_execz .LBB4_4770
.LBB4_4877:                             ;   in Loop: Header=BB4_4506 Depth=3
	v_cmp_ne_u16_sdwa s23, v15, v2 src0_sel:BYTE_1 src1_sel:DWORD
	v_mov_b32_e32 v89, 0
	s_andn2_b32 s16, s16, exec_lo
	s_and_b32 s23, s23, exec_lo
	s_or_b32 s16, s16, s23
	s_or_b32 exec_lo, exec_lo, s17
	s_and_saveexec_b32 s17, s16
	s_cbranch_execnz .LBB4_4771
	s_branch .LBB4_4772
.LBB4_4878:                             ;   in Loop: Header=BB4_4506 Depth=3
	s_or_saveexec_b32 s17, s17
	v_mov_b32_e32 v90, 0x7f800001
	s_xor_b32 exec_lo, exec_lo, s17
	s_cbranch_execz .LBB4_4776
.LBB4_4879:                             ;   in Loop: Header=BB4_4506 Depth=3
	v_cmp_ne_u16_sdwa s23, v11, v2 src0_sel:BYTE_1 src1_sel:DWORD
	v_mov_b32_e32 v90, 0
	s_andn2_b32 s16, s16, exec_lo
	s_and_b32 s23, s23, exec_lo
	s_or_b32 s16, s16, s23
	s_or_b32 exec_lo, exec_lo, s17
	s_and_saveexec_b32 s17, s16
	s_cbranch_execnz .LBB4_4777
	s_branch .LBB4_4778
.LBB4_4880:                             ;   in Loop: Header=BB4_4506 Depth=3
	s_or_saveexec_b32 s23, s23
	v_mov_b32_e32 v90, 0x7f800001
	s_xor_b32 exec_lo, exec_lo, s23
	s_cbranch_execz .LBB4_4790
.LBB4_4881:                             ;   in Loop: Header=BB4_4506 Depth=3
	v_cmp_ne_u16_e64 s16, 0, v91
	v_mov_b32_e32 v90, 0
	s_andn2_b32 s17, s17, exec_lo
	s_and_b32 s16, s16, exec_lo
	s_or_b32 s17, s17, s16
	s_or_b32 exec_lo, exec_lo, s23
	s_and_saveexec_b32 s23, s17
	s_cbranch_execnz .LBB4_4791
	s_branch .LBB4_4792
.LBB4_4882:                             ;   in Loop: Header=BB4_4506 Depth=3
	s_or_saveexec_b32 s23, s23
	v_mov_b32_e32 v91, 0x7f800001
	s_xor_b32 exec_lo, exec_lo, s23
	s_cbranch_execz .LBB4_4796
.LBB4_4883:                             ;   in Loop: Header=BB4_4506 Depth=3
	v_cmp_ne_u16_e64 s16, 0, v92
	v_mov_b32_e32 v91, 0
	s_andn2_b32 s17, s17, exec_lo
	s_and_b32 s16, s16, exec_lo
	s_or_b32 s17, s17, s16
	s_or_b32 exec_lo, exec_lo, s23
	s_and_saveexec_b32 s23, s17
	s_cbranch_execnz .LBB4_4797
	s_branch .LBB4_4798
.LBB4_4884:                             ;   in Loop: Header=BB4_4506 Depth=3
	s_or_saveexec_b32 s17, s17
	v_mov_b32_e32 v91, 0x7f800001
	s_xor_b32 exec_lo, exec_lo, s17
	s_cbranch_execz .LBB4_4810
.LBB4_4885:                             ;   in Loop: Header=BB4_4506 Depth=3
	v_cmp_ne_u16_sdwa s23, v15, v2 src0_sel:BYTE_3 src1_sel:DWORD
	v_mov_b32_e32 v91, 0
	s_andn2_b32 s16, s16, exec_lo
	s_and_b32 s23, s23, exec_lo
	s_or_b32 s16, s16, s23
	s_or_b32 exec_lo, exec_lo, s17
	s_and_saveexec_b32 s17, s16
	s_cbranch_execnz .LBB4_4811
	s_branch .LBB4_4812
.LBB4_4886:                             ;   in Loop: Header=BB4_4506 Depth=3
	s_or_saveexec_b32 s17, s17
	v_mov_b32_e32 v15, 0x7f800001
	s_xor_b32 exec_lo, exec_lo, s17
	s_cbranch_execz .LBB4_4816
.LBB4_4887:                             ;   in Loop: Header=BB4_4506 Depth=3
	v_cmp_ne_u16_sdwa s23, v11, v2 src0_sel:BYTE_3 src1_sel:DWORD
	v_mov_b32_e32 v15, 0
	s_andn2_b32 s16, s16, exec_lo
	s_and_b32 s23, s23, exec_lo
	s_or_b32 s16, s16, s23
	s_or_b32 exec_lo, exec_lo, s17
	s_and_saveexec_b32 s17, s16
	s_cbranch_execnz .LBB4_4817
	s_branch .LBB4_4818
.LBB4_4888:                             ;   in Loop: Header=BB4_2055 Depth=2
	s_or_b32 exec_lo, exec_lo, s22
.LBB4_4889:                             ;   in Loop: Header=BB4_2055 Depth=2
	s_or_b32 exec_lo, exec_lo, s19
	v_and_b32_e32 v9, 15, v79
	v_mov_b32_e32 v14, 0
	s_mov_b32 s17, 0
	s_mov_b32 s19, exec_lo
                                        ; implicit-def: $vgpr16
                                        ; implicit-def: $vgpr8
	v_cndmask_b32_e32 v15, v83, v9, vcc_lo
	v_cmpx_ne_u32_e32 0, v15
	s_cbranch_execz .LBB4_4891
; %bb.4890:                             ;   in Loop: Header=BB4_2055 Depth=2
	v_cmp_lt_i32_e64 s16, 0, v84
	v_sub_nc_u32_e32 v9, v83, v9
	s_mov_b32 s17, exec_lo
	v_cndmask_b32_e64 v8, 0, v103, s16
	v_cndmask_b32_e32 v9, 0, v9, vcc_lo
	v_sub_nc_u32_e32 v8, v8, v84
	v_add3_u32 v14, v23, v22, v9
	v_lshl_add_u32 v16, v8, 5, v82
	v_ashrrev_i32_e32 v8, 31, v16
	v_lshrrev_b32_e32 v8, 27, v8
	v_add_nc_u32_e32 v8, v16, v8
	v_ashrrev_i32_e32 v8, 5, v8
.LBB4_4891:                             ;   in Loop: Header=BB4_2055 Depth=2
	s_or_b32 exec_lo, exec_lo, s19
	s_and_b32 s16, s17, exec_lo
.LBB4_4892:                             ;   in Loop: Header=BB4_2055 Depth=2
	s_or_b32 exec_lo, exec_lo, s18
	s_and_saveexec_b32 s17, s16
	s_cbranch_execz .LBB4_5309
.LBB4_4893:                             ;   in Loop: Header=BB4_2055 Depth=2
	v_ashrrev_i32_e32 v9, 31, v15
	s_mov_b32 s18, exec_lo
	v_lshrrev_b32_e32 v9, 23, v9
	v_add_nc_u32_e32 v9, v15, v9
	v_ashrrev_i32_e32 v18, 9, v9
	v_sub_nc_u32_e32 v17, v18, v8
	v_cmpx_lt_i32_e32 0, v17
	s_cbranch_execz .LBB4_5281
; %bb.4894:                             ;   in Loop: Header=BB4_2055 Depth=2
	v_ashrrev_i32_e32 v9, 31, v16
	s_trap 2
	ds_read_b64 v[10:11], v0
	v_lshlrev_b32_e32 v8, 9, v8
	v_add_co_u32 v19, vcc_lo, 0x1e0, v80
	v_lshrrev_b32_e32 v9, 27, v9
	v_add_co_ci_u32_e64 v20, null, 0, v81, vcc_lo
	s_mov_b32 s19, 0
	v_add_nc_u32_e32 v9, v16, v9
	v_and_b32_e32 v9, 0xffffffe0, v9
	v_sub_nc_u32_e32 v9, v16, v9
	v_add3_u32 v12, v14, v9, v8
	v_ashrrev_i32_e32 v13, 31, v12
	v_add_co_u32 v8, vcc_lo, v12, v69
	v_add_co_ci_u32_e64 v9, null, v13, v70, vcc_lo
	s_waitcnt lgkmcnt(0)
	v_add_co_u32 v10, vcc_lo, v10, v12
	v_add_co_ci_u32_e64 v11, null, v11, v13, vcc_lo
	v_add_co_u32 v12, vcc_lo, v19, v12
	v_add_co_ci_u32_e64 v13, null, v20, v13, vcc_lo
	s_branch .LBB4_4898
.LBB4_4895:                             ;   in Loop: Header=BB4_4898 Depth=3
	s_or_b32 exec_lo, exec_lo, s16
	v_lshrrev_b32_e32 v23, 21, v23
	v_cmp_gt_i32_e32 vcc_lo, 32, v19
	v_min_i32_e32 v80, 31, v19
	v_and_b32_sdwa v20, v20, v116 dst_sel:DWORD dst_unused:UNUSED_PAD src0_sel:BYTE_3 src1_sel:DWORD
	v_cndmask_b32_e32 v23, 3, v23, vcc_lo
	v_lshlrev_b32_e32 v80, 2, v80
	v_and_b32_e32 v83, 3, v23
	v_or_b32_e32 v19, v19, v23
	v_or3_b32 v20, v80, v20, v83
	v_cmp_ne_u32_e32 vcc_lo, 0, v19
	v_cndmask_b32_e32 v19, 0, v20, vcc_lo
.LBB4_4896:                             ;   in Loop: Header=BB4_4898 Depth=3
	s_or_b32 exec_lo, exec_lo, s23
.LBB4_4897:                             ;   in Loop: Header=BB4_4898 Depth=3
	s_or_b32 exec_lo, exec_lo, s22
	v_add_co_u32 v93, vcc_lo, 0xfffffe20, v12
	v_add_co_ci_u32_e64 v94, null, -1, v13, vcc_lo
	v_add_co_u32 v104, vcc_lo, 0xfffffe40, v12
	v_add_co_ci_u32_e64 v105, null, -1, v13, vcc_lo
	;; [unrolled: 2-line block ×5, first 2 shown]
	v_add_co_u32 v20, vcc_lo, 0xfffffec0, v12
	flat_store_byte v[93:94], v21 glc slc
	flat_store_byte v[104:105], v69 glc slc
	;; [unrolled: 1-line block ×5, first 2 shown]
	v_add_co_ci_u32_e64 v21, null, -1, v13, vcc_lo
	v_add_co_u32 v80, vcc_lo, 0xfffffee0, v12
	v_add_co_ci_u32_e64 v81, null, -1, v13, vcc_lo
	v_add_co_u32 v83, vcc_lo, 0xffffff00, v12
	;; [unrolled: 2-line block ×4, first 2 shown]
	v_add_co_ci_u32_e64 v94, null, -1, v13, vcc_lo
	flat_store_byte v[20:21], v98 glc slc
	flat_store_byte v[80:81], v89 glc slc
	;; [unrolled: 1-line block ×5, first 2 shown]
	v_add_co_u32 v20, vcc_lo, 0xffffff60, v12
	v_add_co_ci_u32_e64 v21, null, -1, v13, vcc_lo
	v_add_co_u32 v80, vcc_lo, 0xffffff80, v12
	v_add_co_ci_u32_e64 v81, null, -1, v13, vcc_lo
	;; [unrolled: 2-line block ×4, first 2 shown]
	v_add_co_u32 v97, vcc_lo, 0xffffffe0, v12
	v_sub_nc_u32_e32 v17, v17, v103
	v_add_co_ci_u32_e64 v98, null, -1, v13, vcc_lo
	v_add_co_u32 v8, vcc_lo, v8, v43
	v_add_co_ci_u32_e64 v9, null, 0, v9, vcc_lo
	v_add_co_u32 v10, vcc_lo, v10, v43
	flat_store_byte v[20:21], v96 glc slc
	flat_store_byte v[80:81], v85 glc slc
	;; [unrolled: 1-line block ×6, first 2 shown]
	v_add_co_ci_u32_e64 v11, null, 0, v11, vcc_lo
	v_cmp_gt_i32_e32 vcc_lo, 1, v17
	v_add_co_u32 v12, s16, v12, v43
	v_add_co_ci_u32_e64 v13, null, 0, v13, s16
	s_or_b32 s19, vcc_lo, s19
	s_andn2_b32 exec_lo, exec_lo, s19
	s_cbranch_execz .LBB4_5280
.LBB4_4898:                             ;   Parent Loop BB4_47 Depth=1
                                        ;     Parent Loop BB4_2055 Depth=2
                                        ; =>    This Inner Loop Header: Depth=3
	s_clause 0xf
	flat_load_ubyte v109, v[8:9] slc
	flat_load_ubyte v107, v[8:9] offset:32 slc
	flat_load_ubyte v106, v[8:9] offset:64 slc
	flat_load_ubyte v105, v[8:9] offset:96 slc
	flat_load_ubyte v104, v[8:9] offset:128 slc
	flat_load_ubyte v95, v[8:9] offset:160 slc
	flat_load_ubyte v94, v[8:9] offset:192 slc
	flat_load_ubyte v93, v[8:9] offset:224 slc
	flat_load_ubyte v91, v[8:9] offset:256 slc
	flat_load_ubyte v88, v[8:9] offset:288 slc
	flat_load_ubyte v97, v[8:9] offset:320 slc
	flat_load_ubyte v86, v[8:9] offset:352 slc
	flat_load_ubyte v83, v[8:9] offset:384 slc
	flat_load_ubyte v80, v[8:9] offset:416 slc
	flat_load_ubyte v23, v[8:9] offset:448 slc
	flat_load_ubyte v20, v[8:9] offset:480 slc
	s_clause 0xf
	flat_load_ubyte v21, v[10:11] slc
	flat_load_ubyte v69, v[10:11] offset:32 slc
	flat_load_ubyte v81, v[10:11] offset:64 slc
	;; [unrolled: 1-line block ×15, first 2 shown]
	s_mov_b32 s16, 0
	s_mov_b32 s22, exec_lo
	s_waitcnt vmcnt(31) lgkmcnt(31)
	v_cmpx_lt_i16_e32 0x7f, v109
	s_xor_b32 s22, exec_lo, s22
	s_cbranch_execz .LBB4_5216
; %bb.4899:                             ;   in Loop: Header=BB4_4898 Depth=3
	s_mov_b32 s16, -1
	s_mov_b32 s23, exec_lo
	v_cmpx_eq_u16_e32 0x80, v109
; %bb.4900:                             ;   in Loop: Header=BB4_4898 Depth=3
	s_xor_b32 s16, exec_lo, -1
; %bb.4901:                             ;   in Loop: Header=BB4_4898 Depth=3
	s_or_b32 exec_lo, exec_lo, s23
	s_and_b32 s16, s16, exec_lo
	s_or_saveexec_b32 s22, s22
	v_mov_b32_e32 v108, 0x7f800001
	s_xor_b32 exec_lo, exec_lo, s22
	s_cbranch_execnz .LBB4_5217
.LBB4_4902:                             ;   in Loop: Header=BB4_4898 Depth=3
	s_or_b32 exec_lo, exec_lo, s22
	s_and_saveexec_b32 s22, s16
	s_cbranch_execz .LBB4_4904
.LBB4_4903:                             ;   in Loop: Header=BB4_4898 Depth=3
	v_and_b32_e32 v108, 0xffff, v109
	v_lshlrev_b32_e32 v109, 24, v109
	v_and_b32_e32 v110, 3, v108
	v_bfe_u32 v121, v108, 2, 5
	v_and_b32_e32 v109, 0x80000000, v109
	v_ffbh_u32_e32 v111, v110
	v_cmp_eq_u32_e32 vcc_lo, 0, v121
	v_min_u32_e32 v111, 32, v111
	v_subrev_nc_u32_e32 v120, 29, v111
	v_sub_nc_u32_e32 v111, 30, v111
	v_lshlrev_b32_e32 v108, v120, v108
	v_cndmask_b32_e32 v111, v121, v111, vcc_lo
	v_and_b32_e32 v108, 3, v108
	v_cndmask_b32_e32 v108, v110, v108, vcc_lo
	v_lshl_add_u32 v110, v111, 23, 0x37800000
	v_lshlrev_b32_e32 v108, 21, v108
	v_or3_b32 v108, v109, v110, v108
.LBB4_4904:                             ;   in Loop: Header=BB4_4898 Depth=3
	s_or_b32 exec_lo, exec_lo, s22
	s_waitcnt vmcnt(15) lgkmcnt(15)
	v_cmp_gt_i16_sdwa s22, v21, v115 src0_sel:BYTE_0 src1_sel:DWORD
	s_mov_b32 s16, 0
	s_and_saveexec_b32 s23, s22
	s_xor_b32 s22, exec_lo, s23
	s_cbranch_execz .LBB4_5218
; %bb.4905:                             ;   in Loop: Header=BB4_4898 Depth=3
	v_cmp_eq_u16_sdwa s72, v21, v116 src0_sel:BYTE_0 src1_sel:DWORD
	s_mov_b32 s16, -1
	s_and_saveexec_b32 s23, s72
; %bb.4906:                             ;   in Loop: Header=BB4_4898 Depth=3
	s_xor_b32 s16, exec_lo, -1
; %bb.4907:                             ;   in Loop: Header=BB4_4898 Depth=3
	s_or_b32 exec_lo, exec_lo, s23
	s_and_b32 s16, s16, exec_lo
	s_or_saveexec_b32 s22, s22
	v_mov_b32_e32 v109, 0x7f800001
	s_xor_b32 exec_lo, exec_lo, s22
	s_cbranch_execnz .LBB4_5219
.LBB4_4908:                             ;   in Loop: Header=BB4_4898 Depth=3
	s_or_b32 exec_lo, exec_lo, s22
	s_and_saveexec_b32 s22, s16
	s_cbranch_execz .LBB4_4910
.LBB4_4909:                             ;   in Loop: Header=BB4_4898 Depth=3
	v_and_b32_e32 v109, 3, v21
	v_lshrrev_b16 v111, 2, v21
	v_ffbh_u32_e32 v110, v109
	v_and_b32_e32 v111, 31, v111
	v_min_u32_e32 v110, 32, v110
	v_cmp_eq_u32_e32 vcc_lo, 0, v111
	v_subrev_nc_u32_e32 v120, 29, v110
	v_sub_nc_u32_e32 v110, 30, v110
	v_lshlrev_b32_e32 v120, v120, v21
	v_lshlrev_b32_e32 v21, 24, v21
	v_cndmask_b32_e32 v110, v111, v110, vcc_lo
	v_and_b32_e32 v120, 3, v120
	v_and_b32_e32 v21, 0x80000000, v21
	v_lshl_add_u32 v110, v110, 23, 0x37800000
	v_cndmask_b32_e32 v109, v109, v120, vcc_lo
	v_lshlrev_b32_e32 v109, 21, v109
	v_or3_b32 v109, v21, v110, v109
.LBB4_4910:                             ;   in Loop: Header=BB4_4898 Depth=3
	s_or_b32 exec_lo, exec_lo, s22
	v_mul_f32_e32 v108, v108, v109
	v_and_b32_e32 v21, 0x7f800000, v108
	v_cmp_ne_u32_e32 vcc_lo, 0x7f800000, v21
	v_mov_b32_e32 v21, 0x80
	s_and_saveexec_b32 s22, vcc_lo
	s_cbranch_execz .LBB4_4918
; %bb.4911:                             ;   in Loop: Header=BB4_4898 Depth=3
	v_mov_b32_e32 v21, 0
	s_mov_b32 s23, exec_lo
	v_cmpx_ne_u32_e32 0, v108
	s_cbranch_execz .LBB4_4917
; %bb.4912:                             ;   in Loop: Header=BB4_4898 Depth=3
	v_bfe_u32 v21, v108, 23, 8
	v_and_b32_e32 v109, 0x7fffff, v108
	v_sub_nc_u32_e32 v110, 0x70, v21
	v_cmp_gt_u32_e32 vcc_lo, 0x71, v21
	v_or_b32_e32 v111, 0x800000, v109
	v_cndmask_b32_e32 v110, 0, v110, vcc_lo
	v_cmp_eq_u32_e32 vcc_lo, 0, v21
	v_add_nc_u32_e32 v21, 0xffffff91, v21
	v_cndmask_b32_e64 v110, v110, 0x6f, vcc_lo
	v_cndmask_b32_e32 v109, v111, v109, vcc_lo
	v_cndmask_b32_e64 v21, v21, 0xffffff92, vcc_lo
	v_lshl_add_u32 v111, 0x200000, v110, -1
	v_lshrrev_b32_e32 v120, v110, v109
	v_lshlrev_b32_e64 v122, v110, 0x100000
	v_add_nc_u32_e32 v110, v110, v21
	v_and_b32_e32 v109, v111, v109
	v_bfe_u32 v121, v120, 21, 1
	v_cmp_eq_u32_e64 s16, v109, v122
	v_add_nc_u32_e32 v111, -1, v121
	v_cndmask_b32_e64 v109, 0, v111, s16
	v_lshrrev_b32_e32 v111, 23, v120
	s_mov_b32 s16, exec_lo
	v_add_nc_u32_e32 v109, v109, v120
	v_xor_b32_e32 v111, 1, v111
	v_and_b32_e32 v21, 0x1fffff, v109
	v_add_nc_u32_e32 v109, v21, v120
                                        ; implicit-def: $vgpr21
	v_cmpx_ne_u32_e64 v110, v111
	s_xor_b32 s16, exec_lo, s16
; %bb.4913:                             ;   in Loop: Header=BB4_4898 Depth=3
	v_cmp_lt_u32_e32 vcc_lo, 0xffffff, v109
	v_sub_nc_u32_e32 v21, v110, v111
	v_cndmask_b32_e64 v110, 0, 1, vcc_lo
	v_add_co_ci_u32_e64 v21, null, 0, v21, vcc_lo
	v_lshrrev_b32_e32 v109, v110, v109
; %bb.4914:                             ;   in Loop: Header=BB4_4898 Depth=3
	s_andn2_saveexec_b32 s16, s16
; %bb.4915:                             ;   in Loop: Header=BB4_4898 Depth=3
	v_bfe_u32 v21, v109, 23, 1
; %bb.4916:                             ;   in Loop: Header=BB4_4898 Depth=3
	s_or_b32 exec_lo, exec_lo, s16
	v_lshrrev_b32_e32 v109, 21, v109
	v_cmp_gt_i32_e32 vcc_lo, 32, v21
	v_min_i32_e32 v110, 31, v21
	v_and_b32_sdwa v108, v108, v116 dst_sel:DWORD dst_unused:UNUSED_PAD src0_sel:BYTE_3 src1_sel:DWORD
	v_cndmask_b32_e32 v109, 3, v109, vcc_lo
	v_lshlrev_b32_e32 v110, 2, v110
	v_and_b32_e32 v111, 3, v109
	v_or_b32_e32 v21, v21, v109
	v_or3_b32 v108, v110, v108, v111
	v_cmp_ne_u32_e32 vcc_lo, 0, v21
	v_cndmask_b32_e32 v21, 0, v108, vcc_lo
.LBB4_4917:                             ;   in Loop: Header=BB4_4898 Depth=3
	s_or_b32 exec_lo, exec_lo, s23
.LBB4_4918:                             ;   in Loop: Header=BB4_4898 Depth=3
	s_or_b32 exec_lo, exec_lo, s22
	v_cmp_gt_i16_sdwa s22, v107, v115 src0_sel:BYTE_0 src1_sel:DWORD
	s_mov_b32 s16, 0
	s_and_saveexec_b32 s23, s22
	s_xor_b32 s22, exec_lo, s23
	s_cbranch_execz .LBB4_5220
; %bb.4919:                             ;   in Loop: Header=BB4_4898 Depth=3
	v_cmp_eq_u16_sdwa s72, v107, v116 src0_sel:BYTE_0 src1_sel:DWORD
	s_mov_b32 s16, -1
	s_and_saveexec_b32 s23, s72
; %bb.4920:                             ;   in Loop: Header=BB4_4898 Depth=3
	s_xor_b32 s16, exec_lo, -1
; %bb.4921:                             ;   in Loop: Header=BB4_4898 Depth=3
	s_or_b32 exec_lo, exec_lo, s23
	s_and_b32 s16, s16, exec_lo
	s_or_saveexec_b32 s22, s22
	v_mov_b32_e32 v108, 0x7f800001
	s_xor_b32 exec_lo, exec_lo, s22
	s_cbranch_execnz .LBB4_5221
.LBB4_4922:                             ;   in Loop: Header=BB4_4898 Depth=3
	s_or_b32 exec_lo, exec_lo, s22
	s_and_saveexec_b32 s22, s16
	s_cbranch_execz .LBB4_4924
.LBB4_4923:                             ;   in Loop: Header=BB4_4898 Depth=3
	v_and_b32_e32 v108, 3, v107
	v_lshrrev_b16 v110, 2, v107
	v_ffbh_u32_e32 v109, v108
	v_and_b32_e32 v110, 31, v110
	v_min_u32_e32 v109, 32, v109
	v_cmp_eq_u32_e32 vcc_lo, 0, v110
	v_subrev_nc_u32_e32 v111, 29, v109
	v_sub_nc_u32_e32 v109, 30, v109
	v_lshlrev_b32_e32 v111, v111, v107
	v_lshlrev_b32_e32 v107, 24, v107
	v_cndmask_b32_e32 v109, v110, v109, vcc_lo
	v_and_b32_e32 v111, 3, v111
	v_and_b32_e32 v107, 0x80000000, v107
	v_lshl_add_u32 v109, v109, 23, 0x37800000
	v_cndmask_b32_e32 v108, v108, v111, vcc_lo
	v_lshlrev_b32_e32 v108, 21, v108
	v_or3_b32 v108, v107, v109, v108
.LBB4_4924:                             ;   in Loop: Header=BB4_4898 Depth=3
	s_or_b32 exec_lo, exec_lo, s22
	s_waitcnt vmcnt(14) lgkmcnt(14)
	v_cmp_gt_i16_sdwa s22, v69, v115 src0_sel:BYTE_0 src1_sel:DWORD
	s_mov_b32 s16, 0
	s_and_saveexec_b32 s23, s22
	s_xor_b32 s22, exec_lo, s23
	s_cbranch_execz .LBB4_5222
; %bb.4925:                             ;   in Loop: Header=BB4_4898 Depth=3
	v_cmp_eq_u16_sdwa s72, v69, v116 src0_sel:BYTE_0 src1_sel:DWORD
	s_mov_b32 s16, -1
	s_and_saveexec_b32 s23, s72
; %bb.4926:                             ;   in Loop: Header=BB4_4898 Depth=3
	s_xor_b32 s16, exec_lo, -1
; %bb.4927:                             ;   in Loop: Header=BB4_4898 Depth=3
	s_or_b32 exec_lo, exec_lo, s23
	s_and_b32 s16, s16, exec_lo
	s_or_saveexec_b32 s22, s22
	v_mov_b32_e32 v107, 0x7f800001
	s_xor_b32 exec_lo, exec_lo, s22
	s_cbranch_execnz .LBB4_5223
.LBB4_4928:                             ;   in Loop: Header=BB4_4898 Depth=3
	s_or_b32 exec_lo, exec_lo, s22
	s_and_saveexec_b32 s22, s16
	s_cbranch_execz .LBB4_4930
.LBB4_4929:                             ;   in Loop: Header=BB4_4898 Depth=3
	v_and_b32_e32 v107, 3, v69
	v_lshrrev_b16 v110, 2, v69
	v_ffbh_u32_e32 v109, v107
	v_and_b32_e32 v110, 31, v110
	v_min_u32_e32 v109, 32, v109
	v_cmp_eq_u32_e32 vcc_lo, 0, v110
	v_subrev_nc_u32_e32 v111, 29, v109
	v_sub_nc_u32_e32 v109, 30, v109
	v_lshlrev_b32_e32 v111, v111, v69
	v_lshlrev_b32_e32 v69, 24, v69
	v_cndmask_b32_e32 v109, v110, v109, vcc_lo
	v_and_b32_e32 v111, 3, v111
	v_and_b32_e32 v69, 0x80000000, v69
	v_lshl_add_u32 v109, v109, 23, 0x37800000
	v_cndmask_b32_e32 v107, v107, v111, vcc_lo
	v_lshlrev_b32_e32 v107, 21, v107
	v_or3_b32 v107, v69, v109, v107
.LBB4_4930:                             ;   in Loop: Header=BB4_4898 Depth=3
	s_or_b32 exec_lo, exec_lo, s22
	v_mul_f32_e32 v107, v108, v107
	v_and_b32_e32 v69, 0x7f800000, v107
	v_cmp_ne_u32_e32 vcc_lo, 0x7f800000, v69
	v_mov_b32_e32 v69, 0x80
	s_and_saveexec_b32 s22, vcc_lo
	s_cbranch_execz .LBB4_4938
; %bb.4931:                             ;   in Loop: Header=BB4_4898 Depth=3
	v_mov_b32_e32 v69, 0
	s_mov_b32 s23, exec_lo
	v_cmpx_ne_u32_e32 0, v107
	s_cbranch_execz .LBB4_4937
; %bb.4932:                             ;   in Loop: Header=BB4_4898 Depth=3
	v_bfe_u32 v69, v107, 23, 8
	v_and_b32_e32 v108, 0x7fffff, v107
	v_sub_nc_u32_e32 v109, 0x70, v69
	v_cmp_gt_u32_e32 vcc_lo, 0x71, v69
	v_or_b32_e32 v110, 0x800000, v108
	v_cndmask_b32_e32 v109, 0, v109, vcc_lo
	v_cmp_eq_u32_e32 vcc_lo, 0, v69
	v_add_nc_u32_e32 v69, 0xffffff91, v69
	v_cndmask_b32_e64 v109, v109, 0x6f, vcc_lo
	v_cndmask_b32_e32 v108, v110, v108, vcc_lo
	v_cndmask_b32_e64 v69, v69, 0xffffff92, vcc_lo
	v_lshl_add_u32 v110, 0x200000, v109, -1
	v_lshrrev_b32_e32 v111, v109, v108
	v_lshlrev_b32_e64 v121, v109, 0x100000
	v_add_nc_u32_e32 v109, v109, v69
	v_and_b32_e32 v108, v110, v108
	v_bfe_u32 v120, v111, 21, 1
	v_cmp_eq_u32_e64 s16, v108, v121
	v_add_nc_u32_e32 v110, -1, v120
	v_cndmask_b32_e64 v108, 0, v110, s16
	v_lshrrev_b32_e32 v110, 23, v111
	s_mov_b32 s16, exec_lo
	v_add_nc_u32_e32 v108, v108, v111
	v_xor_b32_e32 v110, 1, v110
	v_and_b32_e32 v69, 0x1fffff, v108
	v_add_nc_u32_e32 v108, v69, v111
                                        ; implicit-def: $vgpr69
	v_cmpx_ne_u32_e64 v109, v110
	s_xor_b32 s16, exec_lo, s16
; %bb.4933:                             ;   in Loop: Header=BB4_4898 Depth=3
	v_cmp_lt_u32_e32 vcc_lo, 0xffffff, v108
	v_sub_nc_u32_e32 v69, v109, v110
	v_cndmask_b32_e64 v109, 0, 1, vcc_lo
	v_add_co_ci_u32_e64 v69, null, 0, v69, vcc_lo
	v_lshrrev_b32_e32 v108, v109, v108
; %bb.4934:                             ;   in Loop: Header=BB4_4898 Depth=3
	s_andn2_saveexec_b32 s16, s16
; %bb.4935:                             ;   in Loop: Header=BB4_4898 Depth=3
	v_bfe_u32 v69, v108, 23, 1
; %bb.4936:                             ;   in Loop: Header=BB4_4898 Depth=3
	s_or_b32 exec_lo, exec_lo, s16
	v_lshrrev_b32_e32 v108, 21, v108
	v_cmp_gt_i32_e32 vcc_lo, 32, v69
	v_min_i32_e32 v109, 31, v69
	v_and_b32_sdwa v107, v107, v116 dst_sel:DWORD dst_unused:UNUSED_PAD src0_sel:BYTE_3 src1_sel:DWORD
	v_cndmask_b32_e32 v108, 3, v108, vcc_lo
	v_lshlrev_b32_e32 v109, 2, v109
	v_and_b32_e32 v110, 3, v108
	v_or_b32_e32 v69, v69, v108
	v_or3_b32 v107, v109, v107, v110
	v_cmp_ne_u32_e32 vcc_lo, 0, v69
	v_cndmask_b32_e32 v69, 0, v107, vcc_lo
.LBB4_4937:                             ;   in Loop: Header=BB4_4898 Depth=3
	s_or_b32 exec_lo, exec_lo, s23
.LBB4_4938:                             ;   in Loop: Header=BB4_4898 Depth=3
	s_or_b32 exec_lo, exec_lo, s22
	v_cmp_gt_i16_sdwa s22, v106, v115 src0_sel:BYTE_0 src1_sel:DWORD
	s_mov_b32 s16, 0
	s_and_saveexec_b32 s23, s22
	s_xor_b32 s22, exec_lo, s23
	s_cbranch_execz .LBB4_5224
; %bb.4939:                             ;   in Loop: Header=BB4_4898 Depth=3
	v_cmp_eq_u16_sdwa s72, v106, v116 src0_sel:BYTE_0 src1_sel:DWORD
	s_mov_b32 s16, -1
	s_and_saveexec_b32 s23, s72
; %bb.4940:                             ;   in Loop: Header=BB4_4898 Depth=3
	s_xor_b32 s16, exec_lo, -1
; %bb.4941:                             ;   in Loop: Header=BB4_4898 Depth=3
	s_or_b32 exec_lo, exec_lo, s23
	s_and_b32 s16, s16, exec_lo
	s_or_saveexec_b32 s22, s22
	v_mov_b32_e32 v107, 0x7f800001
	s_xor_b32 exec_lo, exec_lo, s22
	s_cbranch_execnz .LBB4_5225
.LBB4_4942:                             ;   in Loop: Header=BB4_4898 Depth=3
	s_or_b32 exec_lo, exec_lo, s22
	s_and_saveexec_b32 s22, s16
	s_cbranch_execz .LBB4_4944
.LBB4_4943:                             ;   in Loop: Header=BB4_4898 Depth=3
	v_and_b32_e32 v107, 3, v106
	v_lshrrev_b16 v109, 2, v106
	v_ffbh_u32_e32 v108, v107
	v_and_b32_e32 v109, 31, v109
	v_min_u32_e32 v108, 32, v108
	v_cmp_eq_u32_e32 vcc_lo, 0, v109
	v_subrev_nc_u32_e32 v110, 29, v108
	v_sub_nc_u32_e32 v108, 30, v108
	v_lshlrev_b32_e32 v110, v110, v106
	v_lshlrev_b32_e32 v106, 24, v106
	v_cndmask_b32_e32 v108, v109, v108, vcc_lo
	v_and_b32_e32 v110, 3, v110
	v_and_b32_e32 v106, 0x80000000, v106
	v_lshl_add_u32 v108, v108, 23, 0x37800000
	v_cndmask_b32_e32 v107, v107, v110, vcc_lo
	v_lshlrev_b32_e32 v107, 21, v107
	v_or3_b32 v107, v106, v108, v107
.LBB4_4944:                             ;   in Loop: Header=BB4_4898 Depth=3
	s_or_b32 exec_lo, exec_lo, s22
	s_waitcnt vmcnt(13) lgkmcnt(13)
	v_cmp_gt_i16_sdwa s22, v81, v115 src0_sel:BYTE_0 src1_sel:DWORD
	s_mov_b32 s16, 0
	s_and_saveexec_b32 s23, s22
	s_xor_b32 s22, exec_lo, s23
	s_cbranch_execz .LBB4_5226
; %bb.4945:                             ;   in Loop: Header=BB4_4898 Depth=3
	v_cmp_eq_u16_sdwa s72, v81, v116 src0_sel:BYTE_0 src1_sel:DWORD
	s_mov_b32 s16, -1
	s_and_saveexec_b32 s23, s72
; %bb.4946:                             ;   in Loop: Header=BB4_4898 Depth=3
	s_xor_b32 s16, exec_lo, -1
; %bb.4947:                             ;   in Loop: Header=BB4_4898 Depth=3
	s_or_b32 exec_lo, exec_lo, s23
	s_and_b32 s16, s16, exec_lo
	s_or_saveexec_b32 s22, s22
	v_mov_b32_e32 v106, 0x7f800001
	s_xor_b32 exec_lo, exec_lo, s22
	s_cbranch_execnz .LBB4_5227
.LBB4_4948:                             ;   in Loop: Header=BB4_4898 Depth=3
	s_or_b32 exec_lo, exec_lo, s22
	s_and_saveexec_b32 s22, s16
	s_cbranch_execz .LBB4_4950
.LBB4_4949:                             ;   in Loop: Header=BB4_4898 Depth=3
	v_and_b32_e32 v106, 3, v81
	v_lshrrev_b16 v109, 2, v81
	v_ffbh_u32_e32 v108, v106
	v_and_b32_e32 v109, 31, v109
	v_min_u32_e32 v108, 32, v108
	v_cmp_eq_u32_e32 vcc_lo, 0, v109
	v_subrev_nc_u32_e32 v110, 29, v108
	v_sub_nc_u32_e32 v108, 30, v108
	v_lshlrev_b32_e32 v110, v110, v81
	v_lshlrev_b32_e32 v81, 24, v81
	v_cndmask_b32_e32 v108, v109, v108, vcc_lo
	v_and_b32_e32 v110, 3, v110
	v_and_b32_e32 v81, 0x80000000, v81
	v_lshl_add_u32 v108, v108, 23, 0x37800000
	v_cndmask_b32_e32 v106, v106, v110, vcc_lo
	v_lshlrev_b32_e32 v106, 21, v106
	v_or3_b32 v106, v81, v108, v106
.LBB4_4950:                             ;   in Loop: Header=BB4_4898 Depth=3
	s_or_b32 exec_lo, exec_lo, s22
	v_mul_f32_e32 v106, v107, v106
	v_and_b32_e32 v81, 0x7f800000, v106
	v_cmp_ne_u32_e32 vcc_lo, 0x7f800000, v81
	v_mov_b32_e32 v81, 0x80
	s_and_saveexec_b32 s22, vcc_lo
	s_cbranch_execz .LBB4_4958
; %bb.4951:                             ;   in Loop: Header=BB4_4898 Depth=3
	v_mov_b32_e32 v81, 0
	s_mov_b32 s23, exec_lo
	v_cmpx_ne_u32_e32 0, v106
	s_cbranch_execz .LBB4_4957
; %bb.4952:                             ;   in Loop: Header=BB4_4898 Depth=3
	v_bfe_u32 v81, v106, 23, 8
	v_and_b32_e32 v107, 0x7fffff, v106
	v_sub_nc_u32_e32 v108, 0x70, v81
	v_cmp_gt_u32_e32 vcc_lo, 0x71, v81
	v_or_b32_e32 v109, 0x800000, v107
	v_cndmask_b32_e32 v108, 0, v108, vcc_lo
	v_cmp_eq_u32_e32 vcc_lo, 0, v81
	v_add_nc_u32_e32 v81, 0xffffff91, v81
	v_cndmask_b32_e64 v108, v108, 0x6f, vcc_lo
	v_cndmask_b32_e32 v107, v109, v107, vcc_lo
	v_cndmask_b32_e64 v81, v81, 0xffffff92, vcc_lo
	v_lshl_add_u32 v109, 0x200000, v108, -1
	v_lshrrev_b32_e32 v110, v108, v107
	v_lshlrev_b32_e64 v120, v108, 0x100000
	v_add_nc_u32_e32 v108, v108, v81
	v_and_b32_e32 v107, v109, v107
	v_bfe_u32 v111, v110, 21, 1
	v_cmp_eq_u32_e64 s16, v107, v120
	v_add_nc_u32_e32 v109, -1, v111
	v_cndmask_b32_e64 v107, 0, v109, s16
	v_lshrrev_b32_e32 v109, 23, v110
	s_mov_b32 s16, exec_lo
	v_add_nc_u32_e32 v107, v107, v110
	v_xor_b32_e32 v109, 1, v109
	v_and_b32_e32 v81, 0x1fffff, v107
	v_add_nc_u32_e32 v107, v81, v110
                                        ; implicit-def: $vgpr81
	v_cmpx_ne_u32_e64 v108, v109
	s_xor_b32 s16, exec_lo, s16
; %bb.4953:                             ;   in Loop: Header=BB4_4898 Depth=3
	v_cmp_lt_u32_e32 vcc_lo, 0xffffff, v107
	v_sub_nc_u32_e32 v81, v108, v109
	v_cndmask_b32_e64 v108, 0, 1, vcc_lo
	v_add_co_ci_u32_e64 v81, null, 0, v81, vcc_lo
	v_lshrrev_b32_e32 v107, v108, v107
; %bb.4954:                             ;   in Loop: Header=BB4_4898 Depth=3
	s_andn2_saveexec_b32 s16, s16
; %bb.4955:                             ;   in Loop: Header=BB4_4898 Depth=3
	v_bfe_u32 v81, v107, 23, 1
; %bb.4956:                             ;   in Loop: Header=BB4_4898 Depth=3
	s_or_b32 exec_lo, exec_lo, s16
	v_lshrrev_b32_e32 v107, 21, v107
	v_cmp_gt_i32_e32 vcc_lo, 32, v81
	v_min_i32_e32 v108, 31, v81
	v_and_b32_sdwa v106, v106, v116 dst_sel:DWORD dst_unused:UNUSED_PAD src0_sel:BYTE_3 src1_sel:DWORD
	v_cndmask_b32_e32 v107, 3, v107, vcc_lo
	v_lshlrev_b32_e32 v108, 2, v108
	v_and_b32_e32 v109, 3, v107
	v_or_b32_e32 v81, v81, v107
	v_or3_b32 v106, v108, v106, v109
	v_cmp_ne_u32_e32 vcc_lo, 0, v81
	v_cndmask_b32_e32 v81, 0, v106, vcc_lo
.LBB4_4957:                             ;   in Loop: Header=BB4_4898 Depth=3
	s_or_b32 exec_lo, exec_lo, s23
.LBB4_4958:                             ;   in Loop: Header=BB4_4898 Depth=3
	s_or_b32 exec_lo, exec_lo, s22
	v_cmp_gt_i16_sdwa s22, v105, v115 src0_sel:BYTE_0 src1_sel:DWORD
	s_mov_b32 s16, 0
	s_and_saveexec_b32 s23, s22
	s_xor_b32 s22, exec_lo, s23
	s_cbranch_execz .LBB4_5228
; %bb.4959:                             ;   in Loop: Header=BB4_4898 Depth=3
	v_cmp_eq_u16_sdwa s72, v105, v116 src0_sel:BYTE_0 src1_sel:DWORD
	s_mov_b32 s16, -1
	s_and_saveexec_b32 s23, s72
; %bb.4960:                             ;   in Loop: Header=BB4_4898 Depth=3
	s_xor_b32 s16, exec_lo, -1
; %bb.4961:                             ;   in Loop: Header=BB4_4898 Depth=3
	s_or_b32 exec_lo, exec_lo, s23
	s_and_b32 s16, s16, exec_lo
	s_or_saveexec_b32 s22, s22
	v_mov_b32_e32 v106, 0x7f800001
	s_xor_b32 exec_lo, exec_lo, s22
	s_cbranch_execnz .LBB4_5229
.LBB4_4962:                             ;   in Loop: Header=BB4_4898 Depth=3
	s_or_b32 exec_lo, exec_lo, s22
	s_and_saveexec_b32 s22, s16
	s_cbranch_execz .LBB4_4964
.LBB4_4963:                             ;   in Loop: Header=BB4_4898 Depth=3
	v_and_b32_e32 v106, 3, v105
	v_lshrrev_b16 v108, 2, v105
	v_ffbh_u32_e32 v107, v106
	v_and_b32_e32 v108, 31, v108
	v_min_u32_e32 v107, 32, v107
	v_cmp_eq_u32_e32 vcc_lo, 0, v108
	v_subrev_nc_u32_e32 v109, 29, v107
	v_sub_nc_u32_e32 v107, 30, v107
	v_lshlrev_b32_e32 v109, v109, v105
	v_lshlrev_b32_e32 v105, 24, v105
	v_cndmask_b32_e32 v107, v108, v107, vcc_lo
	v_and_b32_e32 v109, 3, v109
	v_and_b32_e32 v105, 0x80000000, v105
	v_lshl_add_u32 v107, v107, 23, 0x37800000
	v_cndmask_b32_e32 v106, v106, v109, vcc_lo
	v_lshlrev_b32_e32 v106, 21, v106
	v_or3_b32 v106, v105, v107, v106
.LBB4_4964:                             ;   in Loop: Header=BB4_4898 Depth=3
	s_or_b32 exec_lo, exec_lo, s22
	s_waitcnt vmcnt(12) lgkmcnt(12)
	v_cmp_gt_i16_sdwa s22, v84, v115 src0_sel:BYTE_0 src1_sel:DWORD
	s_mov_b32 s16, 0
	s_and_saveexec_b32 s23, s22
	s_xor_b32 s22, exec_lo, s23
	s_cbranch_execz .LBB4_5230
; %bb.4965:                             ;   in Loop: Header=BB4_4898 Depth=3
	v_cmp_eq_u16_sdwa s72, v84, v116 src0_sel:BYTE_0 src1_sel:DWORD
	s_mov_b32 s16, -1
	s_and_saveexec_b32 s23, s72
; %bb.4966:                             ;   in Loop: Header=BB4_4898 Depth=3
	s_xor_b32 s16, exec_lo, -1
; %bb.4967:                             ;   in Loop: Header=BB4_4898 Depth=3
	s_or_b32 exec_lo, exec_lo, s23
	s_and_b32 s16, s16, exec_lo
	s_or_saveexec_b32 s22, s22
	v_mov_b32_e32 v105, 0x7f800001
	s_xor_b32 exec_lo, exec_lo, s22
	s_cbranch_execnz .LBB4_5231
.LBB4_4968:                             ;   in Loop: Header=BB4_4898 Depth=3
	s_or_b32 exec_lo, exec_lo, s22
	s_and_saveexec_b32 s22, s16
	s_cbranch_execz .LBB4_4970
.LBB4_4969:                             ;   in Loop: Header=BB4_4898 Depth=3
	v_and_b32_e32 v105, 3, v84
	v_lshrrev_b16 v108, 2, v84
	v_ffbh_u32_e32 v107, v105
	v_and_b32_e32 v108, 31, v108
	v_min_u32_e32 v107, 32, v107
	v_cmp_eq_u32_e32 vcc_lo, 0, v108
	v_subrev_nc_u32_e32 v109, 29, v107
	v_sub_nc_u32_e32 v107, 30, v107
	v_lshlrev_b32_e32 v109, v109, v84
	v_lshlrev_b32_e32 v84, 24, v84
	v_cndmask_b32_e32 v107, v108, v107, vcc_lo
	v_and_b32_e32 v109, 3, v109
	v_and_b32_e32 v84, 0x80000000, v84
	v_lshl_add_u32 v107, v107, 23, 0x37800000
	v_cndmask_b32_e32 v105, v105, v109, vcc_lo
	v_lshlrev_b32_e32 v105, 21, v105
	v_or3_b32 v105, v84, v107, v105
.LBB4_4970:                             ;   in Loop: Header=BB4_4898 Depth=3
	s_or_b32 exec_lo, exec_lo, s22
	v_mul_f32_e32 v105, v106, v105
	v_and_b32_e32 v84, 0x7f800000, v105
	v_cmp_ne_u32_e32 vcc_lo, 0x7f800000, v84
	v_mov_b32_e32 v84, 0x80
	s_and_saveexec_b32 s22, vcc_lo
	s_cbranch_execz .LBB4_4978
; %bb.4971:                             ;   in Loop: Header=BB4_4898 Depth=3
	v_mov_b32_e32 v84, 0
	s_mov_b32 s23, exec_lo
	v_cmpx_ne_u32_e32 0, v105
	s_cbranch_execz .LBB4_4977
; %bb.4972:                             ;   in Loop: Header=BB4_4898 Depth=3
	v_bfe_u32 v84, v105, 23, 8
	v_and_b32_e32 v106, 0x7fffff, v105
	v_sub_nc_u32_e32 v107, 0x70, v84
	v_cmp_gt_u32_e32 vcc_lo, 0x71, v84
	v_or_b32_e32 v108, 0x800000, v106
	v_cndmask_b32_e32 v107, 0, v107, vcc_lo
	v_cmp_eq_u32_e32 vcc_lo, 0, v84
	v_add_nc_u32_e32 v84, 0xffffff91, v84
	v_cndmask_b32_e64 v107, v107, 0x6f, vcc_lo
	v_cndmask_b32_e32 v106, v108, v106, vcc_lo
	v_cndmask_b32_e64 v84, v84, 0xffffff92, vcc_lo
	v_lshl_add_u32 v108, 0x200000, v107, -1
	v_lshrrev_b32_e32 v109, v107, v106
	v_lshlrev_b32_e64 v111, v107, 0x100000
	v_add_nc_u32_e32 v107, v107, v84
	v_and_b32_e32 v106, v108, v106
	v_bfe_u32 v110, v109, 21, 1
	v_cmp_eq_u32_e64 s16, v106, v111
	v_add_nc_u32_e32 v108, -1, v110
	v_cndmask_b32_e64 v106, 0, v108, s16
	v_lshrrev_b32_e32 v108, 23, v109
	s_mov_b32 s16, exec_lo
	v_add_nc_u32_e32 v106, v106, v109
	v_xor_b32_e32 v108, 1, v108
	v_and_b32_e32 v84, 0x1fffff, v106
	v_add_nc_u32_e32 v106, v84, v109
                                        ; implicit-def: $vgpr84
	v_cmpx_ne_u32_e64 v107, v108
	s_xor_b32 s16, exec_lo, s16
; %bb.4973:                             ;   in Loop: Header=BB4_4898 Depth=3
	v_cmp_lt_u32_e32 vcc_lo, 0xffffff, v106
	v_sub_nc_u32_e32 v84, v107, v108
	v_cndmask_b32_e64 v107, 0, 1, vcc_lo
	v_add_co_ci_u32_e64 v84, null, 0, v84, vcc_lo
	v_lshrrev_b32_e32 v106, v107, v106
; %bb.4974:                             ;   in Loop: Header=BB4_4898 Depth=3
	s_andn2_saveexec_b32 s16, s16
; %bb.4975:                             ;   in Loop: Header=BB4_4898 Depth=3
	v_bfe_u32 v84, v106, 23, 1
; %bb.4976:                             ;   in Loop: Header=BB4_4898 Depth=3
	s_or_b32 exec_lo, exec_lo, s16
	v_lshrrev_b32_e32 v106, 21, v106
	v_cmp_gt_i32_e32 vcc_lo, 32, v84
	v_min_i32_e32 v107, 31, v84
	v_and_b32_sdwa v105, v105, v116 dst_sel:DWORD dst_unused:UNUSED_PAD src0_sel:BYTE_3 src1_sel:DWORD
	v_cndmask_b32_e32 v106, 3, v106, vcc_lo
	v_lshlrev_b32_e32 v107, 2, v107
	v_and_b32_e32 v108, 3, v106
	v_or_b32_e32 v84, v84, v106
	v_or3_b32 v105, v107, v105, v108
	v_cmp_ne_u32_e32 vcc_lo, 0, v84
	v_cndmask_b32_e32 v84, 0, v105, vcc_lo
.LBB4_4977:                             ;   in Loop: Header=BB4_4898 Depth=3
	s_or_b32 exec_lo, exec_lo, s23
.LBB4_4978:                             ;   in Loop: Header=BB4_4898 Depth=3
	s_or_b32 exec_lo, exec_lo, s22
	v_cmp_gt_i16_sdwa s22, v104, v115 src0_sel:BYTE_0 src1_sel:DWORD
	s_mov_b32 s16, 0
	s_and_saveexec_b32 s23, s22
	s_xor_b32 s22, exec_lo, s23
	s_cbranch_execz .LBB4_5232
; %bb.4979:                             ;   in Loop: Header=BB4_4898 Depth=3
	v_cmp_eq_u16_sdwa s72, v104, v116 src0_sel:BYTE_0 src1_sel:DWORD
	s_mov_b32 s16, -1
	s_and_saveexec_b32 s23, s72
; %bb.4980:                             ;   in Loop: Header=BB4_4898 Depth=3
	s_xor_b32 s16, exec_lo, -1
; %bb.4981:                             ;   in Loop: Header=BB4_4898 Depth=3
	s_or_b32 exec_lo, exec_lo, s23
	s_and_b32 s16, s16, exec_lo
	s_or_saveexec_b32 s22, s22
	v_mov_b32_e32 v105, 0x7f800001
	s_xor_b32 exec_lo, exec_lo, s22
	s_cbranch_execnz .LBB4_5233
.LBB4_4982:                             ;   in Loop: Header=BB4_4898 Depth=3
	s_or_b32 exec_lo, exec_lo, s22
	s_and_saveexec_b32 s22, s16
	s_cbranch_execz .LBB4_4984
.LBB4_4983:                             ;   in Loop: Header=BB4_4898 Depth=3
	v_and_b32_e32 v105, 3, v104
	v_lshrrev_b16 v107, 2, v104
	v_ffbh_u32_e32 v106, v105
	v_and_b32_e32 v107, 31, v107
	v_min_u32_e32 v106, 32, v106
	v_cmp_eq_u32_e32 vcc_lo, 0, v107
	v_subrev_nc_u32_e32 v108, 29, v106
	v_sub_nc_u32_e32 v106, 30, v106
	v_lshlrev_b32_e32 v108, v108, v104
	v_lshlrev_b32_e32 v104, 24, v104
	v_cndmask_b32_e32 v106, v107, v106, vcc_lo
	v_and_b32_e32 v108, 3, v108
	v_and_b32_e32 v104, 0x80000000, v104
	v_lshl_add_u32 v106, v106, 23, 0x37800000
	v_cndmask_b32_e32 v105, v105, v108, vcc_lo
	v_lshlrev_b32_e32 v105, 21, v105
	v_or3_b32 v105, v104, v106, v105
.LBB4_4984:                             ;   in Loop: Header=BB4_4898 Depth=3
	s_or_b32 exec_lo, exec_lo, s22
	s_waitcnt vmcnt(11) lgkmcnt(11)
	v_cmp_gt_i16_sdwa s22, v87, v115 src0_sel:BYTE_0 src1_sel:DWORD
	s_mov_b32 s16, 0
	s_and_saveexec_b32 s23, s22
	s_xor_b32 s22, exec_lo, s23
	s_cbranch_execz .LBB4_5234
; %bb.4985:                             ;   in Loop: Header=BB4_4898 Depth=3
	v_cmp_eq_u16_sdwa s72, v87, v116 src0_sel:BYTE_0 src1_sel:DWORD
	s_mov_b32 s16, -1
	s_and_saveexec_b32 s23, s72
; %bb.4986:                             ;   in Loop: Header=BB4_4898 Depth=3
	s_xor_b32 s16, exec_lo, -1
; %bb.4987:                             ;   in Loop: Header=BB4_4898 Depth=3
	s_or_b32 exec_lo, exec_lo, s23
	s_and_b32 s16, s16, exec_lo
	s_or_saveexec_b32 s22, s22
	v_mov_b32_e32 v104, 0x7f800001
	s_xor_b32 exec_lo, exec_lo, s22
	s_cbranch_execnz .LBB4_5235
.LBB4_4988:                             ;   in Loop: Header=BB4_4898 Depth=3
	s_or_b32 exec_lo, exec_lo, s22
	s_and_saveexec_b32 s22, s16
	s_cbranch_execz .LBB4_4990
.LBB4_4989:                             ;   in Loop: Header=BB4_4898 Depth=3
	v_and_b32_e32 v104, 3, v87
	v_lshrrev_b16 v107, 2, v87
	v_ffbh_u32_e32 v106, v104
	v_and_b32_e32 v107, 31, v107
	v_min_u32_e32 v106, 32, v106
	v_cmp_eq_u32_e32 vcc_lo, 0, v107
	v_subrev_nc_u32_e32 v108, 29, v106
	v_sub_nc_u32_e32 v106, 30, v106
	v_lshlrev_b32_e32 v108, v108, v87
	v_lshlrev_b32_e32 v87, 24, v87
	v_cndmask_b32_e32 v106, v107, v106, vcc_lo
	v_and_b32_e32 v108, 3, v108
	v_and_b32_e32 v87, 0x80000000, v87
	v_lshl_add_u32 v106, v106, 23, 0x37800000
	v_cndmask_b32_e32 v104, v104, v108, vcc_lo
	v_lshlrev_b32_e32 v104, 21, v104
	v_or3_b32 v104, v87, v106, v104
.LBB4_4990:                             ;   in Loop: Header=BB4_4898 Depth=3
	s_or_b32 exec_lo, exec_lo, s22
	v_mul_f32_e32 v104, v105, v104
	v_and_b32_e32 v87, 0x7f800000, v104
	v_cmp_ne_u32_e32 vcc_lo, 0x7f800000, v87
	v_mov_b32_e32 v87, 0x80
	s_and_saveexec_b32 s22, vcc_lo
	s_cbranch_execz .LBB4_4998
; %bb.4991:                             ;   in Loop: Header=BB4_4898 Depth=3
	v_mov_b32_e32 v87, 0
	s_mov_b32 s23, exec_lo
	v_cmpx_ne_u32_e32 0, v104
	s_cbranch_execz .LBB4_4997
; %bb.4992:                             ;   in Loop: Header=BB4_4898 Depth=3
	v_bfe_u32 v87, v104, 23, 8
	v_and_b32_e32 v105, 0x7fffff, v104
	v_sub_nc_u32_e32 v106, 0x70, v87
	v_cmp_gt_u32_e32 vcc_lo, 0x71, v87
	v_or_b32_e32 v107, 0x800000, v105
	v_cndmask_b32_e32 v106, 0, v106, vcc_lo
	v_cmp_eq_u32_e32 vcc_lo, 0, v87
	v_add_nc_u32_e32 v87, 0xffffff91, v87
	v_cndmask_b32_e64 v106, v106, 0x6f, vcc_lo
	v_cndmask_b32_e32 v105, v107, v105, vcc_lo
	v_cndmask_b32_e64 v87, v87, 0xffffff92, vcc_lo
	v_lshl_add_u32 v107, 0x200000, v106, -1
	v_lshrrev_b32_e32 v108, v106, v105
	v_lshlrev_b32_e64 v110, v106, 0x100000
	v_add_nc_u32_e32 v106, v106, v87
	v_and_b32_e32 v105, v107, v105
	v_bfe_u32 v109, v108, 21, 1
	v_cmp_eq_u32_e64 s16, v105, v110
	v_add_nc_u32_e32 v107, -1, v109
	v_cndmask_b32_e64 v105, 0, v107, s16
	v_lshrrev_b32_e32 v107, 23, v108
	s_mov_b32 s16, exec_lo
	v_add_nc_u32_e32 v105, v105, v108
	v_xor_b32_e32 v107, 1, v107
	v_and_b32_e32 v87, 0x1fffff, v105
	v_add_nc_u32_e32 v105, v87, v108
                                        ; implicit-def: $vgpr87
	v_cmpx_ne_u32_e64 v106, v107
	s_xor_b32 s16, exec_lo, s16
; %bb.4993:                             ;   in Loop: Header=BB4_4898 Depth=3
	v_cmp_lt_u32_e32 vcc_lo, 0xffffff, v105
	v_sub_nc_u32_e32 v87, v106, v107
	v_cndmask_b32_e64 v106, 0, 1, vcc_lo
	v_add_co_ci_u32_e64 v87, null, 0, v87, vcc_lo
	v_lshrrev_b32_e32 v105, v106, v105
; %bb.4994:                             ;   in Loop: Header=BB4_4898 Depth=3
	s_andn2_saveexec_b32 s16, s16
; %bb.4995:                             ;   in Loop: Header=BB4_4898 Depth=3
	v_bfe_u32 v87, v105, 23, 1
; %bb.4996:                             ;   in Loop: Header=BB4_4898 Depth=3
	s_or_b32 exec_lo, exec_lo, s16
	v_lshrrev_b32_e32 v105, 21, v105
	v_cmp_gt_i32_e32 vcc_lo, 32, v87
	v_min_i32_e32 v106, 31, v87
	v_and_b32_sdwa v104, v104, v116 dst_sel:DWORD dst_unused:UNUSED_PAD src0_sel:BYTE_3 src1_sel:DWORD
	v_cndmask_b32_e32 v105, 3, v105, vcc_lo
	v_lshlrev_b32_e32 v106, 2, v106
	v_and_b32_e32 v107, 3, v105
	v_or_b32_e32 v87, v87, v105
	v_or3_b32 v104, v106, v104, v107
	v_cmp_ne_u32_e32 vcc_lo, 0, v87
	v_cndmask_b32_e32 v87, 0, v104, vcc_lo
.LBB4_4997:                             ;   in Loop: Header=BB4_4898 Depth=3
	s_or_b32 exec_lo, exec_lo, s23
.LBB4_4998:                             ;   in Loop: Header=BB4_4898 Depth=3
	s_or_b32 exec_lo, exec_lo, s22
	v_cmp_gt_i16_sdwa s22, v95, v115 src0_sel:BYTE_0 src1_sel:DWORD
	s_mov_b32 s16, 0
	s_and_saveexec_b32 s23, s22
	s_xor_b32 s22, exec_lo, s23
	s_cbranch_execz .LBB4_5236
; %bb.4999:                             ;   in Loop: Header=BB4_4898 Depth=3
	v_cmp_eq_u16_sdwa s72, v95, v116 src0_sel:BYTE_0 src1_sel:DWORD
	s_mov_b32 s16, -1
	s_and_saveexec_b32 s23, s72
; %bb.5000:                             ;   in Loop: Header=BB4_4898 Depth=3
	s_xor_b32 s16, exec_lo, -1
; %bb.5001:                             ;   in Loop: Header=BB4_4898 Depth=3
	s_or_b32 exec_lo, exec_lo, s23
	s_and_b32 s16, s16, exec_lo
	s_or_saveexec_b32 s22, s22
	v_mov_b32_e32 v104, 0x7f800001
	s_xor_b32 exec_lo, exec_lo, s22
	s_cbranch_execnz .LBB4_5237
.LBB4_5002:                             ;   in Loop: Header=BB4_4898 Depth=3
	s_or_b32 exec_lo, exec_lo, s22
	s_and_saveexec_b32 s22, s16
	s_cbranch_execz .LBB4_5004
.LBB4_5003:                             ;   in Loop: Header=BB4_4898 Depth=3
	v_and_b32_e32 v104, 3, v95
	v_lshrrev_b16 v106, 2, v95
	v_ffbh_u32_e32 v105, v104
	v_and_b32_e32 v106, 31, v106
	v_min_u32_e32 v105, 32, v105
	v_cmp_eq_u32_e32 vcc_lo, 0, v106
	v_subrev_nc_u32_e32 v107, 29, v105
	v_sub_nc_u32_e32 v105, 30, v105
	v_lshlrev_b32_e32 v107, v107, v95
	v_lshlrev_b32_e32 v95, 24, v95
	v_cndmask_b32_e32 v105, v106, v105, vcc_lo
	v_and_b32_e32 v107, 3, v107
	v_and_b32_e32 v95, 0x80000000, v95
	v_lshl_add_u32 v105, v105, 23, 0x37800000
	v_cndmask_b32_e32 v104, v104, v107, vcc_lo
	v_lshlrev_b32_e32 v104, 21, v104
	v_or3_b32 v104, v95, v105, v104
.LBB4_5004:                             ;   in Loop: Header=BB4_4898 Depth=3
	s_or_b32 exec_lo, exec_lo, s22
	s_waitcnt vmcnt(10) lgkmcnt(10)
	v_cmp_gt_i16_sdwa s22, v98, v115 src0_sel:BYTE_0 src1_sel:DWORD
	s_mov_b32 s16, 0
	s_and_saveexec_b32 s23, s22
	s_xor_b32 s22, exec_lo, s23
	s_cbranch_execz .LBB4_5238
; %bb.5005:                             ;   in Loop: Header=BB4_4898 Depth=3
	v_cmp_eq_u16_sdwa s72, v98, v116 src0_sel:BYTE_0 src1_sel:DWORD
	s_mov_b32 s16, -1
	s_and_saveexec_b32 s23, s72
; %bb.5006:                             ;   in Loop: Header=BB4_4898 Depth=3
	s_xor_b32 s16, exec_lo, -1
; %bb.5007:                             ;   in Loop: Header=BB4_4898 Depth=3
	s_or_b32 exec_lo, exec_lo, s23
	s_and_b32 s16, s16, exec_lo
	s_or_saveexec_b32 s22, s22
	v_mov_b32_e32 v95, 0x7f800001
	s_xor_b32 exec_lo, exec_lo, s22
	s_cbranch_execnz .LBB4_5239
.LBB4_5008:                             ;   in Loop: Header=BB4_4898 Depth=3
	s_or_b32 exec_lo, exec_lo, s22
	s_and_saveexec_b32 s22, s16
	s_cbranch_execz .LBB4_5010
.LBB4_5009:                             ;   in Loop: Header=BB4_4898 Depth=3
	v_and_b32_e32 v95, 3, v98
	v_lshrrev_b16 v106, 2, v98
	v_ffbh_u32_e32 v105, v95
	v_and_b32_e32 v106, 31, v106
	v_min_u32_e32 v105, 32, v105
	v_cmp_eq_u32_e32 vcc_lo, 0, v106
	v_subrev_nc_u32_e32 v107, 29, v105
	v_sub_nc_u32_e32 v105, 30, v105
	v_lshlrev_b32_e32 v107, v107, v98
	v_lshlrev_b32_e32 v98, 24, v98
	v_cndmask_b32_e32 v105, v106, v105, vcc_lo
	v_and_b32_e32 v107, 3, v107
	v_and_b32_e32 v98, 0x80000000, v98
	v_lshl_add_u32 v105, v105, 23, 0x37800000
	v_cndmask_b32_e32 v95, v95, v107, vcc_lo
	v_lshlrev_b32_e32 v95, 21, v95
	v_or3_b32 v95, v98, v105, v95
.LBB4_5010:                             ;   in Loop: Header=BB4_4898 Depth=3
	s_or_b32 exec_lo, exec_lo, s22
	v_mul_f32_e32 v95, v104, v95
	v_and_b32_e32 v98, 0x7f800000, v95
	v_cmp_ne_u32_e32 vcc_lo, 0x7f800000, v98
	v_mov_b32_e32 v98, 0x80
	s_and_saveexec_b32 s22, vcc_lo
	s_cbranch_execz .LBB4_5018
; %bb.5011:                             ;   in Loop: Header=BB4_4898 Depth=3
	v_mov_b32_e32 v98, 0
	s_mov_b32 s23, exec_lo
	v_cmpx_ne_u32_e32 0, v95
	s_cbranch_execz .LBB4_5017
; %bb.5012:                             ;   in Loop: Header=BB4_4898 Depth=3
	v_bfe_u32 v98, v95, 23, 8
	v_and_b32_e32 v104, 0x7fffff, v95
	v_sub_nc_u32_e32 v105, 0x70, v98
	v_cmp_gt_u32_e32 vcc_lo, 0x71, v98
	v_or_b32_e32 v106, 0x800000, v104
	v_cndmask_b32_e32 v105, 0, v105, vcc_lo
	v_cmp_eq_u32_e32 vcc_lo, 0, v98
	v_add_nc_u32_e32 v98, 0xffffff91, v98
	v_cndmask_b32_e64 v105, v105, 0x6f, vcc_lo
	v_cndmask_b32_e32 v104, v106, v104, vcc_lo
	v_cndmask_b32_e64 v98, v98, 0xffffff92, vcc_lo
	v_lshl_add_u32 v106, 0x200000, v105, -1
	v_lshrrev_b32_e32 v107, v105, v104
	v_lshlrev_b32_e64 v109, v105, 0x100000
	v_add_nc_u32_e32 v105, v105, v98
	v_and_b32_e32 v104, v106, v104
	v_bfe_u32 v108, v107, 21, 1
	v_cmp_eq_u32_e64 s16, v104, v109
	v_add_nc_u32_e32 v106, -1, v108
	v_cndmask_b32_e64 v104, 0, v106, s16
	v_lshrrev_b32_e32 v106, 23, v107
	s_mov_b32 s16, exec_lo
	v_add_nc_u32_e32 v104, v104, v107
	v_xor_b32_e32 v106, 1, v106
	v_and_b32_e32 v98, 0x1fffff, v104
	v_add_nc_u32_e32 v104, v98, v107
                                        ; implicit-def: $vgpr98
	v_cmpx_ne_u32_e64 v105, v106
	s_xor_b32 s16, exec_lo, s16
; %bb.5013:                             ;   in Loop: Header=BB4_4898 Depth=3
	v_cmp_lt_u32_e32 vcc_lo, 0xffffff, v104
	v_sub_nc_u32_e32 v98, v105, v106
	v_cndmask_b32_e64 v105, 0, 1, vcc_lo
	v_add_co_ci_u32_e64 v98, null, 0, v98, vcc_lo
	v_lshrrev_b32_e32 v104, v105, v104
; %bb.5014:                             ;   in Loop: Header=BB4_4898 Depth=3
	s_andn2_saveexec_b32 s16, s16
; %bb.5015:                             ;   in Loop: Header=BB4_4898 Depth=3
	v_bfe_u32 v98, v104, 23, 1
; %bb.5016:                             ;   in Loop: Header=BB4_4898 Depth=3
	s_or_b32 exec_lo, exec_lo, s16
	v_lshrrev_b32_e32 v104, 21, v104
	v_cmp_gt_i32_e32 vcc_lo, 32, v98
	v_min_i32_e32 v105, 31, v98
	v_and_b32_sdwa v95, v95, v116 dst_sel:DWORD dst_unused:UNUSED_PAD src0_sel:BYTE_3 src1_sel:DWORD
	v_cndmask_b32_e32 v104, 3, v104, vcc_lo
	v_lshlrev_b32_e32 v105, 2, v105
	v_and_b32_e32 v106, 3, v104
	v_or_b32_e32 v98, v98, v104
	v_or3_b32 v95, v105, v95, v106
	v_cmp_ne_u32_e32 vcc_lo, 0, v98
	v_cndmask_b32_e32 v98, 0, v95, vcc_lo
.LBB4_5017:                             ;   in Loop: Header=BB4_4898 Depth=3
	s_or_b32 exec_lo, exec_lo, s23
.LBB4_5018:                             ;   in Loop: Header=BB4_4898 Depth=3
	s_or_b32 exec_lo, exec_lo, s22
	v_cmp_gt_i16_sdwa s22, v94, v115 src0_sel:BYTE_0 src1_sel:DWORD
	s_mov_b32 s16, 0
	s_and_saveexec_b32 s23, s22
	s_xor_b32 s22, exec_lo, s23
	s_cbranch_execz .LBB4_5240
; %bb.5019:                             ;   in Loop: Header=BB4_4898 Depth=3
	v_cmp_eq_u16_sdwa s72, v94, v116 src0_sel:BYTE_0 src1_sel:DWORD
	s_mov_b32 s16, -1
	s_and_saveexec_b32 s23, s72
; %bb.5020:                             ;   in Loop: Header=BB4_4898 Depth=3
	s_xor_b32 s16, exec_lo, -1
; %bb.5021:                             ;   in Loop: Header=BB4_4898 Depth=3
	s_or_b32 exec_lo, exec_lo, s23
	s_and_b32 s16, s16, exec_lo
	s_or_saveexec_b32 s22, s22
	v_mov_b32_e32 v95, 0x7f800001
	s_xor_b32 exec_lo, exec_lo, s22
	s_cbranch_execnz .LBB4_5241
.LBB4_5022:                             ;   in Loop: Header=BB4_4898 Depth=3
	s_or_b32 exec_lo, exec_lo, s22
	s_and_saveexec_b32 s22, s16
	s_cbranch_execz .LBB4_5024
.LBB4_5023:                             ;   in Loop: Header=BB4_4898 Depth=3
	v_and_b32_e32 v95, 3, v94
	v_lshrrev_b16 v105, 2, v94
	v_ffbh_u32_e32 v104, v95
	v_and_b32_e32 v105, 31, v105
	v_min_u32_e32 v104, 32, v104
	v_cmp_eq_u32_e32 vcc_lo, 0, v105
	v_subrev_nc_u32_e32 v106, 29, v104
	v_sub_nc_u32_e32 v104, 30, v104
	v_lshlrev_b32_e32 v106, v106, v94
	v_lshlrev_b32_e32 v94, 24, v94
	v_cndmask_b32_e32 v104, v105, v104, vcc_lo
	v_and_b32_e32 v106, 3, v106
	v_and_b32_e32 v94, 0x80000000, v94
	v_lshl_add_u32 v104, v104, 23, 0x37800000
	v_cndmask_b32_e32 v95, v95, v106, vcc_lo
	v_lshlrev_b32_e32 v95, 21, v95
	v_or3_b32 v95, v94, v104, v95
.LBB4_5024:                             ;   in Loop: Header=BB4_4898 Depth=3
	s_or_b32 exec_lo, exec_lo, s22
	s_waitcnt vmcnt(9) lgkmcnt(9)
	v_cmp_gt_i16_sdwa s22, v89, v115 src0_sel:BYTE_0 src1_sel:DWORD
	s_mov_b32 s16, 0
	s_and_saveexec_b32 s23, s22
	s_xor_b32 s22, exec_lo, s23
	s_cbranch_execz .LBB4_5242
; %bb.5025:                             ;   in Loop: Header=BB4_4898 Depth=3
	v_cmp_eq_u16_sdwa s72, v89, v116 src0_sel:BYTE_0 src1_sel:DWORD
	s_mov_b32 s16, -1
	s_and_saveexec_b32 s23, s72
; %bb.5026:                             ;   in Loop: Header=BB4_4898 Depth=3
	s_xor_b32 s16, exec_lo, -1
; %bb.5027:                             ;   in Loop: Header=BB4_4898 Depth=3
	s_or_b32 exec_lo, exec_lo, s23
	s_and_b32 s16, s16, exec_lo
	s_or_saveexec_b32 s22, s22
	v_mov_b32_e32 v94, 0x7f800001
	s_xor_b32 exec_lo, exec_lo, s22
	s_cbranch_execnz .LBB4_5243
.LBB4_5028:                             ;   in Loop: Header=BB4_4898 Depth=3
	s_or_b32 exec_lo, exec_lo, s22
	s_and_saveexec_b32 s22, s16
	s_cbranch_execz .LBB4_5030
.LBB4_5029:                             ;   in Loop: Header=BB4_4898 Depth=3
	v_and_b32_e32 v94, 3, v89
	v_lshrrev_b16 v105, 2, v89
	v_ffbh_u32_e32 v104, v94
	v_and_b32_e32 v105, 31, v105
	v_min_u32_e32 v104, 32, v104
	v_cmp_eq_u32_e32 vcc_lo, 0, v105
	v_subrev_nc_u32_e32 v106, 29, v104
	v_sub_nc_u32_e32 v104, 30, v104
	v_lshlrev_b32_e32 v106, v106, v89
	v_lshlrev_b32_e32 v89, 24, v89
	v_cndmask_b32_e32 v104, v105, v104, vcc_lo
	v_and_b32_e32 v106, 3, v106
	v_and_b32_e32 v89, 0x80000000, v89
	v_lshl_add_u32 v104, v104, 23, 0x37800000
	v_cndmask_b32_e32 v94, v94, v106, vcc_lo
	v_lshlrev_b32_e32 v94, 21, v94
	v_or3_b32 v94, v89, v104, v94
.LBB4_5030:                             ;   in Loop: Header=BB4_4898 Depth=3
	s_or_b32 exec_lo, exec_lo, s22
	v_mul_f32_e32 v94, v95, v94
	v_and_b32_e32 v89, 0x7f800000, v94
	v_cmp_ne_u32_e32 vcc_lo, 0x7f800000, v89
	v_mov_b32_e32 v89, 0x80
	s_and_saveexec_b32 s22, vcc_lo
	s_cbranch_execz .LBB4_5038
; %bb.5031:                             ;   in Loop: Header=BB4_4898 Depth=3
	v_mov_b32_e32 v89, 0
	s_mov_b32 s23, exec_lo
	v_cmpx_ne_u32_e32 0, v94
	s_cbranch_execz .LBB4_5037
; %bb.5032:                             ;   in Loop: Header=BB4_4898 Depth=3
	v_bfe_u32 v89, v94, 23, 8
	v_and_b32_e32 v95, 0x7fffff, v94
	v_sub_nc_u32_e32 v104, 0x70, v89
	v_cmp_gt_u32_e32 vcc_lo, 0x71, v89
	v_or_b32_e32 v105, 0x800000, v95
	v_cndmask_b32_e32 v104, 0, v104, vcc_lo
	v_cmp_eq_u32_e32 vcc_lo, 0, v89
	v_add_nc_u32_e32 v89, 0xffffff91, v89
	v_cndmask_b32_e64 v104, v104, 0x6f, vcc_lo
	v_cndmask_b32_e32 v95, v105, v95, vcc_lo
	v_cndmask_b32_e64 v89, v89, 0xffffff92, vcc_lo
	v_lshl_add_u32 v105, 0x200000, v104, -1
	v_lshrrev_b32_e32 v106, v104, v95
	v_lshlrev_b32_e64 v108, v104, 0x100000
	v_add_nc_u32_e32 v104, v104, v89
	v_and_b32_e32 v95, v105, v95
	v_bfe_u32 v107, v106, 21, 1
	v_cmp_eq_u32_e64 s16, v95, v108
	v_add_nc_u32_e32 v105, -1, v107
	v_cndmask_b32_e64 v95, 0, v105, s16
	v_lshrrev_b32_e32 v105, 23, v106
	s_mov_b32 s16, exec_lo
	v_add_nc_u32_e32 v95, v95, v106
	v_xor_b32_e32 v105, 1, v105
	v_and_b32_e32 v89, 0x1fffff, v95
	v_add_nc_u32_e32 v95, v89, v106
                                        ; implicit-def: $vgpr89
	v_cmpx_ne_u32_e64 v104, v105
	s_xor_b32 s16, exec_lo, s16
; %bb.5033:                             ;   in Loop: Header=BB4_4898 Depth=3
	v_cmp_lt_u32_e32 vcc_lo, 0xffffff, v95
	v_sub_nc_u32_e32 v89, v104, v105
	v_cndmask_b32_e64 v104, 0, 1, vcc_lo
	v_add_co_ci_u32_e64 v89, null, 0, v89, vcc_lo
	v_lshrrev_b32_e32 v95, v104, v95
; %bb.5034:                             ;   in Loop: Header=BB4_4898 Depth=3
	s_andn2_saveexec_b32 s16, s16
; %bb.5035:                             ;   in Loop: Header=BB4_4898 Depth=3
	v_bfe_u32 v89, v95, 23, 1
; %bb.5036:                             ;   in Loop: Header=BB4_4898 Depth=3
	s_or_b32 exec_lo, exec_lo, s16
	v_lshrrev_b32_e32 v95, 21, v95
	v_cmp_gt_i32_e32 vcc_lo, 32, v89
	v_min_i32_e32 v104, 31, v89
	v_and_b32_sdwa v94, v94, v116 dst_sel:DWORD dst_unused:UNUSED_PAD src0_sel:BYTE_3 src1_sel:DWORD
	v_cndmask_b32_e32 v95, 3, v95, vcc_lo
	v_lshlrev_b32_e32 v104, 2, v104
	v_and_b32_e32 v105, 3, v95
	v_or_b32_e32 v89, v89, v95
	v_or3_b32 v94, v104, v94, v105
	v_cmp_ne_u32_e32 vcc_lo, 0, v89
	v_cndmask_b32_e32 v89, 0, v94, vcc_lo
.LBB4_5037:                             ;   in Loop: Header=BB4_4898 Depth=3
	s_or_b32 exec_lo, exec_lo, s23
.LBB4_5038:                             ;   in Loop: Header=BB4_4898 Depth=3
	s_or_b32 exec_lo, exec_lo, s22
	v_cmp_gt_i16_sdwa s22, v93, v115 src0_sel:BYTE_0 src1_sel:DWORD
	s_mov_b32 s16, 0
	s_and_saveexec_b32 s23, s22
	s_xor_b32 s22, exec_lo, s23
	s_cbranch_execz .LBB4_5244
; %bb.5039:                             ;   in Loop: Header=BB4_4898 Depth=3
	v_cmp_eq_u16_sdwa s72, v93, v116 src0_sel:BYTE_0 src1_sel:DWORD
	s_mov_b32 s16, -1
	s_and_saveexec_b32 s23, s72
; %bb.5040:                             ;   in Loop: Header=BB4_4898 Depth=3
	s_xor_b32 s16, exec_lo, -1
; %bb.5041:                             ;   in Loop: Header=BB4_4898 Depth=3
	s_or_b32 exec_lo, exec_lo, s23
	s_and_b32 s16, s16, exec_lo
	s_or_saveexec_b32 s22, s22
	v_mov_b32_e32 v94, 0x7f800001
	s_xor_b32 exec_lo, exec_lo, s22
	s_cbranch_execnz .LBB4_5245
.LBB4_5042:                             ;   in Loop: Header=BB4_4898 Depth=3
	s_or_b32 exec_lo, exec_lo, s22
	s_and_saveexec_b32 s22, s16
	s_cbranch_execz .LBB4_5044
.LBB4_5043:                             ;   in Loop: Header=BB4_4898 Depth=3
	v_and_b32_e32 v94, 3, v93
	v_lshrrev_b16 v104, 2, v93
	v_ffbh_u32_e32 v95, v94
	v_and_b32_e32 v104, 31, v104
	v_min_u32_e32 v95, 32, v95
	v_cmp_eq_u32_e32 vcc_lo, 0, v104
	v_subrev_nc_u32_e32 v105, 29, v95
	v_sub_nc_u32_e32 v95, 30, v95
	v_lshlrev_b32_e32 v105, v105, v93
	v_lshlrev_b32_e32 v93, 24, v93
	v_cndmask_b32_e32 v95, v104, v95, vcc_lo
	v_and_b32_e32 v105, 3, v105
	v_and_b32_e32 v93, 0x80000000, v93
	v_lshl_add_u32 v95, v95, 23, 0x37800000
	v_cndmask_b32_e32 v94, v94, v105, vcc_lo
	v_lshlrev_b32_e32 v94, 21, v94
	v_or3_b32 v94, v93, v95, v94
.LBB4_5044:                             ;   in Loop: Header=BB4_4898 Depth=3
	s_or_b32 exec_lo, exec_lo, s22
	s_waitcnt vmcnt(8) lgkmcnt(8)
	v_cmp_gt_i16_sdwa s22, v92, v115 src0_sel:BYTE_0 src1_sel:DWORD
	s_mov_b32 s16, 0
	s_and_saveexec_b32 s23, s22
	s_xor_b32 s22, exec_lo, s23
	s_cbranch_execz .LBB4_5246
; %bb.5045:                             ;   in Loop: Header=BB4_4898 Depth=3
	v_cmp_eq_u16_sdwa s72, v92, v116 src0_sel:BYTE_0 src1_sel:DWORD
	s_mov_b32 s16, -1
	s_and_saveexec_b32 s23, s72
; %bb.5046:                             ;   in Loop: Header=BB4_4898 Depth=3
	s_xor_b32 s16, exec_lo, -1
; %bb.5047:                             ;   in Loop: Header=BB4_4898 Depth=3
	s_or_b32 exec_lo, exec_lo, s23
	s_and_b32 s16, s16, exec_lo
	s_or_saveexec_b32 s22, s22
	v_mov_b32_e32 v93, 0x7f800001
	s_xor_b32 exec_lo, exec_lo, s22
	s_cbranch_execnz .LBB4_5247
.LBB4_5048:                             ;   in Loop: Header=BB4_4898 Depth=3
	s_or_b32 exec_lo, exec_lo, s22
	s_and_saveexec_b32 s22, s16
	s_cbranch_execz .LBB4_5050
.LBB4_5049:                             ;   in Loop: Header=BB4_4898 Depth=3
	v_and_b32_e32 v93, 3, v92
	v_lshrrev_b16 v104, 2, v92
	v_ffbh_u32_e32 v95, v93
	v_and_b32_e32 v104, 31, v104
	v_min_u32_e32 v95, 32, v95
	v_cmp_eq_u32_e32 vcc_lo, 0, v104
	v_subrev_nc_u32_e32 v105, 29, v95
	v_sub_nc_u32_e32 v95, 30, v95
	v_lshlrev_b32_e32 v105, v105, v92
	v_lshlrev_b32_e32 v92, 24, v92
	v_cndmask_b32_e32 v95, v104, v95, vcc_lo
	v_and_b32_e32 v105, 3, v105
	v_and_b32_e32 v92, 0x80000000, v92
	v_lshl_add_u32 v95, v95, 23, 0x37800000
	v_cndmask_b32_e32 v93, v93, v105, vcc_lo
	v_lshlrev_b32_e32 v93, 21, v93
	v_or3_b32 v93, v92, v95, v93
.LBB4_5050:                             ;   in Loop: Header=BB4_4898 Depth=3
	s_or_b32 exec_lo, exec_lo, s22
	v_mul_f32_e32 v93, v94, v93
	v_and_b32_e32 v92, 0x7f800000, v93
	v_cmp_ne_u32_e32 vcc_lo, 0x7f800000, v92
	v_mov_b32_e32 v92, 0x80
	s_and_saveexec_b32 s22, vcc_lo
	s_cbranch_execz .LBB4_5058
; %bb.5051:                             ;   in Loop: Header=BB4_4898 Depth=3
	v_mov_b32_e32 v92, 0
	s_mov_b32 s23, exec_lo
	v_cmpx_ne_u32_e32 0, v93
	s_cbranch_execz .LBB4_5057
; %bb.5052:                             ;   in Loop: Header=BB4_4898 Depth=3
	v_bfe_u32 v92, v93, 23, 8
	v_and_b32_e32 v94, 0x7fffff, v93
	v_sub_nc_u32_e32 v95, 0x70, v92
	v_cmp_gt_u32_e32 vcc_lo, 0x71, v92
	v_or_b32_e32 v104, 0x800000, v94
	v_cndmask_b32_e32 v95, 0, v95, vcc_lo
	v_cmp_eq_u32_e32 vcc_lo, 0, v92
	v_add_nc_u32_e32 v92, 0xffffff91, v92
	v_cndmask_b32_e64 v95, v95, 0x6f, vcc_lo
	v_cndmask_b32_e32 v94, v104, v94, vcc_lo
	v_cndmask_b32_e64 v92, v92, 0xffffff92, vcc_lo
	v_lshl_add_u32 v104, 0x200000, v95, -1
	v_lshrrev_b32_e32 v105, v95, v94
	v_lshlrev_b32_e64 v107, v95, 0x100000
	v_add_nc_u32_e32 v95, v95, v92
	v_and_b32_e32 v94, v104, v94
	v_bfe_u32 v106, v105, 21, 1
	v_cmp_eq_u32_e64 s16, v94, v107
	v_add_nc_u32_e32 v104, -1, v106
	v_cndmask_b32_e64 v94, 0, v104, s16
	v_lshrrev_b32_e32 v104, 23, v105
	s_mov_b32 s16, exec_lo
	v_add_nc_u32_e32 v94, v94, v105
	v_xor_b32_e32 v104, 1, v104
	v_and_b32_e32 v92, 0x1fffff, v94
	v_add_nc_u32_e32 v94, v92, v105
                                        ; implicit-def: $vgpr92
	v_cmpx_ne_u32_e64 v95, v104
	s_xor_b32 s16, exec_lo, s16
; %bb.5053:                             ;   in Loop: Header=BB4_4898 Depth=3
	v_cmp_lt_u32_e32 vcc_lo, 0xffffff, v94
	v_sub_nc_u32_e32 v92, v95, v104
	v_cndmask_b32_e64 v95, 0, 1, vcc_lo
	v_add_co_ci_u32_e64 v92, null, 0, v92, vcc_lo
	v_lshrrev_b32_e32 v94, v95, v94
; %bb.5054:                             ;   in Loop: Header=BB4_4898 Depth=3
	s_andn2_saveexec_b32 s16, s16
; %bb.5055:                             ;   in Loop: Header=BB4_4898 Depth=3
	v_bfe_u32 v92, v94, 23, 1
; %bb.5056:                             ;   in Loop: Header=BB4_4898 Depth=3
	s_or_b32 exec_lo, exec_lo, s16
	v_lshrrev_b32_e32 v94, 21, v94
	v_cmp_gt_i32_e32 vcc_lo, 32, v92
	v_min_i32_e32 v95, 31, v92
	v_and_b32_sdwa v93, v93, v116 dst_sel:DWORD dst_unused:UNUSED_PAD src0_sel:BYTE_3 src1_sel:DWORD
	v_cndmask_b32_e32 v94, 3, v94, vcc_lo
	v_lshlrev_b32_e32 v95, 2, v95
	v_and_b32_e32 v104, 3, v94
	v_or_b32_e32 v92, v92, v94
	v_or3_b32 v93, v95, v93, v104
	v_cmp_ne_u32_e32 vcc_lo, 0, v92
	v_cndmask_b32_e32 v92, 0, v93, vcc_lo
.LBB4_5057:                             ;   in Loop: Header=BB4_4898 Depth=3
	s_or_b32 exec_lo, exec_lo, s23
.LBB4_5058:                             ;   in Loop: Header=BB4_4898 Depth=3
	s_or_b32 exec_lo, exec_lo, s22
	v_cmp_gt_i16_sdwa s22, v91, v115 src0_sel:BYTE_0 src1_sel:DWORD
	s_mov_b32 s16, 0
	s_and_saveexec_b32 s23, s22
	s_xor_b32 s22, exec_lo, s23
	s_cbranch_execz .LBB4_5248
; %bb.5059:                             ;   in Loop: Header=BB4_4898 Depth=3
	v_cmp_eq_u16_sdwa s72, v91, v116 src0_sel:BYTE_0 src1_sel:DWORD
	s_mov_b32 s16, -1
	s_and_saveexec_b32 s23, s72
; %bb.5060:                             ;   in Loop: Header=BB4_4898 Depth=3
	s_xor_b32 s16, exec_lo, -1
; %bb.5061:                             ;   in Loop: Header=BB4_4898 Depth=3
	s_or_b32 exec_lo, exec_lo, s23
	s_and_b32 s16, s16, exec_lo
	s_or_saveexec_b32 s22, s22
	v_mov_b32_e32 v93, 0x7f800001
	s_xor_b32 exec_lo, exec_lo, s22
	s_cbranch_execnz .LBB4_5249
.LBB4_5062:                             ;   in Loop: Header=BB4_4898 Depth=3
	s_or_b32 exec_lo, exec_lo, s22
	s_and_saveexec_b32 s22, s16
	s_cbranch_execz .LBB4_5064
.LBB4_5063:                             ;   in Loop: Header=BB4_4898 Depth=3
	v_and_b32_e32 v93, 3, v91
	v_lshrrev_b16 v95, 2, v91
	v_ffbh_u32_e32 v94, v93
	v_and_b32_e32 v95, 31, v95
	v_min_u32_e32 v94, 32, v94
	v_cmp_eq_u32_e32 vcc_lo, 0, v95
	v_subrev_nc_u32_e32 v104, 29, v94
	v_sub_nc_u32_e32 v94, 30, v94
	v_lshlrev_b32_e32 v104, v104, v91
	v_lshlrev_b32_e32 v91, 24, v91
	v_cndmask_b32_e32 v94, v95, v94, vcc_lo
	v_and_b32_e32 v104, 3, v104
	v_and_b32_e32 v91, 0x80000000, v91
	v_lshl_add_u32 v94, v94, 23, 0x37800000
	v_cndmask_b32_e32 v93, v93, v104, vcc_lo
	v_lshlrev_b32_e32 v93, 21, v93
	v_or3_b32 v93, v91, v94, v93
.LBB4_5064:                             ;   in Loop: Header=BB4_4898 Depth=3
	s_or_b32 exec_lo, exec_lo, s22
	s_waitcnt vmcnt(7) lgkmcnt(7)
	v_cmp_gt_i16_sdwa s22, v90, v115 src0_sel:BYTE_0 src1_sel:DWORD
	s_mov_b32 s16, 0
	s_and_saveexec_b32 s23, s22
	s_xor_b32 s22, exec_lo, s23
	s_cbranch_execz .LBB4_5250
; %bb.5065:                             ;   in Loop: Header=BB4_4898 Depth=3
	v_cmp_eq_u16_sdwa s72, v90, v116 src0_sel:BYTE_0 src1_sel:DWORD
	s_mov_b32 s16, -1
	s_and_saveexec_b32 s23, s72
; %bb.5066:                             ;   in Loop: Header=BB4_4898 Depth=3
	s_xor_b32 s16, exec_lo, -1
; %bb.5067:                             ;   in Loop: Header=BB4_4898 Depth=3
	s_or_b32 exec_lo, exec_lo, s23
	s_and_b32 s16, s16, exec_lo
	s_or_saveexec_b32 s22, s22
	v_mov_b32_e32 v91, 0x7f800001
	s_xor_b32 exec_lo, exec_lo, s22
	s_cbranch_execnz .LBB4_5251
.LBB4_5068:                             ;   in Loop: Header=BB4_4898 Depth=3
	s_or_b32 exec_lo, exec_lo, s22
	s_and_saveexec_b32 s22, s16
	s_cbranch_execz .LBB4_5070
.LBB4_5069:                             ;   in Loop: Header=BB4_4898 Depth=3
	v_and_b32_e32 v91, 3, v90
	v_lshrrev_b16 v95, 2, v90
	v_ffbh_u32_e32 v94, v91
	v_and_b32_e32 v95, 31, v95
	v_min_u32_e32 v94, 32, v94
	v_cmp_eq_u32_e32 vcc_lo, 0, v95
	v_subrev_nc_u32_e32 v104, 29, v94
	v_sub_nc_u32_e32 v94, 30, v94
	v_lshlrev_b32_e32 v104, v104, v90
	v_lshlrev_b32_e32 v90, 24, v90
	v_cndmask_b32_e32 v94, v95, v94, vcc_lo
	v_and_b32_e32 v104, 3, v104
	v_and_b32_e32 v90, 0x80000000, v90
	v_lshl_add_u32 v94, v94, 23, 0x37800000
	v_cndmask_b32_e32 v91, v91, v104, vcc_lo
	v_lshlrev_b32_e32 v91, 21, v91
	v_or3_b32 v91, v90, v94, v91
.LBB4_5070:                             ;   in Loop: Header=BB4_4898 Depth=3
	s_or_b32 exec_lo, exec_lo, s22
	v_mul_f32_e32 v91, v93, v91
	v_and_b32_e32 v90, 0x7f800000, v91
	v_cmp_ne_u32_e32 vcc_lo, 0x7f800000, v90
	v_mov_b32_e32 v90, 0x80
	s_and_saveexec_b32 s22, vcc_lo
	s_cbranch_execz .LBB4_5078
; %bb.5071:                             ;   in Loop: Header=BB4_4898 Depth=3
	v_mov_b32_e32 v90, 0
	s_mov_b32 s23, exec_lo
	v_cmpx_ne_u32_e32 0, v91
	s_cbranch_execz .LBB4_5077
; %bb.5072:                             ;   in Loop: Header=BB4_4898 Depth=3
	v_bfe_u32 v90, v91, 23, 8
	v_and_b32_e32 v93, 0x7fffff, v91
	v_sub_nc_u32_e32 v94, 0x70, v90
	v_cmp_gt_u32_e32 vcc_lo, 0x71, v90
	v_or_b32_e32 v95, 0x800000, v93
	v_cndmask_b32_e32 v94, 0, v94, vcc_lo
	v_cmp_eq_u32_e32 vcc_lo, 0, v90
	v_add_nc_u32_e32 v90, 0xffffff91, v90
	v_cndmask_b32_e64 v94, v94, 0x6f, vcc_lo
	v_cndmask_b32_e32 v93, v95, v93, vcc_lo
	v_cndmask_b32_e64 v90, v90, 0xffffff92, vcc_lo
	v_lshl_add_u32 v95, 0x200000, v94, -1
	v_lshrrev_b32_e32 v104, v94, v93
	v_lshlrev_b32_e64 v106, v94, 0x100000
	v_add_nc_u32_e32 v94, v94, v90
	v_and_b32_e32 v93, v95, v93
	v_bfe_u32 v105, v104, 21, 1
	v_cmp_eq_u32_e64 s16, v93, v106
	v_add_nc_u32_e32 v95, -1, v105
	v_cndmask_b32_e64 v93, 0, v95, s16
	v_lshrrev_b32_e32 v95, 23, v104
	s_mov_b32 s16, exec_lo
	v_add_nc_u32_e32 v93, v93, v104
	v_xor_b32_e32 v95, 1, v95
	v_and_b32_e32 v90, 0x1fffff, v93
	v_add_nc_u32_e32 v93, v90, v104
                                        ; implicit-def: $vgpr90
	v_cmpx_ne_u32_e64 v94, v95
	s_xor_b32 s16, exec_lo, s16
; %bb.5073:                             ;   in Loop: Header=BB4_4898 Depth=3
	v_cmp_lt_u32_e32 vcc_lo, 0xffffff, v93
	v_sub_nc_u32_e32 v90, v94, v95
	v_cndmask_b32_e64 v94, 0, 1, vcc_lo
	v_add_co_ci_u32_e64 v90, null, 0, v90, vcc_lo
	v_lshrrev_b32_e32 v93, v94, v93
; %bb.5074:                             ;   in Loop: Header=BB4_4898 Depth=3
	s_andn2_saveexec_b32 s16, s16
; %bb.5075:                             ;   in Loop: Header=BB4_4898 Depth=3
	v_bfe_u32 v90, v93, 23, 1
; %bb.5076:                             ;   in Loop: Header=BB4_4898 Depth=3
	s_or_b32 exec_lo, exec_lo, s16
	v_lshrrev_b32_e32 v93, 21, v93
	v_cmp_gt_i32_e32 vcc_lo, 32, v90
	v_min_i32_e32 v94, 31, v90
	v_and_b32_sdwa v91, v91, v116 dst_sel:DWORD dst_unused:UNUSED_PAD src0_sel:BYTE_3 src1_sel:DWORD
	v_cndmask_b32_e32 v93, 3, v93, vcc_lo
	v_lshlrev_b32_e32 v94, 2, v94
	v_and_b32_e32 v95, 3, v93
	v_or_b32_e32 v90, v90, v93
	v_or3_b32 v91, v94, v91, v95
	v_cmp_ne_u32_e32 vcc_lo, 0, v90
	v_cndmask_b32_e32 v90, 0, v91, vcc_lo
.LBB4_5077:                             ;   in Loop: Header=BB4_4898 Depth=3
	s_or_b32 exec_lo, exec_lo, s23
.LBB4_5078:                             ;   in Loop: Header=BB4_4898 Depth=3
	s_or_b32 exec_lo, exec_lo, s22
	v_cmp_gt_i16_sdwa s22, v88, v115 src0_sel:BYTE_0 src1_sel:DWORD
	s_mov_b32 s16, 0
	s_and_saveexec_b32 s23, s22
	s_xor_b32 s22, exec_lo, s23
	s_cbranch_execz .LBB4_5252
; %bb.5079:                             ;   in Loop: Header=BB4_4898 Depth=3
	v_cmp_eq_u16_sdwa s72, v88, v116 src0_sel:BYTE_0 src1_sel:DWORD
	s_mov_b32 s16, -1
	s_and_saveexec_b32 s23, s72
; %bb.5080:                             ;   in Loop: Header=BB4_4898 Depth=3
	s_xor_b32 s16, exec_lo, -1
; %bb.5081:                             ;   in Loop: Header=BB4_4898 Depth=3
	s_or_b32 exec_lo, exec_lo, s23
	s_and_b32 s16, s16, exec_lo
	s_or_saveexec_b32 s22, s22
	v_mov_b32_e32 v91, 0x7f800001
	s_xor_b32 exec_lo, exec_lo, s22
	s_cbranch_execnz .LBB4_5253
.LBB4_5082:                             ;   in Loop: Header=BB4_4898 Depth=3
	s_or_b32 exec_lo, exec_lo, s22
	s_and_saveexec_b32 s22, s16
	s_cbranch_execz .LBB4_5084
.LBB4_5083:                             ;   in Loop: Header=BB4_4898 Depth=3
	v_and_b32_e32 v91, 3, v88
	v_lshrrev_b16 v94, 2, v88
	v_ffbh_u32_e32 v93, v91
	v_and_b32_e32 v94, 31, v94
	v_min_u32_e32 v93, 32, v93
	v_cmp_eq_u32_e32 vcc_lo, 0, v94
	v_subrev_nc_u32_e32 v95, 29, v93
	v_sub_nc_u32_e32 v93, 30, v93
	v_lshlrev_b32_e32 v95, v95, v88
	v_lshlrev_b32_e32 v88, 24, v88
	v_cndmask_b32_e32 v93, v94, v93, vcc_lo
	v_and_b32_e32 v95, 3, v95
	v_and_b32_e32 v88, 0x80000000, v88
	v_lshl_add_u32 v93, v93, 23, 0x37800000
	v_cndmask_b32_e32 v91, v91, v95, vcc_lo
	v_lshlrev_b32_e32 v91, 21, v91
	v_or3_b32 v91, v88, v93, v91
.LBB4_5084:                             ;   in Loop: Header=BB4_4898 Depth=3
	s_or_b32 exec_lo, exec_lo, s22
	s_waitcnt vmcnt(6) lgkmcnt(6)
	v_cmp_gt_i16_sdwa s22, v99, v115 src0_sel:BYTE_0 src1_sel:DWORD
	s_mov_b32 s16, 0
	s_and_saveexec_b32 s23, s22
	s_xor_b32 s22, exec_lo, s23
	s_cbranch_execz .LBB4_5254
; %bb.5085:                             ;   in Loop: Header=BB4_4898 Depth=3
	v_cmp_eq_u16_sdwa s72, v99, v116 src0_sel:BYTE_0 src1_sel:DWORD
	s_mov_b32 s16, -1
	s_and_saveexec_b32 s23, s72
; %bb.5086:                             ;   in Loop: Header=BB4_4898 Depth=3
	s_xor_b32 s16, exec_lo, -1
; %bb.5087:                             ;   in Loop: Header=BB4_4898 Depth=3
	s_or_b32 exec_lo, exec_lo, s23
	s_and_b32 s16, s16, exec_lo
	s_or_saveexec_b32 s22, s22
	v_mov_b32_e32 v88, 0x7f800001
	s_xor_b32 exec_lo, exec_lo, s22
	s_cbranch_execnz .LBB4_5255
.LBB4_5088:                             ;   in Loop: Header=BB4_4898 Depth=3
	s_or_b32 exec_lo, exec_lo, s22
	s_and_saveexec_b32 s22, s16
	s_cbranch_execz .LBB4_5090
.LBB4_5089:                             ;   in Loop: Header=BB4_4898 Depth=3
	v_and_b32_e32 v88, 3, v99
	v_lshrrev_b16 v94, 2, v99
	v_ffbh_u32_e32 v93, v88
	v_and_b32_e32 v94, 31, v94
	v_min_u32_e32 v93, 32, v93
	v_cmp_eq_u32_e32 vcc_lo, 0, v94
	v_subrev_nc_u32_e32 v95, 29, v93
	v_sub_nc_u32_e32 v93, 30, v93
	v_lshlrev_b32_e32 v95, v95, v99
	v_lshlrev_b32_e32 v99, 24, v99
	v_cndmask_b32_e32 v93, v94, v93, vcc_lo
	v_and_b32_e32 v95, 3, v95
	v_and_b32_e32 v99, 0x80000000, v99
	v_lshl_add_u32 v93, v93, 23, 0x37800000
	v_cndmask_b32_e32 v88, v88, v95, vcc_lo
	v_lshlrev_b32_e32 v88, 21, v88
	v_or3_b32 v88, v99, v93, v88
.LBB4_5090:                             ;   in Loop: Header=BB4_4898 Depth=3
	s_or_b32 exec_lo, exec_lo, s22
	v_mul_f32_e32 v88, v91, v88
	v_and_b32_e32 v99, 0x7f800000, v88
	v_cmp_ne_u32_e32 vcc_lo, 0x7f800000, v99
	v_mov_b32_e32 v99, 0x80
	s_and_saveexec_b32 s22, vcc_lo
	s_cbranch_execz .LBB4_5098
; %bb.5091:                             ;   in Loop: Header=BB4_4898 Depth=3
	v_mov_b32_e32 v99, 0
	s_mov_b32 s23, exec_lo
	v_cmpx_ne_u32_e32 0, v88
	s_cbranch_execz .LBB4_5097
; %bb.5092:                             ;   in Loop: Header=BB4_4898 Depth=3
	v_bfe_u32 v99, v88, 23, 8
	v_and_b32_e32 v91, 0x7fffff, v88
	v_sub_nc_u32_e32 v93, 0x70, v99
	v_cmp_gt_u32_e32 vcc_lo, 0x71, v99
	v_or_b32_e32 v94, 0x800000, v91
	v_cndmask_b32_e32 v93, 0, v93, vcc_lo
	v_cmp_eq_u32_e32 vcc_lo, 0, v99
	v_add_nc_u32_e32 v99, 0xffffff91, v99
	v_cndmask_b32_e64 v93, v93, 0x6f, vcc_lo
	v_cndmask_b32_e32 v91, v94, v91, vcc_lo
	v_cndmask_b32_e64 v99, v99, 0xffffff92, vcc_lo
	v_lshl_add_u32 v94, 0x200000, v93, -1
	v_lshrrev_b32_e32 v95, v93, v91
	v_lshlrev_b32_e64 v105, v93, 0x100000
	v_add_nc_u32_e32 v93, v93, v99
	v_and_b32_e32 v91, v94, v91
	v_bfe_u32 v104, v95, 21, 1
	v_cmp_eq_u32_e64 s16, v91, v105
	v_add_nc_u32_e32 v94, -1, v104
	v_cndmask_b32_e64 v91, 0, v94, s16
	v_lshrrev_b32_e32 v94, 23, v95
	s_mov_b32 s16, exec_lo
	v_add_nc_u32_e32 v91, v91, v95
	v_xor_b32_e32 v94, 1, v94
	v_and_b32_e32 v99, 0x1fffff, v91
	v_add_nc_u32_e32 v91, v99, v95
                                        ; implicit-def: $vgpr99
	v_cmpx_ne_u32_e64 v93, v94
	s_xor_b32 s16, exec_lo, s16
; %bb.5093:                             ;   in Loop: Header=BB4_4898 Depth=3
	v_cmp_lt_u32_e32 vcc_lo, 0xffffff, v91
	v_sub_nc_u32_e32 v99, v93, v94
	v_cndmask_b32_e64 v93, 0, 1, vcc_lo
	v_add_co_ci_u32_e64 v99, null, 0, v99, vcc_lo
	v_lshrrev_b32_e32 v91, v93, v91
; %bb.5094:                             ;   in Loop: Header=BB4_4898 Depth=3
	s_andn2_saveexec_b32 s16, s16
; %bb.5095:                             ;   in Loop: Header=BB4_4898 Depth=3
	v_bfe_u32 v99, v91, 23, 1
; %bb.5096:                             ;   in Loop: Header=BB4_4898 Depth=3
	s_or_b32 exec_lo, exec_lo, s16
	v_lshrrev_b32_e32 v91, 21, v91
	v_cmp_gt_i32_e32 vcc_lo, 32, v99
	v_min_i32_e32 v93, 31, v99
	v_and_b32_sdwa v88, v88, v116 dst_sel:DWORD dst_unused:UNUSED_PAD src0_sel:BYTE_3 src1_sel:DWORD
	v_cndmask_b32_e32 v91, 3, v91, vcc_lo
	v_lshlrev_b32_e32 v93, 2, v93
	v_and_b32_e32 v94, 3, v91
	v_or_b32_e32 v99, v99, v91
	v_or3_b32 v88, v93, v88, v94
	v_cmp_ne_u32_e32 vcc_lo, 0, v99
	v_cndmask_b32_e32 v99, 0, v88, vcc_lo
.LBB4_5097:                             ;   in Loop: Header=BB4_4898 Depth=3
	s_or_b32 exec_lo, exec_lo, s23
.LBB4_5098:                             ;   in Loop: Header=BB4_4898 Depth=3
	s_or_b32 exec_lo, exec_lo, s22
	v_cmp_gt_i16_sdwa s22, v97, v115 src0_sel:BYTE_0 src1_sel:DWORD
	s_mov_b32 s16, 0
	s_and_saveexec_b32 s23, s22
	s_xor_b32 s22, exec_lo, s23
	s_cbranch_execz .LBB4_5256
; %bb.5099:                             ;   in Loop: Header=BB4_4898 Depth=3
	v_cmp_eq_u16_sdwa s72, v97, v116 src0_sel:BYTE_0 src1_sel:DWORD
	s_mov_b32 s16, -1
	s_and_saveexec_b32 s23, s72
; %bb.5100:                             ;   in Loop: Header=BB4_4898 Depth=3
	s_xor_b32 s16, exec_lo, -1
; %bb.5101:                             ;   in Loop: Header=BB4_4898 Depth=3
	s_or_b32 exec_lo, exec_lo, s23
	s_and_b32 s16, s16, exec_lo
	s_or_saveexec_b32 s22, s22
	v_mov_b32_e32 v88, 0x7f800001
	s_xor_b32 exec_lo, exec_lo, s22
	s_cbranch_execnz .LBB4_5257
.LBB4_5102:                             ;   in Loop: Header=BB4_4898 Depth=3
	s_or_b32 exec_lo, exec_lo, s22
	s_and_saveexec_b32 s22, s16
	s_cbranch_execz .LBB4_5104
.LBB4_5103:                             ;   in Loop: Header=BB4_4898 Depth=3
	v_and_b32_e32 v88, 3, v97
	v_lshrrev_b16 v93, 2, v97
	v_ffbh_u32_e32 v91, v88
	v_and_b32_e32 v93, 31, v93
	v_min_u32_e32 v91, 32, v91
	v_cmp_eq_u32_e32 vcc_lo, 0, v93
	v_subrev_nc_u32_e32 v94, 29, v91
	v_sub_nc_u32_e32 v91, 30, v91
	v_lshlrev_b32_e32 v94, v94, v97
	v_lshlrev_b32_e32 v97, 24, v97
	v_cndmask_b32_e32 v91, v93, v91, vcc_lo
	v_and_b32_e32 v94, 3, v94
	v_and_b32_e32 v97, 0x80000000, v97
	v_lshl_add_u32 v91, v91, 23, 0x37800000
	v_cndmask_b32_e32 v88, v88, v94, vcc_lo
	v_lshlrev_b32_e32 v88, 21, v88
	v_or3_b32 v88, v97, v91, v88
.LBB4_5104:                             ;   in Loop: Header=BB4_4898 Depth=3
	s_or_b32 exec_lo, exec_lo, s22
	s_waitcnt vmcnt(5) lgkmcnt(5)
	v_cmp_gt_i16_sdwa s22, v96, v115 src0_sel:BYTE_0 src1_sel:DWORD
	s_mov_b32 s16, 0
	s_and_saveexec_b32 s23, s22
	s_xor_b32 s22, exec_lo, s23
	s_cbranch_execz .LBB4_5258
; %bb.5105:                             ;   in Loop: Header=BB4_4898 Depth=3
	v_cmp_eq_u16_sdwa s72, v96, v116 src0_sel:BYTE_0 src1_sel:DWORD
	s_mov_b32 s16, -1
	s_and_saveexec_b32 s23, s72
; %bb.5106:                             ;   in Loop: Header=BB4_4898 Depth=3
	s_xor_b32 s16, exec_lo, -1
; %bb.5107:                             ;   in Loop: Header=BB4_4898 Depth=3
	s_or_b32 exec_lo, exec_lo, s23
	s_and_b32 s16, s16, exec_lo
	s_or_saveexec_b32 s22, s22
	v_mov_b32_e32 v97, 0x7f800001
	s_xor_b32 exec_lo, exec_lo, s22
	s_cbranch_execnz .LBB4_5259
.LBB4_5108:                             ;   in Loop: Header=BB4_4898 Depth=3
	s_or_b32 exec_lo, exec_lo, s22
	s_and_saveexec_b32 s22, s16
	s_cbranch_execz .LBB4_5110
.LBB4_5109:                             ;   in Loop: Header=BB4_4898 Depth=3
	v_and_b32_e32 v97, 3, v96
	v_lshrrev_b16 v93, 2, v96
	v_ffbh_u32_e32 v91, v97
	v_and_b32_e32 v93, 31, v93
	v_min_u32_e32 v91, 32, v91
	v_cmp_eq_u32_e32 vcc_lo, 0, v93
	v_subrev_nc_u32_e32 v94, 29, v91
	v_sub_nc_u32_e32 v91, 30, v91
	v_lshlrev_b32_e32 v94, v94, v96
	v_lshlrev_b32_e32 v96, 24, v96
	v_cndmask_b32_e32 v91, v93, v91, vcc_lo
	v_and_b32_e32 v94, 3, v94
	v_and_b32_e32 v96, 0x80000000, v96
	v_lshl_add_u32 v91, v91, 23, 0x37800000
	v_cndmask_b32_e32 v97, v97, v94, vcc_lo
	v_lshlrev_b32_e32 v97, 21, v97
	v_or3_b32 v97, v96, v91, v97
.LBB4_5110:                             ;   in Loop: Header=BB4_4898 Depth=3
	s_or_b32 exec_lo, exec_lo, s22
	v_mul_f32_e32 v97, v88, v97
	v_and_b32_e32 v96, 0x7f800000, v97
	v_cmp_ne_u32_e32 vcc_lo, 0x7f800000, v96
	v_mov_b32_e32 v96, 0x80
	s_and_saveexec_b32 s22, vcc_lo
	s_cbranch_execz .LBB4_5118
; %bb.5111:                             ;   in Loop: Header=BB4_4898 Depth=3
	v_mov_b32_e32 v96, 0
	s_mov_b32 s23, exec_lo
	v_cmpx_ne_u32_e32 0, v97
	s_cbranch_execz .LBB4_5117
; %bb.5112:                             ;   in Loop: Header=BB4_4898 Depth=3
	v_bfe_u32 v96, v97, 23, 8
	v_and_b32_e32 v88, 0x7fffff, v97
	v_sub_nc_u32_e32 v91, 0x70, v96
	v_cmp_gt_u32_e32 vcc_lo, 0x71, v96
	v_or_b32_e32 v93, 0x800000, v88
	v_cndmask_b32_e32 v91, 0, v91, vcc_lo
	v_cmp_eq_u32_e32 vcc_lo, 0, v96
	v_add_nc_u32_e32 v96, 0xffffff91, v96
	v_cndmask_b32_e64 v91, v91, 0x6f, vcc_lo
	v_cndmask_b32_e32 v88, v93, v88, vcc_lo
	v_cndmask_b32_e64 v96, v96, 0xffffff92, vcc_lo
	v_lshl_add_u32 v93, 0x200000, v91, -1
	v_lshrrev_b32_e32 v94, v91, v88
	v_lshlrev_b32_e64 v104, v91, 0x100000
	v_add_nc_u32_e32 v91, v91, v96
	v_and_b32_e32 v88, v93, v88
	v_bfe_u32 v95, v94, 21, 1
	v_cmp_eq_u32_e64 s16, v88, v104
	v_add_nc_u32_e32 v93, -1, v95
	v_cndmask_b32_e64 v88, 0, v93, s16
	v_lshrrev_b32_e32 v93, 23, v94
	s_mov_b32 s16, exec_lo
	v_add_nc_u32_e32 v88, v88, v94
	v_xor_b32_e32 v93, 1, v93
	v_and_b32_e32 v96, 0x1fffff, v88
	v_add_nc_u32_e32 v88, v96, v94
                                        ; implicit-def: $vgpr96
	v_cmpx_ne_u32_e64 v91, v93
	s_xor_b32 s16, exec_lo, s16
; %bb.5113:                             ;   in Loop: Header=BB4_4898 Depth=3
	v_cmp_lt_u32_e32 vcc_lo, 0xffffff, v88
	v_sub_nc_u32_e32 v96, v91, v93
	v_cndmask_b32_e64 v91, 0, 1, vcc_lo
	v_add_co_ci_u32_e64 v96, null, 0, v96, vcc_lo
	v_lshrrev_b32_e32 v88, v91, v88
; %bb.5114:                             ;   in Loop: Header=BB4_4898 Depth=3
	s_andn2_saveexec_b32 s16, s16
; %bb.5115:                             ;   in Loop: Header=BB4_4898 Depth=3
	v_bfe_u32 v96, v88, 23, 1
; %bb.5116:                             ;   in Loop: Header=BB4_4898 Depth=3
	s_or_b32 exec_lo, exec_lo, s16
	v_lshrrev_b32_e32 v88, 21, v88
	v_cmp_gt_i32_e32 vcc_lo, 32, v96
	v_min_i32_e32 v91, 31, v96
	v_and_b32_sdwa v97, v97, v116 dst_sel:DWORD dst_unused:UNUSED_PAD src0_sel:BYTE_3 src1_sel:DWORD
	v_cndmask_b32_e32 v88, 3, v88, vcc_lo
	v_lshlrev_b32_e32 v91, 2, v91
	v_and_b32_e32 v93, 3, v88
	v_or_b32_e32 v96, v96, v88
	v_or3_b32 v97, v91, v97, v93
	v_cmp_ne_u32_e32 vcc_lo, 0, v96
	v_cndmask_b32_e32 v96, 0, v97, vcc_lo
.LBB4_5117:                             ;   in Loop: Header=BB4_4898 Depth=3
	s_or_b32 exec_lo, exec_lo, s23
.LBB4_5118:                             ;   in Loop: Header=BB4_4898 Depth=3
	s_or_b32 exec_lo, exec_lo, s22
	v_cmp_gt_i16_sdwa s22, v86, v115 src0_sel:BYTE_0 src1_sel:DWORD
	s_mov_b32 s16, 0
	s_and_saveexec_b32 s23, s22
	s_xor_b32 s22, exec_lo, s23
	s_cbranch_execz .LBB4_5260
; %bb.5119:                             ;   in Loop: Header=BB4_4898 Depth=3
	v_cmp_eq_u16_sdwa s72, v86, v116 src0_sel:BYTE_0 src1_sel:DWORD
	s_mov_b32 s16, -1
	s_and_saveexec_b32 s23, s72
; %bb.5120:                             ;   in Loop: Header=BB4_4898 Depth=3
	s_xor_b32 s16, exec_lo, -1
; %bb.5121:                             ;   in Loop: Header=BB4_4898 Depth=3
	s_or_b32 exec_lo, exec_lo, s23
	s_and_b32 s16, s16, exec_lo
	s_or_saveexec_b32 s22, s22
	v_mov_b32_e32 v97, 0x7f800001
	s_xor_b32 exec_lo, exec_lo, s22
	s_cbranch_execnz .LBB4_5261
.LBB4_5122:                             ;   in Loop: Header=BB4_4898 Depth=3
	s_or_b32 exec_lo, exec_lo, s22
	s_and_saveexec_b32 s22, s16
	s_cbranch_execz .LBB4_5124
.LBB4_5123:                             ;   in Loop: Header=BB4_4898 Depth=3
	v_and_b32_e32 v97, 3, v86
	v_lshrrev_b16 v91, 2, v86
	v_ffbh_u32_e32 v88, v97
	v_and_b32_e32 v91, 31, v91
	v_min_u32_e32 v88, 32, v88
	v_cmp_eq_u32_e32 vcc_lo, 0, v91
	v_subrev_nc_u32_e32 v93, 29, v88
	v_sub_nc_u32_e32 v88, 30, v88
	v_lshlrev_b32_e32 v93, v93, v86
	v_lshlrev_b32_e32 v86, 24, v86
	v_cndmask_b32_e32 v88, v91, v88, vcc_lo
	v_and_b32_e32 v93, 3, v93
	v_and_b32_e32 v86, 0x80000000, v86
	v_lshl_add_u32 v88, v88, 23, 0x37800000
	v_cndmask_b32_e32 v97, v97, v93, vcc_lo
	v_lshlrev_b32_e32 v97, 21, v97
	v_or3_b32 v97, v86, v88, v97
.LBB4_5124:                             ;   in Loop: Header=BB4_4898 Depth=3
	s_or_b32 exec_lo, exec_lo, s22
	s_waitcnt vmcnt(4) lgkmcnt(4)
	v_cmp_gt_i16_sdwa s22, v85, v115 src0_sel:BYTE_0 src1_sel:DWORD
	s_mov_b32 s16, 0
	s_and_saveexec_b32 s23, s22
	s_xor_b32 s22, exec_lo, s23
	s_cbranch_execz .LBB4_5262
; %bb.5125:                             ;   in Loop: Header=BB4_4898 Depth=3
	v_cmp_eq_u16_sdwa s72, v85, v116 src0_sel:BYTE_0 src1_sel:DWORD
	s_mov_b32 s16, -1
	s_and_saveexec_b32 s23, s72
; %bb.5126:                             ;   in Loop: Header=BB4_4898 Depth=3
	s_xor_b32 s16, exec_lo, -1
; %bb.5127:                             ;   in Loop: Header=BB4_4898 Depth=3
	s_or_b32 exec_lo, exec_lo, s23
	s_and_b32 s16, s16, exec_lo
	s_or_saveexec_b32 s22, s22
	v_mov_b32_e32 v86, 0x7f800001
	s_xor_b32 exec_lo, exec_lo, s22
	s_cbranch_execnz .LBB4_5263
.LBB4_5128:                             ;   in Loop: Header=BB4_4898 Depth=3
	s_or_b32 exec_lo, exec_lo, s22
	s_and_saveexec_b32 s22, s16
	s_cbranch_execz .LBB4_5130
.LBB4_5129:                             ;   in Loop: Header=BB4_4898 Depth=3
	v_and_b32_e32 v86, 3, v85
	v_lshrrev_b16 v91, 2, v85
	v_ffbh_u32_e32 v88, v86
	v_and_b32_e32 v91, 31, v91
	v_min_u32_e32 v88, 32, v88
	v_cmp_eq_u32_e32 vcc_lo, 0, v91
	v_subrev_nc_u32_e32 v93, 29, v88
	v_sub_nc_u32_e32 v88, 30, v88
	v_lshlrev_b32_e32 v93, v93, v85
	v_lshlrev_b32_e32 v85, 24, v85
	v_cndmask_b32_e32 v88, v91, v88, vcc_lo
	v_and_b32_e32 v93, 3, v93
	v_and_b32_e32 v85, 0x80000000, v85
	v_lshl_add_u32 v88, v88, 23, 0x37800000
	v_cndmask_b32_e32 v86, v86, v93, vcc_lo
	v_lshlrev_b32_e32 v86, 21, v86
	v_or3_b32 v86, v85, v88, v86
.LBB4_5130:                             ;   in Loop: Header=BB4_4898 Depth=3
	s_or_b32 exec_lo, exec_lo, s22
	v_mul_f32_e32 v86, v97, v86
	v_and_b32_e32 v85, 0x7f800000, v86
	v_cmp_ne_u32_e32 vcc_lo, 0x7f800000, v85
	v_mov_b32_e32 v85, 0x80
	s_and_saveexec_b32 s22, vcc_lo
	s_cbranch_execz .LBB4_5138
; %bb.5131:                             ;   in Loop: Header=BB4_4898 Depth=3
	v_mov_b32_e32 v85, 0
	s_mov_b32 s23, exec_lo
	v_cmpx_ne_u32_e32 0, v86
	s_cbranch_execz .LBB4_5137
; %bb.5132:                             ;   in Loop: Header=BB4_4898 Depth=3
	v_bfe_u32 v85, v86, 23, 8
	v_and_b32_e32 v97, 0x7fffff, v86
	v_sub_nc_u32_e32 v88, 0x70, v85
	v_cmp_gt_u32_e32 vcc_lo, 0x71, v85
	v_or_b32_e32 v91, 0x800000, v97
	v_cndmask_b32_e32 v88, 0, v88, vcc_lo
	v_cmp_eq_u32_e32 vcc_lo, 0, v85
	v_add_nc_u32_e32 v85, 0xffffff91, v85
	v_cndmask_b32_e64 v88, v88, 0x6f, vcc_lo
	v_cndmask_b32_e32 v97, v91, v97, vcc_lo
	v_cndmask_b32_e64 v85, v85, 0xffffff92, vcc_lo
	v_lshl_add_u32 v91, 0x200000, v88, -1
	v_lshrrev_b32_e32 v93, v88, v97
	v_lshlrev_b32_e64 v95, v88, 0x100000
	v_add_nc_u32_e32 v88, v88, v85
	v_and_b32_e32 v97, v91, v97
	v_bfe_u32 v94, v93, 21, 1
	v_cmp_eq_u32_e64 s16, v97, v95
	v_add_nc_u32_e32 v91, -1, v94
	v_cndmask_b32_e64 v97, 0, v91, s16
	v_lshrrev_b32_e32 v91, 23, v93
	s_mov_b32 s16, exec_lo
	v_add_nc_u32_e32 v97, v97, v93
	v_xor_b32_e32 v91, 1, v91
	v_and_b32_e32 v85, 0x1fffff, v97
	v_add_nc_u32_e32 v97, v85, v93
                                        ; implicit-def: $vgpr85
	v_cmpx_ne_u32_e64 v88, v91
	s_xor_b32 s16, exec_lo, s16
; %bb.5133:                             ;   in Loop: Header=BB4_4898 Depth=3
	v_cmp_lt_u32_e32 vcc_lo, 0xffffff, v97
	v_sub_nc_u32_e32 v85, v88, v91
	v_cndmask_b32_e64 v88, 0, 1, vcc_lo
	v_add_co_ci_u32_e64 v85, null, 0, v85, vcc_lo
	v_lshrrev_b32_e32 v97, v88, v97
; %bb.5134:                             ;   in Loop: Header=BB4_4898 Depth=3
	s_andn2_saveexec_b32 s16, s16
; %bb.5135:                             ;   in Loop: Header=BB4_4898 Depth=3
	v_bfe_u32 v85, v97, 23, 1
; %bb.5136:                             ;   in Loop: Header=BB4_4898 Depth=3
	s_or_b32 exec_lo, exec_lo, s16
	v_lshrrev_b32_e32 v97, 21, v97
	v_cmp_gt_i32_e32 vcc_lo, 32, v85
	v_min_i32_e32 v88, 31, v85
	v_and_b32_sdwa v86, v86, v116 dst_sel:DWORD dst_unused:UNUSED_PAD src0_sel:BYTE_3 src1_sel:DWORD
	v_cndmask_b32_e32 v97, 3, v97, vcc_lo
	v_lshlrev_b32_e32 v88, 2, v88
	v_and_b32_e32 v91, 3, v97
	v_or_b32_e32 v85, v85, v97
	v_or3_b32 v86, v88, v86, v91
	v_cmp_ne_u32_e32 vcc_lo, 0, v85
	v_cndmask_b32_e32 v85, 0, v86, vcc_lo
.LBB4_5137:                             ;   in Loop: Header=BB4_4898 Depth=3
	s_or_b32 exec_lo, exec_lo, s23
.LBB4_5138:                             ;   in Loop: Header=BB4_4898 Depth=3
	s_or_b32 exec_lo, exec_lo, s22
	v_cmp_gt_i16_sdwa s22, v83, v115 src0_sel:BYTE_0 src1_sel:DWORD
	s_mov_b32 s16, 0
	s_and_saveexec_b32 s23, s22
	s_xor_b32 s22, exec_lo, s23
	s_cbranch_execz .LBB4_5264
; %bb.5139:                             ;   in Loop: Header=BB4_4898 Depth=3
	v_cmp_eq_u16_sdwa s72, v83, v116 src0_sel:BYTE_0 src1_sel:DWORD
	s_mov_b32 s16, -1
	s_and_saveexec_b32 s23, s72
; %bb.5140:                             ;   in Loop: Header=BB4_4898 Depth=3
	s_xor_b32 s16, exec_lo, -1
; %bb.5141:                             ;   in Loop: Header=BB4_4898 Depth=3
	s_or_b32 exec_lo, exec_lo, s23
	s_and_b32 s16, s16, exec_lo
	s_or_saveexec_b32 s22, s22
	v_mov_b32_e32 v86, 0x7f800001
	s_xor_b32 exec_lo, exec_lo, s22
	s_cbranch_execnz .LBB4_5265
.LBB4_5142:                             ;   in Loop: Header=BB4_4898 Depth=3
	s_or_b32 exec_lo, exec_lo, s22
	s_and_saveexec_b32 s22, s16
	s_cbranch_execz .LBB4_5144
.LBB4_5143:                             ;   in Loop: Header=BB4_4898 Depth=3
	v_and_b32_e32 v86, 3, v83
	v_lshrrev_b16 v88, 2, v83
	v_ffbh_u32_e32 v97, v86
	v_and_b32_e32 v88, 31, v88
	v_min_u32_e32 v97, 32, v97
	v_cmp_eq_u32_e32 vcc_lo, 0, v88
	v_subrev_nc_u32_e32 v91, 29, v97
	v_sub_nc_u32_e32 v97, 30, v97
	v_lshlrev_b32_e32 v91, v91, v83
	v_lshlrev_b32_e32 v83, 24, v83
	v_cndmask_b32_e32 v97, v88, v97, vcc_lo
	v_and_b32_e32 v91, 3, v91
	v_and_b32_e32 v83, 0x80000000, v83
	v_lshl_add_u32 v97, v97, 23, 0x37800000
	v_cndmask_b32_e32 v86, v86, v91, vcc_lo
	v_lshlrev_b32_e32 v86, 21, v86
	v_or3_b32 v86, v83, v97, v86
.LBB4_5144:                             ;   in Loop: Header=BB4_4898 Depth=3
	s_or_b32 exec_lo, exec_lo, s22
	s_waitcnt vmcnt(3) lgkmcnt(3)
	v_cmp_gt_i16_sdwa s22, v82, v115 src0_sel:BYTE_0 src1_sel:DWORD
	s_mov_b32 s16, 0
	s_and_saveexec_b32 s23, s22
	s_xor_b32 s22, exec_lo, s23
	s_cbranch_execz .LBB4_5266
; %bb.5145:                             ;   in Loop: Header=BB4_4898 Depth=3
	v_cmp_eq_u16_sdwa s72, v82, v116 src0_sel:BYTE_0 src1_sel:DWORD
	s_mov_b32 s16, -1
	s_and_saveexec_b32 s23, s72
; %bb.5146:                             ;   in Loop: Header=BB4_4898 Depth=3
	s_xor_b32 s16, exec_lo, -1
; %bb.5147:                             ;   in Loop: Header=BB4_4898 Depth=3
	s_or_b32 exec_lo, exec_lo, s23
	s_and_b32 s16, s16, exec_lo
	s_or_saveexec_b32 s22, s22
	v_mov_b32_e32 v83, 0x7f800001
	s_xor_b32 exec_lo, exec_lo, s22
	s_cbranch_execnz .LBB4_5267
.LBB4_5148:                             ;   in Loop: Header=BB4_4898 Depth=3
	s_or_b32 exec_lo, exec_lo, s22
	s_and_saveexec_b32 s22, s16
	s_cbranch_execz .LBB4_5150
.LBB4_5149:                             ;   in Loop: Header=BB4_4898 Depth=3
	v_and_b32_e32 v83, 3, v82
	v_lshrrev_b16 v88, 2, v82
	v_ffbh_u32_e32 v97, v83
	v_and_b32_e32 v88, 31, v88
	v_min_u32_e32 v97, 32, v97
	v_cmp_eq_u32_e32 vcc_lo, 0, v88
	v_subrev_nc_u32_e32 v91, 29, v97
	v_sub_nc_u32_e32 v97, 30, v97
	v_lshlrev_b32_e32 v91, v91, v82
	v_lshlrev_b32_e32 v82, 24, v82
	v_cndmask_b32_e32 v97, v88, v97, vcc_lo
	v_and_b32_e32 v91, 3, v91
	v_and_b32_e32 v82, 0x80000000, v82
	v_lshl_add_u32 v97, v97, 23, 0x37800000
	v_cndmask_b32_e32 v83, v83, v91, vcc_lo
	v_lshlrev_b32_e32 v83, 21, v83
	v_or3_b32 v83, v82, v97, v83
.LBB4_5150:                             ;   in Loop: Header=BB4_4898 Depth=3
	s_or_b32 exec_lo, exec_lo, s22
	v_mul_f32_e32 v83, v86, v83
	v_and_b32_e32 v82, 0x7f800000, v83
	v_cmp_ne_u32_e32 vcc_lo, 0x7f800000, v82
	v_mov_b32_e32 v82, 0x80
	s_and_saveexec_b32 s22, vcc_lo
	s_cbranch_execz .LBB4_5158
; %bb.5151:                             ;   in Loop: Header=BB4_4898 Depth=3
	v_mov_b32_e32 v82, 0
	s_mov_b32 s23, exec_lo
	v_cmpx_ne_u32_e32 0, v83
	s_cbranch_execz .LBB4_5157
; %bb.5152:                             ;   in Loop: Header=BB4_4898 Depth=3
	v_bfe_u32 v82, v83, 23, 8
	v_and_b32_e32 v86, 0x7fffff, v83
	v_sub_nc_u32_e32 v97, 0x70, v82
	v_cmp_gt_u32_e32 vcc_lo, 0x71, v82
	v_or_b32_e32 v88, 0x800000, v86
	v_cndmask_b32_e32 v97, 0, v97, vcc_lo
	v_cmp_eq_u32_e32 vcc_lo, 0, v82
	v_add_nc_u32_e32 v82, 0xffffff91, v82
	v_cndmask_b32_e64 v97, v97, 0x6f, vcc_lo
	v_cndmask_b32_e32 v86, v88, v86, vcc_lo
	v_cndmask_b32_e64 v82, v82, 0xffffff92, vcc_lo
	v_lshl_add_u32 v88, 0x200000, v97, -1
	v_lshrrev_b32_e32 v91, v97, v86
	v_lshlrev_b32_e64 v94, v97, 0x100000
	v_add_nc_u32_e32 v97, v97, v82
	v_and_b32_e32 v86, v88, v86
	v_bfe_u32 v93, v91, 21, 1
	v_cmp_eq_u32_e64 s16, v86, v94
	v_add_nc_u32_e32 v88, -1, v93
	v_cndmask_b32_e64 v86, 0, v88, s16
	v_lshrrev_b32_e32 v88, 23, v91
	s_mov_b32 s16, exec_lo
	v_add_nc_u32_e32 v86, v86, v91
	v_xor_b32_e32 v88, 1, v88
	v_and_b32_e32 v82, 0x1fffff, v86
	v_add_nc_u32_e32 v86, v82, v91
                                        ; implicit-def: $vgpr82
	v_cmpx_ne_u32_e64 v97, v88
	s_xor_b32 s16, exec_lo, s16
; %bb.5153:                             ;   in Loop: Header=BB4_4898 Depth=3
	v_cmp_lt_u32_e32 vcc_lo, 0xffffff, v86
	v_sub_nc_u32_e32 v82, v97, v88
	v_cndmask_b32_e64 v97, 0, 1, vcc_lo
	v_add_co_ci_u32_e64 v82, null, 0, v82, vcc_lo
	v_lshrrev_b32_e32 v86, v97, v86
; %bb.5154:                             ;   in Loop: Header=BB4_4898 Depth=3
	s_andn2_saveexec_b32 s16, s16
; %bb.5155:                             ;   in Loop: Header=BB4_4898 Depth=3
	v_bfe_u32 v82, v86, 23, 1
; %bb.5156:                             ;   in Loop: Header=BB4_4898 Depth=3
	s_or_b32 exec_lo, exec_lo, s16
	v_lshrrev_b32_e32 v86, 21, v86
	v_cmp_gt_i32_e32 vcc_lo, 32, v82
	v_min_i32_e32 v97, 31, v82
	v_and_b32_sdwa v83, v83, v116 dst_sel:DWORD dst_unused:UNUSED_PAD src0_sel:BYTE_3 src1_sel:DWORD
	v_cndmask_b32_e32 v86, 3, v86, vcc_lo
	v_lshlrev_b32_e32 v97, 2, v97
	v_and_b32_e32 v88, 3, v86
	v_or_b32_e32 v82, v82, v86
	v_or3_b32 v83, v97, v83, v88
	v_cmp_ne_u32_e32 vcc_lo, 0, v82
	v_cndmask_b32_e32 v82, 0, v83, vcc_lo
.LBB4_5157:                             ;   in Loop: Header=BB4_4898 Depth=3
	s_or_b32 exec_lo, exec_lo, s23
.LBB4_5158:                             ;   in Loop: Header=BB4_4898 Depth=3
	s_or_b32 exec_lo, exec_lo, s22
	v_cmp_gt_i16_sdwa s22, v80, v115 src0_sel:BYTE_0 src1_sel:DWORD
	s_mov_b32 s16, 0
	s_and_saveexec_b32 s23, s22
	s_xor_b32 s22, exec_lo, s23
	s_cbranch_execz .LBB4_5268
; %bb.5159:                             ;   in Loop: Header=BB4_4898 Depth=3
	v_cmp_eq_u16_sdwa s72, v80, v116 src0_sel:BYTE_0 src1_sel:DWORD
	s_mov_b32 s16, -1
	s_and_saveexec_b32 s23, s72
; %bb.5160:                             ;   in Loop: Header=BB4_4898 Depth=3
	s_xor_b32 s16, exec_lo, -1
; %bb.5161:                             ;   in Loop: Header=BB4_4898 Depth=3
	s_or_b32 exec_lo, exec_lo, s23
	s_and_b32 s16, s16, exec_lo
	s_or_saveexec_b32 s22, s22
	v_mov_b32_e32 v83, 0x7f800001
	s_xor_b32 exec_lo, exec_lo, s22
	s_cbranch_execnz .LBB4_5269
.LBB4_5162:                             ;   in Loop: Header=BB4_4898 Depth=3
	s_or_b32 exec_lo, exec_lo, s22
	s_and_saveexec_b32 s22, s16
	s_cbranch_execz .LBB4_5164
.LBB4_5163:                             ;   in Loop: Header=BB4_4898 Depth=3
	v_and_b32_e32 v83, 3, v80
	v_lshrrev_b16 v97, 2, v80
	v_ffbh_u32_e32 v86, v83
	v_and_b32_e32 v97, 31, v97
	v_min_u32_e32 v86, 32, v86
	v_cmp_eq_u32_e32 vcc_lo, 0, v97
	v_subrev_nc_u32_e32 v88, 29, v86
	v_sub_nc_u32_e32 v86, 30, v86
	v_lshlrev_b32_e32 v88, v88, v80
	v_lshlrev_b32_e32 v80, 24, v80
	v_cndmask_b32_e32 v86, v97, v86, vcc_lo
	v_and_b32_e32 v88, 3, v88
	v_and_b32_e32 v80, 0x80000000, v80
	v_lshl_add_u32 v86, v86, 23, 0x37800000
	v_cndmask_b32_e32 v83, v83, v88, vcc_lo
	v_lshlrev_b32_e32 v83, 21, v83
	v_or3_b32 v83, v80, v86, v83
.LBB4_5164:                             ;   in Loop: Header=BB4_4898 Depth=3
	s_or_b32 exec_lo, exec_lo, s22
	s_waitcnt vmcnt(2) lgkmcnt(2)
	v_cmp_gt_i16_sdwa s22, v70, v115 src0_sel:BYTE_0 src1_sel:DWORD
	s_mov_b32 s16, 0
	s_and_saveexec_b32 s23, s22
	s_xor_b32 s22, exec_lo, s23
	s_cbranch_execz .LBB4_5270
; %bb.5165:                             ;   in Loop: Header=BB4_4898 Depth=3
	v_cmp_eq_u16_sdwa s72, v70, v116 src0_sel:BYTE_0 src1_sel:DWORD
	s_mov_b32 s16, -1
	s_and_saveexec_b32 s23, s72
; %bb.5166:                             ;   in Loop: Header=BB4_4898 Depth=3
	s_xor_b32 s16, exec_lo, -1
; %bb.5167:                             ;   in Loop: Header=BB4_4898 Depth=3
	s_or_b32 exec_lo, exec_lo, s23
	s_and_b32 s16, s16, exec_lo
	s_or_saveexec_b32 s22, s22
	v_mov_b32_e32 v80, 0x7f800001
	s_xor_b32 exec_lo, exec_lo, s22
	s_cbranch_execnz .LBB4_5271
.LBB4_5168:                             ;   in Loop: Header=BB4_4898 Depth=3
	s_or_b32 exec_lo, exec_lo, s22
	s_and_saveexec_b32 s22, s16
	s_cbranch_execz .LBB4_5170
.LBB4_5169:                             ;   in Loop: Header=BB4_4898 Depth=3
	v_and_b32_e32 v80, 3, v70
	v_lshrrev_b16 v97, 2, v70
	v_ffbh_u32_e32 v86, v80
	v_and_b32_e32 v97, 31, v97
	v_min_u32_e32 v86, 32, v86
	v_cmp_eq_u32_e32 vcc_lo, 0, v97
	v_subrev_nc_u32_e32 v88, 29, v86
	v_sub_nc_u32_e32 v86, 30, v86
	v_lshlrev_b32_e32 v88, v88, v70
	v_lshlrev_b32_e32 v70, 24, v70
	v_cndmask_b32_e32 v86, v97, v86, vcc_lo
	v_and_b32_e32 v88, 3, v88
	v_and_b32_e32 v70, 0x80000000, v70
	v_lshl_add_u32 v86, v86, 23, 0x37800000
	v_cndmask_b32_e32 v80, v80, v88, vcc_lo
	v_lshlrev_b32_e32 v80, 21, v80
	v_or3_b32 v80, v70, v86, v80
.LBB4_5170:                             ;   in Loop: Header=BB4_4898 Depth=3
	s_or_b32 exec_lo, exec_lo, s22
	v_mul_f32_e32 v80, v83, v80
	v_and_b32_e32 v70, 0x7f800000, v80
	v_cmp_ne_u32_e32 vcc_lo, 0x7f800000, v70
	v_mov_b32_e32 v70, 0x80
	s_and_saveexec_b32 s22, vcc_lo
	s_cbranch_execz .LBB4_5178
; %bb.5171:                             ;   in Loop: Header=BB4_4898 Depth=3
	v_mov_b32_e32 v70, 0
	s_mov_b32 s23, exec_lo
	v_cmpx_ne_u32_e32 0, v80
	s_cbranch_execz .LBB4_5177
; %bb.5172:                             ;   in Loop: Header=BB4_4898 Depth=3
	v_bfe_u32 v70, v80, 23, 8
	v_and_b32_e32 v83, 0x7fffff, v80
	v_sub_nc_u32_e32 v86, 0x70, v70
	v_cmp_gt_u32_e32 vcc_lo, 0x71, v70
	v_or_b32_e32 v97, 0x800000, v83
	v_cndmask_b32_e32 v86, 0, v86, vcc_lo
	v_cmp_eq_u32_e32 vcc_lo, 0, v70
	v_add_nc_u32_e32 v70, 0xffffff91, v70
	v_cndmask_b32_e64 v86, v86, 0x6f, vcc_lo
	v_cndmask_b32_e32 v83, v97, v83, vcc_lo
	v_cndmask_b32_e64 v70, v70, 0xffffff92, vcc_lo
	v_lshl_add_u32 v97, 0x200000, v86, -1
	v_lshrrev_b32_e32 v88, v86, v83
	v_lshlrev_b32_e64 v93, v86, 0x100000
	v_add_nc_u32_e32 v86, v86, v70
	v_and_b32_e32 v83, v97, v83
	v_bfe_u32 v91, v88, 21, 1
	v_cmp_eq_u32_e64 s16, v83, v93
	v_add_nc_u32_e32 v97, -1, v91
	v_cndmask_b32_e64 v83, 0, v97, s16
	v_lshrrev_b32_e32 v97, 23, v88
	s_mov_b32 s16, exec_lo
	v_add_nc_u32_e32 v83, v83, v88
	v_xor_b32_e32 v97, 1, v97
	v_and_b32_e32 v70, 0x1fffff, v83
	v_add_nc_u32_e32 v83, v70, v88
                                        ; implicit-def: $vgpr70
	v_cmpx_ne_u32_e64 v86, v97
	s_xor_b32 s16, exec_lo, s16
; %bb.5173:                             ;   in Loop: Header=BB4_4898 Depth=3
	v_cmp_lt_u32_e32 vcc_lo, 0xffffff, v83
	v_sub_nc_u32_e32 v70, v86, v97
	v_cndmask_b32_e64 v86, 0, 1, vcc_lo
	v_add_co_ci_u32_e64 v70, null, 0, v70, vcc_lo
	v_lshrrev_b32_e32 v83, v86, v83
; %bb.5174:                             ;   in Loop: Header=BB4_4898 Depth=3
	s_andn2_saveexec_b32 s16, s16
; %bb.5175:                             ;   in Loop: Header=BB4_4898 Depth=3
	v_bfe_u32 v70, v83, 23, 1
; %bb.5176:                             ;   in Loop: Header=BB4_4898 Depth=3
	s_or_b32 exec_lo, exec_lo, s16
	v_lshrrev_b32_e32 v83, 21, v83
	v_cmp_gt_i32_e32 vcc_lo, 32, v70
	v_min_i32_e32 v86, 31, v70
	v_and_b32_sdwa v80, v80, v116 dst_sel:DWORD dst_unused:UNUSED_PAD src0_sel:BYTE_3 src1_sel:DWORD
	v_cndmask_b32_e32 v83, 3, v83, vcc_lo
	v_lshlrev_b32_e32 v86, 2, v86
	v_and_b32_e32 v97, 3, v83
	v_or_b32_e32 v70, v70, v83
	v_or3_b32 v80, v86, v80, v97
	v_cmp_ne_u32_e32 vcc_lo, 0, v70
	v_cndmask_b32_e32 v70, 0, v80, vcc_lo
.LBB4_5177:                             ;   in Loop: Header=BB4_4898 Depth=3
	s_or_b32 exec_lo, exec_lo, s23
.LBB4_5178:                             ;   in Loop: Header=BB4_4898 Depth=3
	s_or_b32 exec_lo, exec_lo, s22
	v_cmp_gt_i16_sdwa s22, v23, v115 src0_sel:BYTE_0 src1_sel:DWORD
	s_mov_b32 s16, 0
	s_and_saveexec_b32 s23, s22
	s_xor_b32 s22, exec_lo, s23
	s_cbranch_execz .LBB4_5272
; %bb.5179:                             ;   in Loop: Header=BB4_4898 Depth=3
	v_cmp_eq_u16_sdwa s72, v23, v116 src0_sel:BYTE_0 src1_sel:DWORD
	s_mov_b32 s16, -1
	s_and_saveexec_b32 s23, s72
; %bb.5180:                             ;   in Loop: Header=BB4_4898 Depth=3
	s_xor_b32 s16, exec_lo, -1
; %bb.5181:                             ;   in Loop: Header=BB4_4898 Depth=3
	s_or_b32 exec_lo, exec_lo, s23
	s_and_b32 s16, s16, exec_lo
	s_or_saveexec_b32 s22, s22
	v_mov_b32_e32 v80, 0x7f800001
	s_xor_b32 exec_lo, exec_lo, s22
	s_cbranch_execnz .LBB4_5273
.LBB4_5182:                             ;   in Loop: Header=BB4_4898 Depth=3
	s_or_b32 exec_lo, exec_lo, s22
	s_and_saveexec_b32 s22, s16
	s_cbranch_execz .LBB4_5184
.LBB4_5183:                             ;   in Loop: Header=BB4_4898 Depth=3
	v_and_b32_e32 v80, 3, v23
	v_lshrrev_b16 v86, 2, v23
	v_ffbh_u32_e32 v83, v80
	v_and_b32_e32 v86, 31, v86
	v_min_u32_e32 v83, 32, v83
	v_cmp_eq_u32_e32 vcc_lo, 0, v86
	v_subrev_nc_u32_e32 v97, 29, v83
	v_sub_nc_u32_e32 v83, 30, v83
	v_lshlrev_b32_e32 v97, v97, v23
	v_lshlrev_b32_e32 v23, 24, v23
	v_cndmask_b32_e32 v83, v86, v83, vcc_lo
	v_and_b32_e32 v97, 3, v97
	v_and_b32_e32 v23, 0x80000000, v23
	v_lshl_add_u32 v83, v83, 23, 0x37800000
	v_cndmask_b32_e32 v80, v80, v97, vcc_lo
	v_lshlrev_b32_e32 v80, 21, v80
	v_or3_b32 v80, v23, v83, v80
.LBB4_5184:                             ;   in Loop: Header=BB4_4898 Depth=3
	s_or_b32 exec_lo, exec_lo, s22
	s_waitcnt vmcnt(1) lgkmcnt(1)
	v_cmp_gt_i16_sdwa s22, v22, v115 src0_sel:BYTE_0 src1_sel:DWORD
	s_mov_b32 s16, 0
	s_and_saveexec_b32 s23, s22
	s_xor_b32 s22, exec_lo, s23
	s_cbranch_execz .LBB4_5274
; %bb.5185:                             ;   in Loop: Header=BB4_4898 Depth=3
	v_cmp_eq_u16_sdwa s72, v22, v116 src0_sel:BYTE_0 src1_sel:DWORD
	s_mov_b32 s16, -1
	s_and_saveexec_b32 s23, s72
; %bb.5186:                             ;   in Loop: Header=BB4_4898 Depth=3
	s_xor_b32 s16, exec_lo, -1
; %bb.5187:                             ;   in Loop: Header=BB4_4898 Depth=3
	s_or_b32 exec_lo, exec_lo, s23
	s_and_b32 s16, s16, exec_lo
	s_or_saveexec_b32 s22, s22
	v_mov_b32_e32 v23, 0x7f800001
	s_xor_b32 exec_lo, exec_lo, s22
	s_cbranch_execnz .LBB4_5275
.LBB4_5188:                             ;   in Loop: Header=BB4_4898 Depth=3
	s_or_b32 exec_lo, exec_lo, s22
	s_and_saveexec_b32 s22, s16
	s_cbranch_execz .LBB4_5190
.LBB4_5189:                             ;   in Loop: Header=BB4_4898 Depth=3
	v_and_b32_e32 v23, 3, v22
	v_lshrrev_b16 v86, 2, v22
	v_ffbh_u32_e32 v83, v23
	v_and_b32_e32 v86, 31, v86
	v_min_u32_e32 v83, 32, v83
	v_cmp_eq_u32_e32 vcc_lo, 0, v86
	v_subrev_nc_u32_e32 v97, 29, v83
	v_sub_nc_u32_e32 v83, 30, v83
	v_lshlrev_b32_e32 v97, v97, v22
	v_lshlrev_b32_e32 v22, 24, v22
	v_cndmask_b32_e32 v83, v86, v83, vcc_lo
	v_and_b32_e32 v97, 3, v97
	v_and_b32_e32 v22, 0x80000000, v22
	v_lshl_add_u32 v83, v83, 23, 0x37800000
	v_cndmask_b32_e32 v23, v23, v97, vcc_lo
	v_lshlrev_b32_e32 v23, 21, v23
	v_or3_b32 v23, v22, v83, v23
.LBB4_5190:                             ;   in Loop: Header=BB4_4898 Depth=3
	s_or_b32 exec_lo, exec_lo, s22
	v_mul_f32_e32 v23, v80, v23
	v_and_b32_e32 v22, 0x7f800000, v23
	v_cmp_ne_u32_e32 vcc_lo, 0x7f800000, v22
	v_mov_b32_e32 v22, 0x80
	s_and_saveexec_b32 s22, vcc_lo
	s_cbranch_execz .LBB4_5198
; %bb.5191:                             ;   in Loop: Header=BB4_4898 Depth=3
	v_mov_b32_e32 v22, 0
	s_mov_b32 s23, exec_lo
	v_cmpx_ne_u32_e32 0, v23
	s_cbranch_execz .LBB4_5197
; %bb.5192:                             ;   in Loop: Header=BB4_4898 Depth=3
	v_bfe_u32 v22, v23, 23, 8
	v_and_b32_e32 v80, 0x7fffff, v23
	v_sub_nc_u32_e32 v83, 0x70, v22
	v_cmp_gt_u32_e32 vcc_lo, 0x71, v22
	v_or_b32_e32 v86, 0x800000, v80
	v_cndmask_b32_e32 v83, 0, v83, vcc_lo
	v_cmp_eq_u32_e32 vcc_lo, 0, v22
	v_add_nc_u32_e32 v22, 0xffffff91, v22
	v_cndmask_b32_e64 v83, v83, 0x6f, vcc_lo
	v_cndmask_b32_e32 v80, v86, v80, vcc_lo
	v_cndmask_b32_e64 v22, v22, 0xffffff92, vcc_lo
	v_lshl_add_u32 v86, 0x200000, v83, -1
	v_lshrrev_b32_e32 v97, v83, v80
	v_lshlrev_b32_e64 v91, v83, 0x100000
	v_add_nc_u32_e32 v83, v83, v22
	v_and_b32_e32 v80, v86, v80
	v_bfe_u32 v88, v97, 21, 1
	v_cmp_eq_u32_e64 s16, v80, v91
	v_add_nc_u32_e32 v86, -1, v88
	v_cndmask_b32_e64 v80, 0, v86, s16
	v_lshrrev_b32_e32 v86, 23, v97
	s_mov_b32 s16, exec_lo
	v_add_nc_u32_e32 v80, v80, v97
	v_xor_b32_e32 v86, 1, v86
	v_and_b32_e32 v22, 0x1fffff, v80
	v_add_nc_u32_e32 v80, v22, v97
                                        ; implicit-def: $vgpr22
	v_cmpx_ne_u32_e64 v83, v86
	s_xor_b32 s16, exec_lo, s16
; %bb.5193:                             ;   in Loop: Header=BB4_4898 Depth=3
	v_cmp_lt_u32_e32 vcc_lo, 0xffffff, v80
	v_sub_nc_u32_e32 v22, v83, v86
	v_cndmask_b32_e64 v83, 0, 1, vcc_lo
	v_add_co_ci_u32_e64 v22, null, 0, v22, vcc_lo
	v_lshrrev_b32_e32 v80, v83, v80
; %bb.5194:                             ;   in Loop: Header=BB4_4898 Depth=3
	s_andn2_saveexec_b32 s16, s16
; %bb.5195:                             ;   in Loop: Header=BB4_4898 Depth=3
	v_bfe_u32 v22, v80, 23, 1
; %bb.5196:                             ;   in Loop: Header=BB4_4898 Depth=3
	s_or_b32 exec_lo, exec_lo, s16
	v_lshrrev_b32_e32 v80, 21, v80
	v_cmp_gt_i32_e32 vcc_lo, 32, v22
	v_min_i32_e32 v83, 31, v22
	v_and_b32_sdwa v23, v23, v116 dst_sel:DWORD dst_unused:UNUSED_PAD src0_sel:BYTE_3 src1_sel:DWORD
	v_cndmask_b32_e32 v80, 3, v80, vcc_lo
	v_lshlrev_b32_e32 v83, 2, v83
	v_and_b32_e32 v86, 3, v80
	v_or_b32_e32 v22, v22, v80
	v_or3_b32 v23, v83, v23, v86
	v_cmp_ne_u32_e32 vcc_lo, 0, v22
	v_cndmask_b32_e32 v22, 0, v23, vcc_lo
.LBB4_5197:                             ;   in Loop: Header=BB4_4898 Depth=3
	s_or_b32 exec_lo, exec_lo, s23
.LBB4_5198:                             ;   in Loop: Header=BB4_4898 Depth=3
	s_or_b32 exec_lo, exec_lo, s22
	v_cmp_gt_i16_sdwa s22, v20, v115 src0_sel:BYTE_0 src1_sel:DWORD
	s_mov_b32 s16, 0
	s_and_saveexec_b32 s23, s22
	s_xor_b32 s22, exec_lo, s23
	s_cbranch_execz .LBB4_5276
; %bb.5199:                             ;   in Loop: Header=BB4_4898 Depth=3
	v_cmp_eq_u16_sdwa s72, v20, v116 src0_sel:BYTE_0 src1_sel:DWORD
	s_mov_b32 s16, -1
	s_and_saveexec_b32 s23, s72
; %bb.5200:                             ;   in Loop: Header=BB4_4898 Depth=3
	s_xor_b32 s16, exec_lo, -1
; %bb.5201:                             ;   in Loop: Header=BB4_4898 Depth=3
	s_or_b32 exec_lo, exec_lo, s23
	s_and_b32 s16, s16, exec_lo
	s_or_saveexec_b32 s22, s22
	v_mov_b32_e32 v23, 0x7f800001
	s_xor_b32 exec_lo, exec_lo, s22
	s_cbranch_execnz .LBB4_5277
.LBB4_5202:                             ;   in Loop: Header=BB4_4898 Depth=3
	s_or_b32 exec_lo, exec_lo, s22
	s_and_saveexec_b32 s22, s16
	s_cbranch_execz .LBB4_5204
.LBB4_5203:                             ;   in Loop: Header=BB4_4898 Depth=3
	v_and_b32_e32 v23, 3, v20
	v_lshrrev_b16 v83, 2, v20
	v_ffbh_u32_e32 v80, v23
	v_and_b32_e32 v83, 31, v83
	v_min_u32_e32 v80, 32, v80
	v_cmp_eq_u32_e32 vcc_lo, 0, v83
	v_subrev_nc_u32_e32 v86, 29, v80
	v_sub_nc_u32_e32 v80, 30, v80
	v_lshlrev_b32_e32 v86, v86, v20
	v_lshlrev_b32_e32 v20, 24, v20
	v_cndmask_b32_e32 v80, v83, v80, vcc_lo
	v_and_b32_e32 v86, 3, v86
	v_and_b32_e32 v20, 0x80000000, v20
	v_lshl_add_u32 v80, v80, 23, 0x37800000
	v_cndmask_b32_e32 v23, v23, v86, vcc_lo
	v_lshlrev_b32_e32 v23, 21, v23
	v_or3_b32 v23, v20, v80, v23
.LBB4_5204:                             ;   in Loop: Header=BB4_4898 Depth=3
	s_or_b32 exec_lo, exec_lo, s22
	s_waitcnt vmcnt(0) lgkmcnt(0)
	v_cmp_gt_i16_sdwa s22, v19, v115 src0_sel:BYTE_0 src1_sel:DWORD
	s_mov_b32 s16, 0
	s_and_saveexec_b32 s23, s22
	s_xor_b32 s22, exec_lo, s23
	s_cbranch_execz .LBB4_5278
; %bb.5205:                             ;   in Loop: Header=BB4_4898 Depth=3
	v_cmp_eq_u16_sdwa s72, v19, v116 src0_sel:BYTE_0 src1_sel:DWORD
	s_mov_b32 s16, -1
	s_and_saveexec_b32 s23, s72
; %bb.5206:                             ;   in Loop: Header=BB4_4898 Depth=3
	s_xor_b32 s16, exec_lo, -1
; %bb.5207:                             ;   in Loop: Header=BB4_4898 Depth=3
	s_or_b32 exec_lo, exec_lo, s23
	s_and_b32 s16, s16, exec_lo
	s_or_saveexec_b32 s22, s22
	v_mov_b32_e32 v20, 0x7f800001
	s_xor_b32 exec_lo, exec_lo, s22
	s_cbranch_execnz .LBB4_5279
.LBB4_5208:                             ;   in Loop: Header=BB4_4898 Depth=3
	s_or_b32 exec_lo, exec_lo, s22
	s_and_saveexec_b32 s22, s16
	s_cbranch_execz .LBB4_5210
.LBB4_5209:                             ;   in Loop: Header=BB4_4898 Depth=3
	v_and_b32_e32 v20, 3, v19
	v_lshrrev_b16 v83, 2, v19
	v_ffbh_u32_e32 v80, v20
	v_and_b32_e32 v83, 31, v83
	v_min_u32_e32 v80, 32, v80
	v_cmp_eq_u32_e32 vcc_lo, 0, v83
	v_subrev_nc_u32_e32 v86, 29, v80
	v_sub_nc_u32_e32 v80, 30, v80
	v_lshlrev_b32_e32 v86, v86, v19
	v_lshlrev_b32_e32 v19, 24, v19
	v_cndmask_b32_e32 v80, v83, v80, vcc_lo
	v_and_b32_e32 v86, 3, v86
	v_and_b32_e32 v19, 0x80000000, v19
	v_lshl_add_u32 v80, v80, 23, 0x37800000
	v_cndmask_b32_e32 v20, v20, v86, vcc_lo
	v_lshlrev_b32_e32 v20, 21, v20
	v_or3_b32 v20, v19, v80, v20
.LBB4_5210:                             ;   in Loop: Header=BB4_4898 Depth=3
	s_or_b32 exec_lo, exec_lo, s22
	v_mul_f32_e32 v20, v23, v20
	v_and_b32_e32 v19, 0x7f800000, v20
	v_cmp_ne_u32_e32 vcc_lo, 0x7f800000, v19
	v_mov_b32_e32 v19, 0x80
	s_and_saveexec_b32 s22, vcc_lo
	s_cbranch_execz .LBB4_4897
; %bb.5211:                             ;   in Loop: Header=BB4_4898 Depth=3
	v_mov_b32_e32 v19, 0
	s_mov_b32 s23, exec_lo
	v_cmpx_ne_u32_e32 0, v20
	s_cbranch_execz .LBB4_4896
; %bb.5212:                             ;   in Loop: Header=BB4_4898 Depth=3
	v_bfe_u32 v19, v20, 23, 8
	v_and_b32_e32 v23, 0x7fffff, v20
	v_sub_nc_u32_e32 v80, 0x70, v19
	v_cmp_gt_u32_e32 vcc_lo, 0x71, v19
	v_or_b32_e32 v83, 0x800000, v23
	v_cndmask_b32_e32 v80, 0, v80, vcc_lo
	v_cmp_eq_u32_e32 vcc_lo, 0, v19
	v_add_nc_u32_e32 v19, 0xffffff91, v19
	v_cndmask_b32_e64 v80, v80, 0x6f, vcc_lo
	v_cndmask_b32_e32 v23, v83, v23, vcc_lo
	v_cndmask_b32_e64 v19, v19, 0xffffff92, vcc_lo
	v_lshl_add_u32 v83, 0x200000, v80, -1
	v_lshrrev_b32_e32 v86, v80, v23
	v_lshlrev_b32_e64 v88, v80, 0x100000
	v_add_nc_u32_e32 v80, v80, v19
	v_and_b32_e32 v23, v83, v23
	v_bfe_u32 v97, v86, 21, 1
	v_cmp_eq_u32_e64 s16, v23, v88
	v_add_nc_u32_e32 v83, -1, v97
	v_cndmask_b32_e64 v23, 0, v83, s16
	v_lshrrev_b32_e32 v83, 23, v86
	s_mov_b32 s16, exec_lo
	v_add_nc_u32_e32 v23, v23, v86
	v_xor_b32_e32 v83, 1, v83
	v_and_b32_e32 v19, 0x1fffff, v23
	v_add_nc_u32_e32 v23, v19, v86
                                        ; implicit-def: $vgpr19
	v_cmpx_ne_u32_e64 v80, v83
	s_xor_b32 s16, exec_lo, s16
; %bb.5213:                             ;   in Loop: Header=BB4_4898 Depth=3
	v_cmp_lt_u32_e32 vcc_lo, 0xffffff, v23
	v_sub_nc_u32_e32 v19, v80, v83
	v_cndmask_b32_e64 v80, 0, 1, vcc_lo
	v_add_co_ci_u32_e64 v19, null, 0, v19, vcc_lo
	v_lshrrev_b32_e32 v23, v80, v23
; %bb.5214:                             ;   in Loop: Header=BB4_4898 Depth=3
	s_andn2_saveexec_b32 s16, s16
	s_cbranch_execz .LBB4_4895
; %bb.5215:                             ;   in Loop: Header=BB4_4898 Depth=3
	v_bfe_u32 v19, v23, 23, 1
	s_branch .LBB4_4895
.LBB4_5216:                             ;   in Loop: Header=BB4_4898 Depth=3
	s_or_saveexec_b32 s22, s22
	v_mov_b32_e32 v108, 0x7f800001
	s_xor_b32 exec_lo, exec_lo, s22
	s_cbranch_execz .LBB4_4902
.LBB4_5217:                             ;   in Loop: Header=BB4_4898 Depth=3
	v_cmp_ne_u16_e32 vcc_lo, 0, v109
	v_mov_b32_e32 v108, 0
	s_andn2_b32 s16, s16, exec_lo
	s_and_b32 s23, vcc_lo, exec_lo
	s_or_b32 s16, s16, s23
	s_or_b32 exec_lo, exec_lo, s22
	s_and_saveexec_b32 s22, s16
	s_cbranch_execnz .LBB4_4903
	s_branch .LBB4_4904
.LBB4_5218:                             ;   in Loop: Header=BB4_4898 Depth=3
	s_or_saveexec_b32 s22, s22
	v_mov_b32_e32 v109, 0x7f800001
	s_xor_b32 exec_lo, exec_lo, s22
	s_cbranch_execz .LBB4_4908
.LBB4_5219:                             ;   in Loop: Header=BB4_4898 Depth=3
	v_cmp_ne_u16_sdwa s23, v21, v2 src0_sel:BYTE_0 src1_sel:DWORD
	v_mov_b32_e32 v109, 0
	s_andn2_b32 s16, s16, exec_lo
	s_and_b32 s23, s23, exec_lo
	s_or_b32 s16, s16, s23
	s_or_b32 exec_lo, exec_lo, s22
	s_and_saveexec_b32 s22, s16
	s_cbranch_execnz .LBB4_4909
	s_branch .LBB4_4910
.LBB4_5220:                             ;   in Loop: Header=BB4_4898 Depth=3
	s_or_saveexec_b32 s22, s22
	v_mov_b32_e32 v108, 0x7f800001
	s_xor_b32 exec_lo, exec_lo, s22
	s_cbranch_execz .LBB4_4922
.LBB4_5221:                             ;   in Loop: Header=BB4_4898 Depth=3
	v_cmp_ne_u16_sdwa s23, v107, v2 src0_sel:BYTE_0 src1_sel:DWORD
	v_mov_b32_e32 v108, 0
	s_andn2_b32 s16, s16, exec_lo
	s_and_b32 s23, s23, exec_lo
	s_or_b32 s16, s16, s23
	s_or_b32 exec_lo, exec_lo, s22
	s_and_saveexec_b32 s22, s16
	s_cbranch_execnz .LBB4_4923
	s_branch .LBB4_4924
.LBB4_5222:                             ;   in Loop: Header=BB4_4898 Depth=3
	s_or_saveexec_b32 s22, s22
	v_mov_b32_e32 v107, 0x7f800001
	s_xor_b32 exec_lo, exec_lo, s22
	s_cbranch_execz .LBB4_4928
.LBB4_5223:                             ;   in Loop: Header=BB4_4898 Depth=3
	v_cmp_ne_u16_sdwa s23, v69, v2 src0_sel:BYTE_0 src1_sel:DWORD
	v_mov_b32_e32 v107, 0
	s_andn2_b32 s16, s16, exec_lo
	s_and_b32 s23, s23, exec_lo
	s_or_b32 s16, s16, s23
	s_or_b32 exec_lo, exec_lo, s22
	s_and_saveexec_b32 s22, s16
	s_cbranch_execnz .LBB4_4929
	s_branch .LBB4_4930
.LBB4_5224:                             ;   in Loop: Header=BB4_4898 Depth=3
	s_or_saveexec_b32 s22, s22
	v_mov_b32_e32 v107, 0x7f800001
	s_xor_b32 exec_lo, exec_lo, s22
	s_cbranch_execz .LBB4_4942
.LBB4_5225:                             ;   in Loop: Header=BB4_4898 Depth=3
	v_cmp_ne_u16_sdwa s23, v106, v2 src0_sel:BYTE_0 src1_sel:DWORD
	v_mov_b32_e32 v107, 0
	s_andn2_b32 s16, s16, exec_lo
	s_and_b32 s23, s23, exec_lo
	s_or_b32 s16, s16, s23
	s_or_b32 exec_lo, exec_lo, s22
	s_and_saveexec_b32 s22, s16
	s_cbranch_execnz .LBB4_4943
	s_branch .LBB4_4944
.LBB4_5226:                             ;   in Loop: Header=BB4_4898 Depth=3
	s_or_saveexec_b32 s22, s22
	v_mov_b32_e32 v106, 0x7f800001
	s_xor_b32 exec_lo, exec_lo, s22
	s_cbranch_execz .LBB4_4948
.LBB4_5227:                             ;   in Loop: Header=BB4_4898 Depth=3
	v_cmp_ne_u16_sdwa s23, v81, v2 src0_sel:BYTE_0 src1_sel:DWORD
	v_mov_b32_e32 v106, 0
	s_andn2_b32 s16, s16, exec_lo
	s_and_b32 s23, s23, exec_lo
	s_or_b32 s16, s16, s23
	s_or_b32 exec_lo, exec_lo, s22
	s_and_saveexec_b32 s22, s16
	s_cbranch_execnz .LBB4_4949
	s_branch .LBB4_4950
.LBB4_5228:                             ;   in Loop: Header=BB4_4898 Depth=3
	s_or_saveexec_b32 s22, s22
	v_mov_b32_e32 v106, 0x7f800001
	s_xor_b32 exec_lo, exec_lo, s22
	s_cbranch_execz .LBB4_4962
.LBB4_5229:                             ;   in Loop: Header=BB4_4898 Depth=3
	v_cmp_ne_u16_sdwa s23, v105, v2 src0_sel:BYTE_0 src1_sel:DWORD
	v_mov_b32_e32 v106, 0
	s_andn2_b32 s16, s16, exec_lo
	s_and_b32 s23, s23, exec_lo
	s_or_b32 s16, s16, s23
	s_or_b32 exec_lo, exec_lo, s22
	s_and_saveexec_b32 s22, s16
	s_cbranch_execnz .LBB4_4963
	s_branch .LBB4_4964
.LBB4_5230:                             ;   in Loop: Header=BB4_4898 Depth=3
	s_or_saveexec_b32 s22, s22
	v_mov_b32_e32 v105, 0x7f800001
	s_xor_b32 exec_lo, exec_lo, s22
	s_cbranch_execz .LBB4_4968
.LBB4_5231:                             ;   in Loop: Header=BB4_4898 Depth=3
	v_cmp_ne_u16_sdwa s23, v84, v2 src0_sel:BYTE_0 src1_sel:DWORD
	v_mov_b32_e32 v105, 0
	s_andn2_b32 s16, s16, exec_lo
	s_and_b32 s23, s23, exec_lo
	s_or_b32 s16, s16, s23
	s_or_b32 exec_lo, exec_lo, s22
	s_and_saveexec_b32 s22, s16
	s_cbranch_execnz .LBB4_4969
	s_branch .LBB4_4970
.LBB4_5232:                             ;   in Loop: Header=BB4_4898 Depth=3
	s_or_saveexec_b32 s22, s22
	v_mov_b32_e32 v105, 0x7f800001
	s_xor_b32 exec_lo, exec_lo, s22
	s_cbranch_execz .LBB4_4982
.LBB4_5233:                             ;   in Loop: Header=BB4_4898 Depth=3
	v_cmp_ne_u16_sdwa s23, v104, v2 src0_sel:BYTE_0 src1_sel:DWORD
	v_mov_b32_e32 v105, 0
	s_andn2_b32 s16, s16, exec_lo
	s_and_b32 s23, s23, exec_lo
	s_or_b32 s16, s16, s23
	s_or_b32 exec_lo, exec_lo, s22
	s_and_saveexec_b32 s22, s16
	s_cbranch_execnz .LBB4_4983
	s_branch .LBB4_4984
.LBB4_5234:                             ;   in Loop: Header=BB4_4898 Depth=3
	s_or_saveexec_b32 s22, s22
	v_mov_b32_e32 v104, 0x7f800001
	s_xor_b32 exec_lo, exec_lo, s22
	s_cbranch_execz .LBB4_4988
.LBB4_5235:                             ;   in Loop: Header=BB4_4898 Depth=3
	v_cmp_ne_u16_sdwa s23, v87, v2 src0_sel:BYTE_0 src1_sel:DWORD
	v_mov_b32_e32 v104, 0
	s_andn2_b32 s16, s16, exec_lo
	s_and_b32 s23, s23, exec_lo
	s_or_b32 s16, s16, s23
	s_or_b32 exec_lo, exec_lo, s22
	s_and_saveexec_b32 s22, s16
	s_cbranch_execnz .LBB4_4989
	s_branch .LBB4_4990
.LBB4_5236:                             ;   in Loop: Header=BB4_4898 Depth=3
	s_or_saveexec_b32 s22, s22
	v_mov_b32_e32 v104, 0x7f800001
	s_xor_b32 exec_lo, exec_lo, s22
	s_cbranch_execz .LBB4_5002
.LBB4_5237:                             ;   in Loop: Header=BB4_4898 Depth=3
	v_cmp_ne_u16_sdwa s23, v95, v2 src0_sel:BYTE_0 src1_sel:DWORD
	v_mov_b32_e32 v104, 0
	s_andn2_b32 s16, s16, exec_lo
	s_and_b32 s23, s23, exec_lo
	s_or_b32 s16, s16, s23
	s_or_b32 exec_lo, exec_lo, s22
	s_and_saveexec_b32 s22, s16
	s_cbranch_execnz .LBB4_5003
	s_branch .LBB4_5004
.LBB4_5238:                             ;   in Loop: Header=BB4_4898 Depth=3
	s_or_saveexec_b32 s22, s22
	v_mov_b32_e32 v95, 0x7f800001
	s_xor_b32 exec_lo, exec_lo, s22
	s_cbranch_execz .LBB4_5008
.LBB4_5239:                             ;   in Loop: Header=BB4_4898 Depth=3
	v_cmp_ne_u16_sdwa s23, v98, v2 src0_sel:BYTE_0 src1_sel:DWORD
	v_mov_b32_e32 v95, 0
	s_andn2_b32 s16, s16, exec_lo
	s_and_b32 s23, s23, exec_lo
	s_or_b32 s16, s16, s23
	s_or_b32 exec_lo, exec_lo, s22
	s_and_saveexec_b32 s22, s16
	s_cbranch_execnz .LBB4_5009
	s_branch .LBB4_5010
.LBB4_5240:                             ;   in Loop: Header=BB4_4898 Depth=3
	s_or_saveexec_b32 s22, s22
	v_mov_b32_e32 v95, 0x7f800001
	s_xor_b32 exec_lo, exec_lo, s22
	s_cbranch_execz .LBB4_5022
.LBB4_5241:                             ;   in Loop: Header=BB4_4898 Depth=3
	v_cmp_ne_u16_sdwa s23, v94, v2 src0_sel:BYTE_0 src1_sel:DWORD
	v_mov_b32_e32 v95, 0
	s_andn2_b32 s16, s16, exec_lo
	s_and_b32 s23, s23, exec_lo
	s_or_b32 s16, s16, s23
	s_or_b32 exec_lo, exec_lo, s22
	s_and_saveexec_b32 s22, s16
	s_cbranch_execnz .LBB4_5023
	s_branch .LBB4_5024
.LBB4_5242:                             ;   in Loop: Header=BB4_4898 Depth=3
	s_or_saveexec_b32 s22, s22
	v_mov_b32_e32 v94, 0x7f800001
	s_xor_b32 exec_lo, exec_lo, s22
	s_cbranch_execz .LBB4_5028
.LBB4_5243:                             ;   in Loop: Header=BB4_4898 Depth=3
	v_cmp_ne_u16_sdwa s23, v89, v2 src0_sel:BYTE_0 src1_sel:DWORD
	v_mov_b32_e32 v94, 0
	s_andn2_b32 s16, s16, exec_lo
	s_and_b32 s23, s23, exec_lo
	s_or_b32 s16, s16, s23
	s_or_b32 exec_lo, exec_lo, s22
	s_and_saveexec_b32 s22, s16
	s_cbranch_execnz .LBB4_5029
	s_branch .LBB4_5030
.LBB4_5244:                             ;   in Loop: Header=BB4_4898 Depth=3
	s_or_saveexec_b32 s22, s22
	v_mov_b32_e32 v94, 0x7f800001
	s_xor_b32 exec_lo, exec_lo, s22
	s_cbranch_execz .LBB4_5042
.LBB4_5245:                             ;   in Loop: Header=BB4_4898 Depth=3
	v_cmp_ne_u16_sdwa s23, v93, v2 src0_sel:BYTE_0 src1_sel:DWORD
	v_mov_b32_e32 v94, 0
	s_andn2_b32 s16, s16, exec_lo
	s_and_b32 s23, s23, exec_lo
	s_or_b32 s16, s16, s23
	s_or_b32 exec_lo, exec_lo, s22
	s_and_saveexec_b32 s22, s16
	s_cbranch_execnz .LBB4_5043
	s_branch .LBB4_5044
.LBB4_5246:                             ;   in Loop: Header=BB4_4898 Depth=3
	s_or_saveexec_b32 s22, s22
	v_mov_b32_e32 v93, 0x7f800001
	s_xor_b32 exec_lo, exec_lo, s22
	s_cbranch_execz .LBB4_5048
.LBB4_5247:                             ;   in Loop: Header=BB4_4898 Depth=3
	v_cmp_ne_u16_sdwa s23, v92, v2 src0_sel:BYTE_0 src1_sel:DWORD
	v_mov_b32_e32 v93, 0
	s_andn2_b32 s16, s16, exec_lo
	s_and_b32 s23, s23, exec_lo
	s_or_b32 s16, s16, s23
	s_or_b32 exec_lo, exec_lo, s22
	s_and_saveexec_b32 s22, s16
	s_cbranch_execnz .LBB4_5049
	s_branch .LBB4_5050
.LBB4_5248:                             ;   in Loop: Header=BB4_4898 Depth=3
	s_or_saveexec_b32 s22, s22
	v_mov_b32_e32 v93, 0x7f800001
	s_xor_b32 exec_lo, exec_lo, s22
	s_cbranch_execz .LBB4_5062
.LBB4_5249:                             ;   in Loop: Header=BB4_4898 Depth=3
	v_cmp_ne_u16_sdwa s23, v91, v2 src0_sel:BYTE_0 src1_sel:DWORD
	v_mov_b32_e32 v93, 0
	s_andn2_b32 s16, s16, exec_lo
	s_and_b32 s23, s23, exec_lo
	s_or_b32 s16, s16, s23
	s_or_b32 exec_lo, exec_lo, s22
	s_and_saveexec_b32 s22, s16
	s_cbranch_execnz .LBB4_5063
	s_branch .LBB4_5064
.LBB4_5250:                             ;   in Loop: Header=BB4_4898 Depth=3
	s_or_saveexec_b32 s22, s22
	v_mov_b32_e32 v91, 0x7f800001
	s_xor_b32 exec_lo, exec_lo, s22
	s_cbranch_execz .LBB4_5068
.LBB4_5251:                             ;   in Loop: Header=BB4_4898 Depth=3
	v_cmp_ne_u16_sdwa s23, v90, v2 src0_sel:BYTE_0 src1_sel:DWORD
	v_mov_b32_e32 v91, 0
	s_andn2_b32 s16, s16, exec_lo
	s_and_b32 s23, s23, exec_lo
	s_or_b32 s16, s16, s23
	s_or_b32 exec_lo, exec_lo, s22
	s_and_saveexec_b32 s22, s16
	s_cbranch_execnz .LBB4_5069
	s_branch .LBB4_5070
.LBB4_5252:                             ;   in Loop: Header=BB4_4898 Depth=3
	s_or_saveexec_b32 s22, s22
	v_mov_b32_e32 v91, 0x7f800001
	s_xor_b32 exec_lo, exec_lo, s22
	s_cbranch_execz .LBB4_5082
.LBB4_5253:                             ;   in Loop: Header=BB4_4898 Depth=3
	v_cmp_ne_u16_sdwa s23, v88, v2 src0_sel:BYTE_0 src1_sel:DWORD
	v_mov_b32_e32 v91, 0
	s_andn2_b32 s16, s16, exec_lo
	s_and_b32 s23, s23, exec_lo
	s_or_b32 s16, s16, s23
	s_or_b32 exec_lo, exec_lo, s22
	s_and_saveexec_b32 s22, s16
	s_cbranch_execnz .LBB4_5083
	s_branch .LBB4_5084
.LBB4_5254:                             ;   in Loop: Header=BB4_4898 Depth=3
	s_or_saveexec_b32 s22, s22
	v_mov_b32_e32 v88, 0x7f800001
	s_xor_b32 exec_lo, exec_lo, s22
	s_cbranch_execz .LBB4_5088
.LBB4_5255:                             ;   in Loop: Header=BB4_4898 Depth=3
	v_cmp_ne_u16_sdwa s23, v99, v2 src0_sel:BYTE_0 src1_sel:DWORD
	v_mov_b32_e32 v88, 0
	s_andn2_b32 s16, s16, exec_lo
	s_and_b32 s23, s23, exec_lo
	s_or_b32 s16, s16, s23
	s_or_b32 exec_lo, exec_lo, s22
	s_and_saveexec_b32 s22, s16
	s_cbranch_execnz .LBB4_5089
	s_branch .LBB4_5090
.LBB4_5256:                             ;   in Loop: Header=BB4_4898 Depth=3
	s_or_saveexec_b32 s22, s22
	v_mov_b32_e32 v88, 0x7f800001
	s_xor_b32 exec_lo, exec_lo, s22
	s_cbranch_execz .LBB4_5102
.LBB4_5257:                             ;   in Loop: Header=BB4_4898 Depth=3
	v_cmp_ne_u16_sdwa s23, v97, v2 src0_sel:BYTE_0 src1_sel:DWORD
	v_mov_b32_e32 v88, 0
	s_andn2_b32 s16, s16, exec_lo
	s_and_b32 s23, s23, exec_lo
	s_or_b32 s16, s16, s23
	s_or_b32 exec_lo, exec_lo, s22
	s_and_saveexec_b32 s22, s16
	s_cbranch_execnz .LBB4_5103
	s_branch .LBB4_5104
.LBB4_5258:                             ;   in Loop: Header=BB4_4898 Depth=3
	s_or_saveexec_b32 s22, s22
	v_mov_b32_e32 v97, 0x7f800001
	s_xor_b32 exec_lo, exec_lo, s22
	s_cbranch_execz .LBB4_5108
.LBB4_5259:                             ;   in Loop: Header=BB4_4898 Depth=3
	v_cmp_ne_u16_sdwa s23, v96, v2 src0_sel:BYTE_0 src1_sel:DWORD
	v_mov_b32_e32 v97, 0
	s_andn2_b32 s16, s16, exec_lo
	s_and_b32 s23, s23, exec_lo
	s_or_b32 s16, s16, s23
	s_or_b32 exec_lo, exec_lo, s22
	s_and_saveexec_b32 s22, s16
	s_cbranch_execnz .LBB4_5109
	s_branch .LBB4_5110
.LBB4_5260:                             ;   in Loop: Header=BB4_4898 Depth=3
	s_or_saveexec_b32 s22, s22
	v_mov_b32_e32 v97, 0x7f800001
	s_xor_b32 exec_lo, exec_lo, s22
	s_cbranch_execz .LBB4_5122
.LBB4_5261:                             ;   in Loop: Header=BB4_4898 Depth=3
	v_cmp_ne_u16_sdwa s23, v86, v2 src0_sel:BYTE_0 src1_sel:DWORD
	v_mov_b32_e32 v97, 0
	s_andn2_b32 s16, s16, exec_lo
	s_and_b32 s23, s23, exec_lo
	s_or_b32 s16, s16, s23
	s_or_b32 exec_lo, exec_lo, s22
	s_and_saveexec_b32 s22, s16
	s_cbranch_execnz .LBB4_5123
	s_branch .LBB4_5124
.LBB4_5262:                             ;   in Loop: Header=BB4_4898 Depth=3
	s_or_saveexec_b32 s22, s22
	v_mov_b32_e32 v86, 0x7f800001
	s_xor_b32 exec_lo, exec_lo, s22
	s_cbranch_execz .LBB4_5128
.LBB4_5263:                             ;   in Loop: Header=BB4_4898 Depth=3
	v_cmp_ne_u16_sdwa s23, v85, v2 src0_sel:BYTE_0 src1_sel:DWORD
	v_mov_b32_e32 v86, 0
	s_andn2_b32 s16, s16, exec_lo
	s_and_b32 s23, s23, exec_lo
	s_or_b32 s16, s16, s23
	s_or_b32 exec_lo, exec_lo, s22
	s_and_saveexec_b32 s22, s16
	s_cbranch_execnz .LBB4_5129
	s_branch .LBB4_5130
.LBB4_5264:                             ;   in Loop: Header=BB4_4898 Depth=3
	s_or_saveexec_b32 s22, s22
	v_mov_b32_e32 v86, 0x7f800001
	s_xor_b32 exec_lo, exec_lo, s22
	s_cbranch_execz .LBB4_5142
.LBB4_5265:                             ;   in Loop: Header=BB4_4898 Depth=3
	v_cmp_ne_u16_sdwa s23, v83, v2 src0_sel:BYTE_0 src1_sel:DWORD
	v_mov_b32_e32 v86, 0
	s_andn2_b32 s16, s16, exec_lo
	s_and_b32 s23, s23, exec_lo
	s_or_b32 s16, s16, s23
	s_or_b32 exec_lo, exec_lo, s22
	s_and_saveexec_b32 s22, s16
	s_cbranch_execnz .LBB4_5143
	s_branch .LBB4_5144
.LBB4_5266:                             ;   in Loop: Header=BB4_4898 Depth=3
	s_or_saveexec_b32 s22, s22
	v_mov_b32_e32 v83, 0x7f800001
	s_xor_b32 exec_lo, exec_lo, s22
	s_cbranch_execz .LBB4_5148
.LBB4_5267:                             ;   in Loop: Header=BB4_4898 Depth=3
	v_cmp_ne_u16_sdwa s23, v82, v2 src0_sel:BYTE_0 src1_sel:DWORD
	v_mov_b32_e32 v83, 0
	s_andn2_b32 s16, s16, exec_lo
	s_and_b32 s23, s23, exec_lo
	s_or_b32 s16, s16, s23
	s_or_b32 exec_lo, exec_lo, s22
	s_and_saveexec_b32 s22, s16
	s_cbranch_execnz .LBB4_5149
	s_branch .LBB4_5150
.LBB4_5268:                             ;   in Loop: Header=BB4_4898 Depth=3
	s_or_saveexec_b32 s22, s22
	v_mov_b32_e32 v83, 0x7f800001
	s_xor_b32 exec_lo, exec_lo, s22
	s_cbranch_execz .LBB4_5162
.LBB4_5269:                             ;   in Loop: Header=BB4_4898 Depth=3
	v_cmp_ne_u16_sdwa s23, v80, v2 src0_sel:BYTE_0 src1_sel:DWORD
	v_mov_b32_e32 v83, 0
	s_andn2_b32 s16, s16, exec_lo
	s_and_b32 s23, s23, exec_lo
	s_or_b32 s16, s16, s23
	s_or_b32 exec_lo, exec_lo, s22
	s_and_saveexec_b32 s22, s16
	s_cbranch_execnz .LBB4_5163
	s_branch .LBB4_5164
.LBB4_5270:                             ;   in Loop: Header=BB4_4898 Depth=3
	s_or_saveexec_b32 s22, s22
	v_mov_b32_e32 v80, 0x7f800001
	s_xor_b32 exec_lo, exec_lo, s22
	s_cbranch_execz .LBB4_5168
.LBB4_5271:                             ;   in Loop: Header=BB4_4898 Depth=3
	v_cmp_ne_u16_sdwa s23, v70, v2 src0_sel:BYTE_0 src1_sel:DWORD
	v_mov_b32_e32 v80, 0
	s_andn2_b32 s16, s16, exec_lo
	s_and_b32 s23, s23, exec_lo
	s_or_b32 s16, s16, s23
	s_or_b32 exec_lo, exec_lo, s22
	s_and_saveexec_b32 s22, s16
	s_cbranch_execnz .LBB4_5169
	s_branch .LBB4_5170
.LBB4_5272:                             ;   in Loop: Header=BB4_4898 Depth=3
	s_or_saveexec_b32 s22, s22
	v_mov_b32_e32 v80, 0x7f800001
	s_xor_b32 exec_lo, exec_lo, s22
	s_cbranch_execz .LBB4_5182
.LBB4_5273:                             ;   in Loop: Header=BB4_4898 Depth=3
	v_cmp_ne_u16_sdwa s23, v23, v2 src0_sel:BYTE_0 src1_sel:DWORD
	v_mov_b32_e32 v80, 0
	s_andn2_b32 s16, s16, exec_lo
	s_and_b32 s23, s23, exec_lo
	s_or_b32 s16, s16, s23
	s_or_b32 exec_lo, exec_lo, s22
	s_and_saveexec_b32 s22, s16
	s_cbranch_execnz .LBB4_5183
	s_branch .LBB4_5184
.LBB4_5274:                             ;   in Loop: Header=BB4_4898 Depth=3
	s_or_saveexec_b32 s22, s22
	v_mov_b32_e32 v23, 0x7f800001
	s_xor_b32 exec_lo, exec_lo, s22
	s_cbranch_execz .LBB4_5188
.LBB4_5275:                             ;   in Loop: Header=BB4_4898 Depth=3
	v_cmp_ne_u16_sdwa s23, v22, v2 src0_sel:BYTE_0 src1_sel:DWORD
	v_mov_b32_e32 v23, 0
	s_andn2_b32 s16, s16, exec_lo
	s_and_b32 s23, s23, exec_lo
	s_or_b32 s16, s16, s23
	s_or_b32 exec_lo, exec_lo, s22
	s_and_saveexec_b32 s22, s16
	s_cbranch_execnz .LBB4_5189
	s_branch .LBB4_5190
.LBB4_5276:                             ;   in Loop: Header=BB4_4898 Depth=3
	s_or_saveexec_b32 s22, s22
	v_mov_b32_e32 v23, 0x7f800001
	s_xor_b32 exec_lo, exec_lo, s22
	s_cbranch_execz .LBB4_5202
.LBB4_5277:                             ;   in Loop: Header=BB4_4898 Depth=3
	v_cmp_ne_u16_sdwa s23, v20, v2 src0_sel:BYTE_0 src1_sel:DWORD
	v_mov_b32_e32 v23, 0
	s_andn2_b32 s16, s16, exec_lo
	s_and_b32 s23, s23, exec_lo
	s_or_b32 s16, s16, s23
	s_or_b32 exec_lo, exec_lo, s22
	s_and_saveexec_b32 s22, s16
	s_cbranch_execnz .LBB4_5203
	s_branch .LBB4_5204
.LBB4_5278:                             ;   in Loop: Header=BB4_4898 Depth=3
	s_or_saveexec_b32 s22, s22
	v_mov_b32_e32 v20, 0x7f800001
	s_xor_b32 exec_lo, exec_lo, s22
	s_cbranch_execz .LBB4_5208
.LBB4_5279:                             ;   in Loop: Header=BB4_4898 Depth=3
	v_cmp_ne_u16_sdwa s23, v19, v2 src0_sel:BYTE_0 src1_sel:DWORD
	v_mov_b32_e32 v20, 0
	s_andn2_b32 s16, s16, exec_lo
	s_and_b32 s23, s23, exec_lo
	s_or_b32 s16, s16, s23
	s_or_b32 exec_lo, exec_lo, s22
	s_and_saveexec_b32 s22, s16
	s_cbranch_execnz .LBB4_5209
	s_branch .LBB4_5210
.LBB4_5280:                             ;   in Loop: Header=BB4_2055 Depth=2
	s_or_b32 exec_lo, exec_lo, s19
.LBB4_5281:                             ;   in Loop: Header=BB4_2055 Depth=2
	s_or_b32 exec_lo, exec_lo, s18
	v_lshlrev_b32_e32 v8, 9, v18
	v_cmp_ne_u32_e32 vcc_lo, v15, v8
	s_and_b32 exec_lo, exec_lo, vcc_lo
	s_cbranch_execz .LBB4_5309
; %bb.5282:                             ;   in Loop: Header=BB4_2055 Depth=2
	v_ashrrev_i32_e32 v9, 31, v16
	v_lshlrev_b32_e32 v10, 5, v17
	v_lshrrev_b32_e32 v9, 27, v9
	v_add_nc_u32_e32 v9, v16, v9
	v_and_b32_e32 v9, 0xffffffe0, v9
	v_sub_nc_u32_e32 v9, v16, v9
	v_sub_nc_u32_e32 v9, v9, v10
	v_add_nc_u32_e32 v8, v8, v9
	v_sub_nc_u32_e32 v15, v15, v8
	v_cmp_lt_i32_e32 vcc_lo, 0, v15
	s_and_b32 exec_lo, exec_lo, vcc_lo
	s_cbranch_execz .LBB4_5309
; %bb.5283:                             ;   in Loop: Header=BB4_2055 Depth=2
	s_trap 2
	ds_read_b128 v[9:12], v0
	ds_read_b64 v[16:17], v0
	v_add_nc_u32_e32 v13, v8, v14
	s_mov_b32 s18, 0
	v_ashrrev_i32_e32 v14, 31, v13
	s_waitcnt lgkmcnt(1)
	v_add_co_u32 v8, vcc_lo, v9, v13
	v_add_co_ci_u32_e64 v9, null, v10, v14, vcc_lo
	v_add_co_u32 v10, vcc_lo, v11, v13
	v_add_co_ci_u32_e64 v11, null, v12, v14, vcc_lo
	s_waitcnt lgkmcnt(0)
	v_add_co_u32 v12, vcc_lo, v16, v13
	v_add_co_ci_u32_e64 v13, null, v17, v14, vcc_lo
	s_branch .LBB4_5287
.LBB4_5284:                             ;   in Loop: Header=BB4_5287 Depth=3
	s_or_b32 exec_lo, exec_lo, s16
	v_lshrrev_b32_e32 v17, 21, v17
	v_cmp_gt_i32_e32 vcc_lo, 32, v16
	v_min_i32_e32 v18, 31, v16
	v_and_b32_sdwa v14, v14, v116 dst_sel:DWORD dst_unused:UNUSED_PAD src0_sel:BYTE_3 src1_sel:DWORD
	v_cndmask_b32_e32 v17, 3, v17, vcc_lo
	v_lshlrev_b32_e32 v18, 2, v18
	v_and_b32_e32 v19, 3, v17
	v_or_b32_e32 v16, v16, v17
	v_or3_b32 v14, v18, v14, v19
	v_cmp_ne_u32_e32 vcc_lo, 0, v16
	v_cndmask_b32_e32 v16, 0, v14, vcc_lo
.LBB4_5285:                             ;   in Loop: Header=BB4_5287 Depth=3
	s_or_b32 exec_lo, exec_lo, s22
.LBB4_5286:                             ;   in Loop: Header=BB4_5287 Depth=3
	s_or_b32 exec_lo, exec_lo, s19
	v_sub_nc_u32_e32 v15, v15, v112
	v_add_co_u32 v8, vcc_lo, v8, v112
	v_add_co_ci_u32_e64 v9, null, 0, v9, vcc_lo
	v_add_co_u32 v10, vcc_lo, v10, v112
	flat_store_byte v[12:13], v16 glc slc
	v_add_co_ci_u32_e64 v11, null, 0, v11, vcc_lo
	v_cmp_gt_i32_e32 vcc_lo, 1, v15
	v_add_co_u32 v12, s16, v12, v112
	v_add_co_ci_u32_e64 v13, null, 0, v13, s16
	s_or_b32 s18, vcc_lo, s18
	s_andn2_b32 exec_lo, exec_lo, s18
	s_cbranch_execz .LBB4_5309
.LBB4_5287:                             ;   Parent Loop BB4_47 Depth=1
                                        ;     Parent Loop BB4_2055 Depth=2
                                        ; =>    This Inner Loop Header: Depth=3
	flat_load_ubyte v17, v[8:9] slc
	flat_load_ubyte v14, v[10:11] slc
	s_mov_b32 s16, 0
	s_mov_b32 s19, exec_lo
	s_waitcnt vmcnt(1) lgkmcnt(1)
	v_cmpx_lt_i16_e32 0x7f, v17
	s_xor_b32 s19, exec_lo, s19
	s_cbranch_execz .LBB4_5305
; %bb.5288:                             ;   in Loop: Header=BB4_5287 Depth=3
	s_mov_b32 s16, -1
	s_mov_b32 s22, exec_lo
	v_cmpx_eq_u16_e32 0x80, v17
; %bb.5289:                             ;   in Loop: Header=BB4_5287 Depth=3
	s_xor_b32 s16, exec_lo, -1
; %bb.5290:                             ;   in Loop: Header=BB4_5287 Depth=3
	s_or_b32 exec_lo, exec_lo, s22
	s_and_b32 s16, s16, exec_lo
	s_or_saveexec_b32 s19, s19
	v_mov_b32_e32 v16, 0x7f800001
	s_xor_b32 exec_lo, exec_lo, s19
	s_cbranch_execnz .LBB4_5306
.LBB4_5291:                             ;   in Loop: Header=BB4_5287 Depth=3
	s_or_b32 exec_lo, exec_lo, s19
	s_and_saveexec_b32 s19, s16
	s_cbranch_execz .LBB4_5293
.LBB4_5292:                             ;   in Loop: Header=BB4_5287 Depth=3
	v_and_b32_e32 v16, 0xffff, v17
	v_lshlrev_b32_e32 v17, 24, v17
	v_and_b32_e32 v18, 3, v16
	v_bfe_u32 v21, v16, 2, 5
	v_and_b32_e32 v17, 0x80000000, v17
	v_ffbh_u32_e32 v19, v18
	v_cmp_eq_u32_e32 vcc_lo, 0, v21
	v_min_u32_e32 v19, 32, v19
	v_subrev_nc_u32_e32 v20, 29, v19
	v_sub_nc_u32_e32 v19, 30, v19
	v_lshlrev_b32_e32 v16, v20, v16
	v_cndmask_b32_e32 v19, v21, v19, vcc_lo
	v_and_b32_e32 v16, 3, v16
	v_cndmask_b32_e32 v16, v18, v16, vcc_lo
	v_lshl_add_u32 v18, v19, 23, 0x37800000
	v_lshlrev_b32_e32 v16, 21, v16
	v_or3_b32 v16, v17, v18, v16
.LBB4_5293:                             ;   in Loop: Header=BB4_5287 Depth=3
	s_or_b32 exec_lo, exec_lo, s19
	s_waitcnt vmcnt(0) lgkmcnt(0)
	v_cmp_gt_i16_sdwa s19, v14, v115 src0_sel:BYTE_0 src1_sel:DWORD
	s_mov_b32 s16, 0
	s_and_saveexec_b32 s22, s19
	s_xor_b32 s19, exec_lo, s22
	s_cbranch_execz .LBB4_5307
; %bb.5294:                             ;   in Loop: Header=BB4_5287 Depth=3
	v_cmp_eq_u16_sdwa s23, v14, v116 src0_sel:BYTE_0 src1_sel:DWORD
	s_mov_b32 s16, -1
	s_and_saveexec_b32 s22, s23
; %bb.5295:                             ;   in Loop: Header=BB4_5287 Depth=3
	s_xor_b32 s16, exec_lo, -1
; %bb.5296:                             ;   in Loop: Header=BB4_5287 Depth=3
	s_or_b32 exec_lo, exec_lo, s22
	s_and_b32 s16, s16, exec_lo
	s_or_saveexec_b32 s19, s19
	v_mov_b32_e32 v17, 0x7f800001
	s_xor_b32 exec_lo, exec_lo, s19
	s_cbranch_execnz .LBB4_5308
.LBB4_5297:                             ;   in Loop: Header=BB4_5287 Depth=3
	s_or_b32 exec_lo, exec_lo, s19
	s_and_saveexec_b32 s19, s16
	s_cbranch_execz .LBB4_5299
.LBB4_5298:                             ;   in Loop: Header=BB4_5287 Depth=3
	v_and_b32_e32 v17, 3, v14
	v_lshrrev_b16 v19, 2, v14
	v_ffbh_u32_e32 v18, v17
	v_and_b32_e32 v19, 31, v19
	v_min_u32_e32 v18, 32, v18
	v_cmp_eq_u32_e32 vcc_lo, 0, v19
	v_subrev_nc_u32_e32 v20, 29, v18
	v_sub_nc_u32_e32 v18, 30, v18
	v_lshlrev_b32_e32 v20, v20, v14
	v_lshlrev_b32_e32 v14, 24, v14
	v_cndmask_b32_e32 v18, v19, v18, vcc_lo
	v_and_b32_e32 v20, 3, v20
	v_and_b32_e32 v14, 0x80000000, v14
	v_lshl_add_u32 v18, v18, 23, 0x37800000
	v_cndmask_b32_e32 v17, v17, v20, vcc_lo
	v_lshlrev_b32_e32 v17, 21, v17
	v_or3_b32 v17, v14, v18, v17
.LBB4_5299:                             ;   in Loop: Header=BB4_5287 Depth=3
	s_or_b32 exec_lo, exec_lo, s19
	v_mul_f32_e32 v14, v16, v17
	v_and_b32_e32 v16, 0x7f800000, v14
	v_cmp_ne_u32_e32 vcc_lo, 0x7f800000, v16
	v_mov_b32_e32 v16, 0x80
	s_and_saveexec_b32 s19, vcc_lo
	s_cbranch_execz .LBB4_5286
; %bb.5300:                             ;   in Loop: Header=BB4_5287 Depth=3
	v_mov_b32_e32 v16, 0
	s_mov_b32 s22, exec_lo
	v_cmpx_ne_u32_e32 0, v14
	s_cbranch_execz .LBB4_5285
; %bb.5301:                             ;   in Loop: Header=BB4_5287 Depth=3
	v_bfe_u32 v16, v14, 23, 8
	v_and_b32_e32 v17, 0x7fffff, v14
	v_sub_nc_u32_e32 v18, 0x70, v16
	v_cmp_gt_u32_e32 vcc_lo, 0x71, v16
	v_or_b32_e32 v19, 0x800000, v17
	v_cndmask_b32_e32 v18, 0, v18, vcc_lo
	v_cmp_eq_u32_e32 vcc_lo, 0, v16
	v_add_nc_u32_e32 v16, 0xffffff91, v16
	v_cndmask_b32_e64 v18, v18, 0x6f, vcc_lo
	v_cndmask_b32_e32 v17, v19, v17, vcc_lo
	v_cndmask_b32_e64 v16, v16, 0xffffff92, vcc_lo
	v_lshl_add_u32 v19, 0x200000, v18, -1
	v_lshrrev_b32_e32 v20, v18, v17
	v_lshlrev_b32_e64 v22, v18, 0x100000
	v_add_nc_u32_e32 v18, v18, v16
	v_and_b32_e32 v17, v19, v17
	v_bfe_u32 v21, v20, 21, 1
	v_cmp_eq_u32_e64 s16, v17, v22
	v_add_nc_u32_e32 v19, -1, v21
	v_cndmask_b32_e64 v17, 0, v19, s16
	v_lshrrev_b32_e32 v19, 23, v20
	s_mov_b32 s16, exec_lo
	v_add_nc_u32_e32 v17, v17, v20
	v_xor_b32_e32 v19, 1, v19
	v_and_b32_e32 v16, 0x1fffff, v17
	v_add_nc_u32_e32 v17, v16, v20
                                        ; implicit-def: $vgpr16
	v_cmpx_ne_u32_e64 v18, v19
	s_xor_b32 s16, exec_lo, s16
; %bb.5302:                             ;   in Loop: Header=BB4_5287 Depth=3
	v_cmp_lt_u32_e32 vcc_lo, 0xffffff, v17
	v_sub_nc_u32_e32 v16, v18, v19
	v_cndmask_b32_e64 v18, 0, 1, vcc_lo
	v_add_co_ci_u32_e64 v16, null, 0, v16, vcc_lo
	v_lshrrev_b32_e32 v17, v18, v17
; %bb.5303:                             ;   in Loop: Header=BB4_5287 Depth=3
	s_andn2_saveexec_b32 s16, s16
	s_cbranch_execz .LBB4_5284
; %bb.5304:                             ;   in Loop: Header=BB4_5287 Depth=3
	v_bfe_u32 v16, v17, 23, 1
	s_branch .LBB4_5284
.LBB4_5305:                             ;   in Loop: Header=BB4_5287 Depth=3
	s_or_saveexec_b32 s19, s19
	v_mov_b32_e32 v16, 0x7f800001
	s_xor_b32 exec_lo, exec_lo, s19
	s_cbranch_execz .LBB4_5291
.LBB4_5306:                             ;   in Loop: Header=BB4_5287 Depth=3
	v_cmp_ne_u16_e32 vcc_lo, 0, v17
	v_mov_b32_e32 v16, 0
	s_andn2_b32 s16, s16, exec_lo
	s_and_b32 s22, vcc_lo, exec_lo
	s_or_b32 s16, s16, s22
	s_or_b32 exec_lo, exec_lo, s19
	s_and_saveexec_b32 s19, s16
	s_cbranch_execnz .LBB4_5292
	s_branch .LBB4_5293
.LBB4_5307:                             ;   in Loop: Header=BB4_5287 Depth=3
	s_or_saveexec_b32 s19, s19
	v_mov_b32_e32 v17, 0x7f800001
	s_xor_b32 exec_lo, exec_lo, s19
	s_cbranch_execz .LBB4_5297
.LBB4_5308:                             ;   in Loop: Header=BB4_5287 Depth=3
	v_cmp_ne_u16_sdwa s22, v14, v2 src0_sel:BYTE_0 src1_sel:DWORD
	v_mov_b32_e32 v17, 0
	s_andn2_b32 s16, s16, exec_lo
	s_and_b32 s22, s22, exec_lo
	s_or_b32 s16, s16, s22
	s_or_b32 exec_lo, exec_lo, s19
	s_and_saveexec_b32 s19, s16
	s_cbranch_execnz .LBB4_5298
	s_branch .LBB4_5299
.LBB4_5309:                             ;   in Loop: Header=BB4_2055 Depth=2
	s_or_b32 exec_lo, exec_lo, s17
.LBB4_5310:                             ;   in Loop: Header=BB4_2055 Depth=2
	v_cmp_lt_i32_e64 s16, 0, v79
	s_and_saveexec_b32 s17, s6
	s_cbranch_execz .LBB4_2131
.LBB4_5311:                             ;   in Loop: Header=BB4_2055 Depth=2
	s_and_saveexec_b32 s18, s29
	s_xor_b32 s18, exec_lo, s18
	s_cbranch_execz .LBB4_5326
; %bb.5312:                             ;   in Loop: Header=BB4_2055 Depth=2
	s_and_saveexec_b32 s19, s11
	s_cbranch_execz .LBB4_5325
; %bb.5313:                             ;   in Loop: Header=BB4_2055 Depth=2
	s_mov_b32 s23, exec_lo
	s_mov_b32 s22, exec_lo
	v_mbcnt_lo_u32_b32 v8, s23, 0
	s_waitcnt vmcnt(0) lgkmcnt(0)
	s_waitcnt_vscnt null, 0x0
	buffer_gl1_inv
	buffer_gl0_inv
	v_cmpx_eq_u32_e32 0, v8
	s_cbranch_execz .LBB4_5315
; %bb.5314:                             ;   in Loop: Header=BB4_2055 Depth=2
	s_bcnt1_i32_b32 s23, s23
	v_mov_b32_e32 v9, v2
	v_mov_b32_e32 v8, s23
	ds_add_u64 v0, v[8:9]
	s_trap 2
.LBB4_5315:                             ;   in Loop: Header=BB4_2055 Depth=2
	s_or_b32 exec_lo, exec_lo, s22
	s_trap 2
	ds_read_b64 v[8:9], v0
	s_waitcnt lgkmcnt(0)
	buffer_gl0_inv
	v_add_co_u32 v38, vcc_lo, v38, v103
	v_add_co_ci_u32_e64 v39, null, 0, v39, vcc_lo
	s_mov_b32 s22, exec_lo
	v_cmpx_lt_u64_e64 v[8:9], v[38:39]
	s_cbranch_execz .LBB4_5324
; %bb.5316:                             ;   in Loop: Header=BB4_2055 Depth=2
	s_mov_b32 s23, 0
	s_mov_b32 s74, 0
                                        ; implicit-def: $sgpr72
                                        ; implicit-def: $sgpr73
	s_inst_prefetch 0x1
	s_branch .LBB4_5318
	.p2align	6
.LBB4_5317:                             ;   in Loop: Header=BB4_5318 Depth=3
	s_or_b32 exec_lo, exec_lo, s76
	s_and_b32 s75, exec_lo, s77
	s_or_b32 s23, s75, s23
	s_andn2_b32 s72, s72, exec_lo
	s_and_b32 s75, s73, exec_lo
	s_or_b32 s72, s72, s75
	s_andn2_b32 exec_lo, exec_lo, s23
	s_cbranch_execz .LBB4_5322
.LBB4_5318:                             ;   Parent Loop BB4_47 Depth=1
                                        ;     Parent Loop BB4_2055 Depth=2
                                        ; =>    This Inner Loop Header: Depth=3
	s_add_i32 s74, s74, 1
	s_cmpk_lg_i32 s74, 0x2710
	s_cselect_b32 s75, -1, 0
	s_and_b32 vcc_lo, exec_lo, s75
	s_cbranch_vccz .LBB4_5320
; %bb.5319:                             ;   in Loop: Header=BB4_5318 Depth=3
	s_mov_b32 s77, -1
	s_or_b32 s73, s73, exec_lo
	s_and_saveexec_b32 s76, s75
	s_cbranch_execz .LBB4_5317
	s_branch .LBB4_5321
	.p2align	6
.LBB4_5320:                             ;   in Loop: Header=BB4_5318 Depth=3
	s_trap 2
	ds_read_b64 v[8:9], v0
	s_andn2_b32 s75, s75, exec_lo
	s_mov_b32 s74, 0
	s_waitcnt lgkmcnt(0)
	flat_load_dword v8, v[8:9] glc dlc
	s_waitcnt vmcnt(0) lgkmcnt(0)
	buffer_gl1_inv
	buffer_gl0_inv
	v_cmp_eq_u32_e32 vcc_lo, 0, v8
	s_and_b32 s76, vcc_lo, exec_lo
	s_or_b32 s75, s75, s76
	s_mov_b32 s77, -1
	s_or_b32 s73, s73, exec_lo
	s_and_saveexec_b32 s76, s75
	s_cbranch_execz .LBB4_5317
.LBB4_5321:                             ;   in Loop: Header=BB4_5318 Depth=3
	s_sleep 1
	s_trap 2
	ds_read_b64 v[8:9], v0
	s_waitcnt lgkmcnt(0)
	buffer_gl0_inv
	s_andn2_b32 s73, s73, exec_lo
	v_cmp_ge_u64_e32 vcc_lo, v[8:9], v[38:39]
	s_orn2_b32 s77, vcc_lo, exec_lo
	s_branch .LBB4_5317
.LBB4_5322:                             ;   in Loop: Header=BB4_2055 Depth=2
	s_inst_prefetch 0x2
	s_or_b32 exec_lo, exec_lo, s23
	s_and_saveexec_b32 s23, s72
	s_xor_b32 s23, exec_lo, s23
	s_cbranch_execz .LBB4_5324
; %bb.5323:                             ;   in Loop: Header=BB4_2055 Depth=2
	ds_write_b32 v0, v113
	s_trap 2
.LBB4_5324:                             ;   in Loop: Header=BB4_2055 Depth=2
	s_or_b32 exec_lo, exec_lo, s22
	;;#ASMSTART
	s_wakeup
	;;#ASMEND
.LBB4_5325:                             ;   in Loop: Header=BB4_2055 Depth=2
	s_or_b32 exec_lo, exec_lo, s19
.LBB4_5326:                             ;   in Loop: Header=BB4_2055 Depth=2
	s_andn2_saveexec_b32 s18, s18
	s_cbranch_execz .LBB4_5328
; %bb.5327:                             ;   in Loop: Header=BB4_2055 Depth=2
	s_waitcnt vmcnt(0) lgkmcnt(0)
	s_waitcnt_vscnt null, 0x0
	buffer_gl1_inv
	buffer_gl0_inv
	s_barrier
.LBB4_5328:                             ;   in Loop: Header=BB4_2055 Depth=2
	s_or_b32 exec_lo, exec_lo, s18
	s_or_b32 exec_lo, exec_lo, s17
                                        ; implicit-def: $vgpr8
	s_and_saveexec_b32 s17, s13
	s_xor_b32 s17, exec_lo, s17
	s_cbranch_execnz .LBB4_2132
.LBB4_5329:                             ;   in Loop: Header=BB4_2055 Depth=2
	s_andn2_saveexec_b32 s16, s17
	s_cbranch_execz .LBB4_5348
.LBB4_5330:                             ;   in Loop: Header=BB4_2055 Depth=2
	s_and_saveexec_b32 s17, s29
	s_xor_b32 s17, exec_lo, s17
	s_cbranch_execz .LBB4_5345
; %bb.5331:                             ;   in Loop: Header=BB4_2055 Depth=2
	s_and_saveexec_b32 s18, s11
	s_cbranch_execz .LBB4_5344
; %bb.5332:                             ;   in Loop: Header=BB4_2055 Depth=2
	s_mov_b32 s22, exec_lo
	s_mov_b32 s19, exec_lo
	v_mbcnt_lo_u32_b32 v8, s22, 0
	;;#ASMSTART
	s_waitcnt lgkmcnt(0) vmcnt(0)
	;;#ASMEND
	v_cmpx_eq_u32_e32 0, v8
	s_cbranch_execz .LBB4_5334
; %bb.5333:                             ;   in Loop: Header=BB4_2055 Depth=2
	s_bcnt1_i32_b32 s22, s22
	v_mov_b32_e32 v9, v2
	v_mov_b32_e32 v8, s22
	s_waitcnt vmcnt(0) lgkmcnt(0)
	s_waitcnt_vscnt null, 0x0
	ds_add_u64 v0, v[8:9]
	s_trap 2
.LBB4_5334:                             ;   in Loop: Header=BB4_2055 Depth=2
	s_or_b32 exec_lo, exec_lo, s19
	s_trap 2
	ds_read_b64 v[8:9], v0
	s_waitcnt vmcnt(0) lgkmcnt(0)
	buffer_gl0_inv
	v_add_co_u32 v38, vcc_lo, v38, v103
	v_add_co_ci_u32_e64 v39, null, 0, v39, vcc_lo
	s_mov_b32 s19, exec_lo
	v_cmpx_lt_u64_e64 v[8:9], v[38:39]
	s_cbranch_execz .LBB4_5343
; %bb.5335:                             ;   in Loop: Header=BB4_2055 Depth=2
	s_mov_b32 s22, 0
	s_mov_b32 s73, 0
                                        ; implicit-def: $sgpr23
                                        ; implicit-def: $sgpr72
	s_inst_prefetch 0x1
	s_branch .LBB4_5337
	.p2align	6
.LBB4_5336:                             ;   in Loop: Header=BB4_5337 Depth=3
	s_or_b32 exec_lo, exec_lo, s75
	s_and_b32 s74, exec_lo, s76
	s_or_b32 s22, s74, s22
	s_andn2_b32 s23, s23, exec_lo
	s_and_b32 s74, s72, exec_lo
	s_or_b32 s23, s23, s74
	s_andn2_b32 exec_lo, exec_lo, s22
	s_cbranch_execz .LBB4_5341
.LBB4_5337:                             ;   Parent Loop BB4_47 Depth=1
                                        ;     Parent Loop BB4_2055 Depth=2
                                        ; =>    This Inner Loop Header: Depth=3
	s_add_i32 s73, s73, 1
	s_cmpk_lg_i32 s73, 0x2710
	s_cselect_b32 s74, -1, 0
	s_and_b32 vcc_lo, exec_lo, s74
	s_cbranch_vccz .LBB4_5339
; %bb.5338:                             ;   in Loop: Header=BB4_5337 Depth=3
	s_mov_b32 s76, -1
	s_or_b32 s72, s72, exec_lo
	s_and_saveexec_b32 s75, s74
	s_cbranch_execz .LBB4_5336
	s_branch .LBB4_5340
	.p2align	6
.LBB4_5339:                             ;   in Loop: Header=BB4_5337 Depth=3
	s_trap 2
	ds_read_b64 v[8:9], v0
	s_andn2_b32 s74, s74, exec_lo
	s_mov_b32 s73, 0
	s_waitcnt lgkmcnt(0)
	s_waitcnt_vscnt null, 0x0
	flat_load_dword v8, v[8:9] glc dlc
	s_waitcnt vmcnt(0) lgkmcnt(0)
	buffer_gl1_inv
	buffer_gl0_inv
	v_cmp_eq_u32_e32 vcc_lo, 0, v8
	s_and_b32 s75, vcc_lo, exec_lo
	s_or_b32 s74, s74, s75
	s_mov_b32 s76, -1
	s_or_b32 s72, s72, exec_lo
	s_and_saveexec_b32 s75, s74
	s_cbranch_execz .LBB4_5336
.LBB4_5340:                             ;   in Loop: Header=BB4_5337 Depth=3
	s_sleep 1
	s_trap 2
	ds_read_b64 v[8:9], v0
	s_waitcnt lgkmcnt(0)
	buffer_gl0_inv
	s_andn2_b32 s72, s72, exec_lo
	v_cmp_ge_u64_e32 vcc_lo, v[8:9], v[38:39]
	s_orn2_b32 s76, vcc_lo, exec_lo
	s_branch .LBB4_5336
.LBB4_5341:                             ;   in Loop: Header=BB4_2055 Depth=2
	s_inst_prefetch 0x2
	s_or_b32 exec_lo, exec_lo, s22
	s_and_saveexec_b32 s22, s23
	s_xor_b32 s22, exec_lo, s22
	s_cbranch_execz .LBB4_5343
; %bb.5342:                             ;   in Loop: Header=BB4_2055 Depth=2
	ds_write_b32 v0, v113
	s_trap 2
.LBB4_5343:                             ;   in Loop: Header=BB4_2055 Depth=2
	s_or_b32 exec_lo, exec_lo, s19
	;;#ASMSTART
	s_wakeup
	;;#ASMEND
.LBB4_5344:                             ;   in Loop: Header=BB4_2055 Depth=2
	s_or_b32 exec_lo, exec_lo, s18
.LBB4_5345:                             ;   in Loop: Header=BB4_2055 Depth=2
	s_andn2_saveexec_b32 s17, s17
	s_cbranch_execz .LBB4_5347
; %bb.5346:                             ;   in Loop: Header=BB4_2055 Depth=2
	;;#ASMSTART
	s_waitcnt lgkmcnt(0) vmcnt(0)
	;;#ASMEND
	s_barrier
.LBB4_5347:                             ;   in Loop: Header=BB4_2055 Depth=2
	s_or_b32 exec_lo, exec_lo, s17
	v_and_b32_e32 v8, 16, v100
.LBB4_5348:                             ;   in Loop: Header=BB4_2055 Depth=2
	s_or_b32 exec_lo, exec_lo, s16
	v_cmp_ne_u32_e32 vcc_lo, 0, v8
	s_xor_b32 s16, s7, -1
	s_and_b32 s17, vcc_lo, s16
	s_and_saveexec_b32 s16, s17
	s_cbranch_execz .LBB4_5350
; %bb.5349:                             ;   in Loop: Header=BB4_2055 Depth=2
	s_waitcnt vmcnt(0) lgkmcnt(0)
	s_waitcnt_vscnt null, 0x0
	flat_store_dword v[36:37], v113
.LBB4_5350:                             ;   in Loop: Header=BB4_2055 Depth=2
	s_or_b32 exec_lo, exec_lo, s16
	v_and_b32_e32 v8, 48, v100
	s_mov_b32 s16, exec_lo
	v_cmpx_ne_u32_e32 0, v8
	s_cbranch_execz .LBB4_2054
; %bb.5351:                             ;   in Loop: Header=BB4_2055 Depth=2
	v_add_co_u32 v64, vcc_lo, v64, 2
	v_add_co_ci_u32_e64 v65, null, 0, v65, vcc_lo
	s_waitcnt vmcnt(0) lgkmcnt(0)
	s_waitcnt_vscnt null, 0x0
	flat_store_dwordx2 v[32:33], v[64:65]
	s_branch .LBB4_2054
.LBB4_5352:                             ;   in Loop: Header=BB4_47 Depth=1
	s_or_b32 exec_lo, exec_lo, s61
.LBB4_5353:                             ;   in Loop: Header=BB4_47 Depth=1
	s_or_b32 exec_lo, exec_lo, s21
	s_mov_b32 s17, exec_lo
	v_cmpx_gt_i32_e32 2, v10
	s_cbranch_execz .LBB4_5429
; %bb.5354:                             ;   in Loop: Header=BB4_47 Depth=1
	v_cmp_eq_u32_e64 s19, 0, v10
	s_mov_b32 s18, 0
	s_branch .LBB4_5356
.LBB4_5355:                             ;   in Loop: Header=BB4_5356 Depth=2
	s_or_b32 exec_lo, exec_lo, s16
	v_add_nc_u32_e32 v71, v68, v71
	s_mov_b32 s19, 0
	s_andn2_b32 exec_lo, exec_lo, s18
	s_cbranch_execz .LBB4_5428
.LBB4_5356:                             ;   Parent Loop BB4_47 Depth=1
                                        ; =>  This Loop Header: Depth=2
                                        ;       Child Loop BB4_5362 Depth 3
                                        ;       Child Loop BB4_5390 Depth 3
	;; [unrolled: 1-line block ×3, first 2 shown]
	v_sub_nc_u32_e32 v8, v3, v71
	v_and_b32_e32 v9, 12, v100
	s_mov_b32 s21, exec_lo
	v_min_i32_e32 v68, v68, v8
	v_cmpx_ne_u32_e32 0, v9
	s_cbranch_execz .LBB4_5382
; %bb.5357:                             ;   in Loop: Header=BB4_5356 Depth=2
	v_and_b32_e32 v16, 8, v100
	s_mov_b32 s22, exec_lo
	s_waitcnt vmcnt(0) lgkmcnt(1)
	v_add_co_u32 v10, vcc_lo, v48, v16
	v_add_co_ci_u32_e64 v11, null, 0, v49, vcc_lo
	v_add_co_u32 v8, vcc_lo, v64, 2
	v_add_co_ci_u32_e64 v9, null, 0, v65, vcc_lo
	v_cmpx_lt_u64_e64 v[10:11], v[8:9]
	s_cbranch_execz .LBB4_5369
; %bb.5358:                             ;   in Loop: Header=BB4_5356 Depth=2
	v_and_b32_e32 v10, 64, v100
	s_mov_b32 s23, 0
	s_mov_b32 s72, 0
                                        ; implicit-def: $sgpr61
                                        ; implicit-def: $sgpr62
                                        ; implicit-def: $sgpr63
	v_cmp_eq_u32_e32 vcc_lo, 0, v10
	s_branch .LBB4_5362
.LBB4_5359:                             ;   in Loop: Header=BB4_5362 Depth=3
	s_waitcnt vmcnt(0) lgkmcnt(0)
	v_add_co_u32 v11, s16, v48, v16
	v_add_co_ci_u32_e64 v12, null, 0, v49, s16
	s_or_b32 s75, s75, exec_lo
	v_cmp_ge_u64_e64 s16, v[11:12], v[8:9]
	s_orn2_b32 s74, s16, exec_lo
.LBB4_5360:                             ;   in Loop: Header=BB4_5362 Depth=3
	s_or_b32 exec_lo, exec_lo, s77
	s_andn2_b32 s16, s63, exec_lo
	s_and_b32 s63, s75, exec_lo
	s_andn2_b32 s62, s62, exec_lo
	s_and_b32 s74, s74, exec_lo
	s_or_b32 s63, s16, s63
	s_or_b32 s62, s62, s74
.LBB4_5361:                             ;   in Loop: Header=BB4_5362 Depth=3
	s_or_b32 exec_lo, exec_lo, s73
	s_and_b32 s16, exec_lo, s62
	s_or_b32 s23, s16, s23
	s_andn2_b32 s16, s61, exec_lo
	s_and_b32 s61, s63, exec_lo
	s_or_b32 s61, s16, s61
	s_andn2_b32 exec_lo, exec_lo, s23
	s_cbranch_execz .LBB4_5366
.LBB4_5362:                             ;   Parent Loop BB4_47 Depth=1
                                        ;     Parent Loop BB4_5356 Depth=2
                                        ; =>    This Inner Loop Header: Depth=3
	s_sleep 1
	s_waitcnt vmcnt(0) lgkmcnt(0)
	flat_load_dwordx2 v[48:49], v[32:33] glc dlc
	s_or_b32 s63, s63, exec_lo
	s_or_b32 s62, s62, exec_lo
                                        ; implicit-def: $vgpr10
	s_and_saveexec_b32 s73, vcc_lo
	s_cbranch_execz .LBB4_5361
; %bb.5363:                             ;   in Loop: Header=BB4_5362 Depth=3
	s_cmpk_lt_i32 s72, 0x270f
	s_mov_b32 s74, -1
	s_cselect_b32 s76, -1, 0
	s_cmpk_gt_i32 s72, 0x270e
	s_cbranch_scc0 .LBB4_5365
; %bb.5364:                             ;   in Loop: Header=BB4_5362 Depth=3
	s_trap 2
	ds_read_b64 v[10:11], v0
	s_andn2_b32 s72, s76, exec_lo
	s_mov_b32 s75, 0
	s_waitcnt vmcnt(0) lgkmcnt(0)
	s_waitcnt_vscnt null, 0x0
	flat_load_dword v10, v[10:11] glc dlc
	s_waitcnt vmcnt(0) lgkmcnt(0)
	buffer_gl1_inv
	buffer_gl0_inv
	v_cmp_eq_u32_e64 s16, 0, v10
	s_and_b32 s16, s16, exec_lo
	s_or_b32 s76, s72, s16
	s_mov_b32 s72, 0
	s_and_saveexec_b32 s77, s76
	s_cbranch_execz .LBB4_5360
	s_branch .LBB4_5359
.LBB4_5365:                             ;   in Loop: Header=BB4_5362 Depth=3
	s_add_i32 s72, s72, 1
	s_mov_b32 s75, -1
                                        ; implicit-def: $vgpr10
	s_and_saveexec_b32 s77, s76
	s_cbranch_execz .LBB4_5360
	s_branch .LBB4_5359
.LBB4_5366:                             ;   in Loop: Header=BB4_5356 Depth=2
	s_or_b32 exec_lo, exec_lo, s23
	s_xor_b32 s16, s61, -1
	s_and_saveexec_b32 s23, s16
	s_xor_b32 s16, exec_lo, s23
	s_cbranch_execz .LBB4_5368
; %bb.5367:                             ;   in Loop: Header=BB4_5356 Depth=2
	v_or_b32_e32 v100, 64, v100
	s_waitcnt vmcnt(0) lgkmcnt(0)
	s_waitcnt_vscnt null, 0x0
	ds_write_b32 v0, v10
	s_trap 2
.LBB4_5368:                             ;   in Loop: Header=BB4_5356 Depth=2
	s_or_b32 exec_lo, exec_lo, s16
.LBB4_5369:                             ;   in Loop: Header=BB4_5356 Depth=2
	s_or_b32 exec_lo, exec_lo, s22
	v_and_b32_e32 v10, 0x108, v100
	;;#ASMSTART
	s_wakeup
	;;#ASMEND
	v_cmp_ne_u32_e32 vcc_lo, 0x108, v10
                                        ; implicit-def: $vgpr10_vgpr11
	s_and_saveexec_b32 s16, vcc_lo
	s_xor_b32 s16, exec_lo, s16
; %bb.5370:                             ;   in Loop: Header=BB4_5356 Depth=2
	v_and_b32_e32 v10, 7, v64
	v_mov_b32_e32 v11, v2
                                        ; implicit-def: $vgpr64_vgpr65
; %bb.5371:                             ;   in Loop: Header=BB4_5356 Depth=2
	s_andn2_saveexec_b32 s16, s16
	s_cbranch_execz .LBB4_5373
; %bb.5372:                             ;   in Loop: Header=BB4_5356 Depth=2
	v_and_b32_e32 v10, 7, v64
	v_ashrrev_i32_e32 v69, 31, v68
	v_mov_b32_e32 v11, v2
	v_mad_u64_u32 v[12:13], null, v10, 24, v[6:7]
	flat_store_dwordx2 v[12:13], v[68:69] offset:8
.LBB4_5373:                             ;   in Loop: Header=BB4_5356 Depth=2
	s_or_b32 exec_lo, exec_lo, s16
	v_and_b32_e32 v12, 0x100, v100
	s_mov_b32 s16, -1
	v_cmp_ne_u32_e32 vcc_lo, 0, v12
                                        ; implicit-def: $vgpr12_vgpr13
	s_and_saveexec_b32 s22, vcc_lo
	s_cbranch_execz .LBB4_5377
; %bb.5374:                             ;   in Loop: Header=BB4_5356 Depth=2
	v_mad_u64_u32 v[14:15], null, v10, 24, v[6:7]
	v_mov_b32_e32 v12, v15
	v_mad_u64_u32 v[12:13], null, v11, 24, v[12:13]
	v_mov_b32_e32 v15, v12
	flat_load_dword v12, v[14:15]
	s_waitcnt vmcnt(0) lgkmcnt(0)
	v_cmp_eq_u32_e64 s16, 1, v12
	v_cmp_ne_u32_e32 vcc_lo, 1, v12
                                        ; implicit-def: $vgpr12_vgpr13
	s_and_saveexec_b32 s23, s16
	s_cbranch_execz .LBB4_5376
; %bb.5375:                             ;   in Loop: Header=BB4_5356 Depth=2
	flat_load_dword v12, v[14:15] offset:4 glc dlc
	s_waitcnt vmcnt(0) lgkmcnt(0)
	v_ashrrev_i32_e32 v13, 31, v12
.LBB4_5376:                             ;   in Loop: Header=BB4_5356 Depth=2
	s_or_b32 exec_lo, exec_lo, s23
	s_orn2_b32 s16, vcc_lo, exec_lo
.LBB4_5377:                             ;   in Loop: Header=BB4_5356 Depth=2
	s_or_b32 exec_lo, exec_lo, s22
	s_and_saveexec_b32 s22, s16
; %bb.5378:                             ;   in Loop: Header=BB4_5356 Depth=2
	v_mul_lo_u32 v11, v11, v101
	v_mul_lo_u32 v14, v10, v102
	v_mad_u64_u32 v[12:13], null, v10, v101, 0
	v_add3_u32 v13, v13, v14, v11
; %bb.5379:                             ;   in Loop: Header=BB4_5356 Depth=2
	s_or_b32 exec_lo, exec_lo, s22
	v_cmp_eq_u32_e32 vcc_lo, 0, v16
	v_and_b32_e32 v15, 0x2000, v100
	s_mov_b32 s16, exec_lo
	v_cndmask_b32_e32 v14, 0xd0, v114, vcc_lo
	v_add_co_u32 v10, vcc_lo, v34, v12
	v_add_co_ci_u32_e64 v11, null, v35, v13, vcc_lo
	v_add_nc_u32_e32 v12, v0, v14
	ds_write_b64 v12, v[10:11] offset:584
	v_cmpx_ne_u32_e32 0, v15
	s_cbranch_execz .LBB4_5381
; %bb.5380:                             ;   in Loop: Header=BB4_5356 Depth=2
	ds_read_b64 v[10:11], v0 offset:872
	s_waitcnt lgkmcnt(0)
	v_add_co_u32 v10, vcc_lo, v10, 1
	v_add_co_ci_u32_e64 v11, null, 0, v11, vcc_lo
	ds_write_b64 v0, v[10:11] offset:872
.LBB4_5381:                             ;   in Loop: Header=BB4_5356 Depth=2
	s_or_b32 exec_lo, exec_lo, s16
	v_mov_b32_e32 v65, v9
	v_mov_b32_e32 v64, v8
.LBB4_5382:                             ;   in Loop: Header=BB4_5356 Depth=2
	s_or_b32 exec_lo, exec_lo, s21
	s_xor_b32 s16, s19, -1
	s_and_b32 s16, exec_lo, s16
	s_or_b32 s18, s16, s18
	s_and_saveexec_b32 s16, s6
	s_cbranch_execz .LBB4_5401
; %bb.5383:                             ;   in Loop: Header=BB4_5356 Depth=2
	s_and_saveexec_b32 s19, s29
	s_xor_b32 s19, exec_lo, s19
	s_cbranch_execz .LBB4_5398
; %bb.5384:                             ;   in Loop: Header=BB4_5356 Depth=2
	s_and_saveexec_b32 s21, s11
	s_cbranch_execz .LBB4_5397
; %bb.5385:                             ;   in Loop: Header=BB4_5356 Depth=2
	s_mov_b32 s23, exec_lo
	s_mov_b32 s22, exec_lo
	v_mbcnt_lo_u32_b32 v8, s23, 0
	s_waitcnt vmcnt(0) lgkmcnt(0)
	s_waitcnt_vscnt null, 0x0
	buffer_gl1_inv
	buffer_gl0_inv
	v_cmpx_eq_u32_e32 0, v8
	s_cbranch_execz .LBB4_5387
; %bb.5386:                             ;   in Loop: Header=BB4_5356 Depth=2
	s_bcnt1_i32_b32 s23, s23
	v_mov_b32_e32 v9, v2
	v_mov_b32_e32 v8, s23
	ds_add_u64 v0, v[8:9]
	s_trap 2
.LBB4_5387:                             ;   in Loop: Header=BB4_5356 Depth=2
	s_or_b32 exec_lo, exec_lo, s22
	s_trap 2
	ds_read_b64 v[8:9], v0
	s_waitcnt lgkmcnt(0)
	buffer_gl0_inv
	v_add_co_u32 v38, vcc_lo, v38, v103
	v_add_co_ci_u32_e64 v39, null, 0, v39, vcc_lo
	s_mov_b32 s22, exec_lo
	v_cmpx_lt_u64_e64 v[8:9], v[38:39]
	s_cbranch_execz .LBB4_5396
; %bb.5388:                             ;   in Loop: Header=BB4_5356 Depth=2
	s_mov_b32 s23, 0
	s_mov_b32 s63, 0
                                        ; implicit-def: $sgpr61
                                        ; implicit-def: $sgpr62
	s_inst_prefetch 0x1
	s_branch .LBB4_5390
	.p2align	6
.LBB4_5389:                             ;   in Loop: Header=BB4_5390 Depth=3
	s_or_b32 exec_lo, exec_lo, s73
	s_and_b32 s72, exec_lo, s74
	s_or_b32 s23, s72, s23
	s_andn2_b32 s61, s61, exec_lo
	s_and_b32 s72, s62, exec_lo
	s_or_b32 s61, s61, s72
	s_andn2_b32 exec_lo, exec_lo, s23
	s_cbranch_execz .LBB4_5394
.LBB4_5390:                             ;   Parent Loop BB4_47 Depth=1
                                        ;     Parent Loop BB4_5356 Depth=2
                                        ; =>    This Inner Loop Header: Depth=3
	s_add_i32 s63, s63, 1
	s_cmpk_lg_i32 s63, 0x2710
	s_cselect_b32 s72, -1, 0
	s_and_b32 vcc_lo, exec_lo, s72
	s_cbranch_vccz .LBB4_5392
; %bb.5391:                             ;   in Loop: Header=BB4_5390 Depth=3
	s_mov_b32 s74, -1
	s_or_b32 s62, s62, exec_lo
	s_and_saveexec_b32 s73, s72
	s_cbranch_execz .LBB4_5389
	s_branch .LBB4_5393
	.p2align	6
.LBB4_5392:                             ;   in Loop: Header=BB4_5390 Depth=3
	s_trap 2
	ds_read_b64 v[8:9], v0
	s_andn2_b32 s72, s72, exec_lo
	s_mov_b32 s63, 0
	s_waitcnt lgkmcnt(0)
	flat_load_dword v8, v[8:9] glc dlc
	s_waitcnt vmcnt(0) lgkmcnt(0)
	buffer_gl1_inv
	buffer_gl0_inv
	v_cmp_eq_u32_e32 vcc_lo, 0, v8
	s_and_b32 s73, vcc_lo, exec_lo
	s_or_b32 s72, s72, s73
	s_mov_b32 s74, -1
	s_or_b32 s62, s62, exec_lo
	s_and_saveexec_b32 s73, s72
	s_cbranch_execz .LBB4_5389
.LBB4_5393:                             ;   in Loop: Header=BB4_5390 Depth=3
	s_sleep 1
	s_trap 2
	ds_read_b64 v[8:9], v0
	s_waitcnt lgkmcnt(0)
	buffer_gl0_inv
	s_andn2_b32 s62, s62, exec_lo
	v_cmp_ge_u64_e32 vcc_lo, v[8:9], v[38:39]
	s_orn2_b32 s74, vcc_lo, exec_lo
	s_branch .LBB4_5389
.LBB4_5394:                             ;   in Loop: Header=BB4_5356 Depth=2
	s_inst_prefetch 0x2
	s_or_b32 exec_lo, exec_lo, s23
	s_and_saveexec_b32 s23, s61
	s_xor_b32 s23, exec_lo, s23
	s_cbranch_execz .LBB4_5396
; %bb.5395:                             ;   in Loop: Header=BB4_5356 Depth=2
	ds_write_b32 v0, v113
	s_trap 2
.LBB4_5396:                             ;   in Loop: Header=BB4_5356 Depth=2
	s_or_b32 exec_lo, exec_lo, s22
	;;#ASMSTART
	s_wakeup
	;;#ASMEND
.LBB4_5397:                             ;   in Loop: Header=BB4_5356 Depth=2
	s_or_b32 exec_lo, exec_lo, s21
.LBB4_5398:                             ;   in Loop: Header=BB4_5356 Depth=2
	s_andn2_saveexec_b32 s19, s19
	s_cbranch_execz .LBB4_5400
; %bb.5399:                             ;   in Loop: Header=BB4_5356 Depth=2
	s_waitcnt vmcnt(0) lgkmcnt(0)
	s_waitcnt_vscnt null, 0x0
	buffer_gl1_inv
	buffer_gl0_inv
	s_barrier
.LBB4_5400:                             ;   in Loop: Header=BB4_5356 Depth=2
	s_or_b32 exec_lo, exec_lo, s19
.LBB4_5401:                             ;   in Loop: Header=BB4_5356 Depth=2
	s_or_b32 exec_lo, exec_lo, s16
                                        ; implicit-def: $vgpr8
	s_and_saveexec_b32 s16, s13
	s_xor_b32 s19, exec_lo, s16
	s_cbranch_execz .LBB4_5405
; %bb.5402:                             ;   in Loop: Header=BB4_5356 Depth=2
	s_trap 2
	ds_read_b32 v8, v0
	v_cmp_lt_i32_e32 vcc_lo, 0, v68
	s_waitcnt lgkmcnt(0)
	v_readfirstlane_b32 s16, v8
	v_and_b32_e32 v8, 16, v100
	s_cmp_eq_u32 s16, 0
	v_cmp_ne_u32_e64 s16, 0, v8
	s_cselect_b32 s21, -1, 0
	v_and_b32_e32 v8, 16, v100
	s_and_b32 s21, vcc_lo, s21
	s_and_b32 s21, s16, s21
	s_and_saveexec_b32 s16, s21
	s_cbranch_execz .LBB4_5404
; %bb.5403:                             ;   in Loop: Header=BB4_5356 Depth=2
	v_mov_b32_e32 v8, 1
	s_waitcnt vmcnt(0)
	s_waitcnt_vscnt null, 0x0
	buffer_gl1_inv
	buffer_gl0_inv
.LBB4_5404:                             ;   in Loop: Header=BB4_5356 Depth=2
	s_or_b32 exec_lo, exec_lo, s16
	s_andn2_saveexec_b32 s16, s19
	s_cbranch_execz .LBB4_5424
	s_branch .LBB4_5406
.LBB4_5405:                             ;   in Loop: Header=BB4_5356 Depth=2
	s_andn2_saveexec_b32 s16, s19
	s_cbranch_execz .LBB4_5424
.LBB4_5406:                             ;   in Loop: Header=BB4_5356 Depth=2
	s_and_saveexec_b32 s19, s29
	s_xor_b32 s19, exec_lo, s19
	s_cbranch_execz .LBB4_5421
; %bb.5407:                             ;   in Loop: Header=BB4_5356 Depth=2
	s_and_saveexec_b32 s21, s11
	s_cbranch_execz .LBB4_5420
; %bb.5408:                             ;   in Loop: Header=BB4_5356 Depth=2
	s_mov_b32 s23, exec_lo
	s_mov_b32 s22, exec_lo
	v_mbcnt_lo_u32_b32 v8, s23, 0
	;;#ASMSTART
	s_waitcnt lgkmcnt(0) vmcnt(0)
	;;#ASMEND
	v_cmpx_eq_u32_e32 0, v8
	s_cbranch_execz .LBB4_5410
; %bb.5409:                             ;   in Loop: Header=BB4_5356 Depth=2
	s_bcnt1_i32_b32 s23, s23
	v_mov_b32_e32 v9, v2
	v_mov_b32_e32 v8, s23
	s_waitcnt vmcnt(0) lgkmcnt(0)
	s_waitcnt_vscnt null, 0x0
	ds_add_u64 v0, v[8:9]
	s_trap 2
.LBB4_5410:                             ;   in Loop: Header=BB4_5356 Depth=2
	s_or_b32 exec_lo, exec_lo, s22
	s_trap 2
	ds_read_b64 v[8:9], v0
	s_waitcnt vmcnt(0) lgkmcnt(0)
	buffer_gl0_inv
	v_add_co_u32 v38, vcc_lo, v38, v103
	v_add_co_ci_u32_e64 v39, null, 0, v39, vcc_lo
	s_mov_b32 s22, exec_lo
	v_cmpx_lt_u64_e64 v[8:9], v[38:39]
	s_cbranch_execz .LBB4_5419
; %bb.5411:                             ;   in Loop: Header=BB4_5356 Depth=2
	s_mov_b32 s23, 0
	s_mov_b32 s63, 0
                                        ; implicit-def: $sgpr61
                                        ; implicit-def: $sgpr62
	s_inst_prefetch 0x1
	s_branch .LBB4_5413
	.p2align	6
.LBB4_5412:                             ;   in Loop: Header=BB4_5413 Depth=3
	s_or_b32 exec_lo, exec_lo, s73
	s_and_b32 s72, exec_lo, s74
	s_or_b32 s23, s72, s23
	s_andn2_b32 s61, s61, exec_lo
	s_and_b32 s72, s62, exec_lo
	s_or_b32 s61, s61, s72
	s_andn2_b32 exec_lo, exec_lo, s23
	s_cbranch_execz .LBB4_5417
.LBB4_5413:                             ;   Parent Loop BB4_47 Depth=1
                                        ;     Parent Loop BB4_5356 Depth=2
                                        ; =>    This Inner Loop Header: Depth=3
	s_add_i32 s63, s63, 1
	s_cmpk_lg_i32 s63, 0x2710
	s_cselect_b32 s72, -1, 0
	s_and_b32 vcc_lo, exec_lo, s72
	s_cbranch_vccz .LBB4_5415
; %bb.5414:                             ;   in Loop: Header=BB4_5413 Depth=3
	s_mov_b32 s74, -1
	s_or_b32 s62, s62, exec_lo
	s_and_saveexec_b32 s73, s72
	s_cbranch_execz .LBB4_5412
	s_branch .LBB4_5416
	.p2align	6
.LBB4_5415:                             ;   in Loop: Header=BB4_5413 Depth=3
	s_trap 2
	ds_read_b64 v[8:9], v0
	s_andn2_b32 s72, s72, exec_lo
	s_mov_b32 s63, 0
	s_waitcnt lgkmcnt(0)
	s_waitcnt_vscnt null, 0x0
	flat_load_dword v8, v[8:9] glc dlc
	s_waitcnt vmcnt(0) lgkmcnt(0)
	buffer_gl1_inv
	buffer_gl0_inv
	v_cmp_eq_u32_e32 vcc_lo, 0, v8
	s_and_b32 s73, vcc_lo, exec_lo
	s_or_b32 s72, s72, s73
	s_mov_b32 s74, -1
	s_or_b32 s62, s62, exec_lo
	s_and_saveexec_b32 s73, s72
	s_cbranch_execz .LBB4_5412
.LBB4_5416:                             ;   in Loop: Header=BB4_5413 Depth=3
	s_sleep 1
	s_trap 2
	ds_read_b64 v[8:9], v0
	s_waitcnt lgkmcnt(0)
	buffer_gl0_inv
	s_andn2_b32 s62, s62, exec_lo
	v_cmp_ge_u64_e32 vcc_lo, v[8:9], v[38:39]
	s_orn2_b32 s74, vcc_lo, exec_lo
	s_branch .LBB4_5412
.LBB4_5417:                             ;   in Loop: Header=BB4_5356 Depth=2
	s_inst_prefetch 0x2
	s_or_b32 exec_lo, exec_lo, s23
	s_and_saveexec_b32 s23, s61
	s_xor_b32 s23, exec_lo, s23
	s_cbranch_execz .LBB4_5419
; %bb.5418:                             ;   in Loop: Header=BB4_5356 Depth=2
	ds_write_b32 v0, v113
	s_trap 2
.LBB4_5419:                             ;   in Loop: Header=BB4_5356 Depth=2
	s_or_b32 exec_lo, exec_lo, s22
	;;#ASMSTART
	s_wakeup
	;;#ASMEND
.LBB4_5420:                             ;   in Loop: Header=BB4_5356 Depth=2
	s_or_b32 exec_lo, exec_lo, s21
.LBB4_5421:                             ;   in Loop: Header=BB4_5356 Depth=2
	s_andn2_saveexec_b32 s19, s19
	s_cbranch_execz .LBB4_5423
; %bb.5422:                             ;   in Loop: Header=BB4_5356 Depth=2
	;;#ASMSTART
	s_waitcnt lgkmcnt(0) vmcnt(0)
	;;#ASMEND
	s_barrier
.LBB4_5423:                             ;   in Loop: Header=BB4_5356 Depth=2
	s_or_b32 exec_lo, exec_lo, s19
	v_and_b32_e32 v8, 16, v100
.LBB4_5424:                             ;   in Loop: Header=BB4_5356 Depth=2
	s_or_b32 exec_lo, exec_lo, s16
	v_cmp_ne_u32_e32 vcc_lo, 0, v8
	s_xor_b32 s16, s7, -1
	s_and_b32 s19, vcc_lo, s16
	s_and_saveexec_b32 s16, s19
	s_cbranch_execz .LBB4_5426
; %bb.5425:                             ;   in Loop: Header=BB4_5356 Depth=2
	s_waitcnt vmcnt(0) lgkmcnt(0)
	s_waitcnt_vscnt null, 0x0
	flat_store_dword v[36:37], v113
.LBB4_5426:                             ;   in Loop: Header=BB4_5356 Depth=2
	s_or_b32 exec_lo, exec_lo, s16
	v_and_b32_e32 v8, 48, v100
	s_mov_b32 s16, exec_lo
	v_cmpx_ne_u32_e32 0, v8
	s_cbranch_execz .LBB4_5355
; %bb.5427:                             ;   in Loop: Header=BB4_5356 Depth=2
	v_add_co_u32 v64, vcc_lo, v64, 2
	v_add_co_ci_u32_e64 v65, null, 0, v65, vcc_lo
	s_waitcnt vmcnt(0) lgkmcnt(0)
	s_waitcnt_vscnt null, 0x0
	flat_store_dwordx2 v[32:33], v[64:65]
	s_branch .LBB4_5355
.LBB4_5428:                             ;   in Loop: Header=BB4_47 Depth=1
	s_or_b32 exec_lo, exec_lo, s18
.LBB4_5429:                             ;   in Loop: Header=BB4_47 Depth=1
	s_or_b32 exec_lo, exec_lo, s17
	s_andn2_b32 vcc_lo, exec_lo, s46
	s_cbranch_vccnz .LBB4_5690
; %bb.5430:                             ;   in Loop: Header=BB4_47 Depth=1
	s_mov_b32 s21, 1
.LBB4_5431:                             ;   Parent Loop BB4_47 Depth=1
                                        ; =>  This Loop Header: Depth=2
                                        ;       Child Loop BB4_5434 Depth 3
                                        ;         Child Loop BB4_5442 Depth 4
                                        ;         Child Loop BB4_5470 Depth 4
	;; [unrolled: 1-line block ×5, first 2 shown]
                                        ;           Child Loop BB4_5522 Depth 5
                                        ;         Child Loop BB4_5531 Depth 4
                                        ;         Child Loop BB4_5536 Depth 4
                                        ;           Child Loop BB4_5537 Depth 5
                                        ;         Child Loop BB4_5549 Depth 4
                                        ;         Child Loop BB4_5554 Depth 4
	;; [unrolled: 1-line block ×6, first 2 shown]
                                        ;       Child Loop BB4_5615 Depth 3
                                        ;         Child Loop BB4_5621 Depth 4
                                        ;         Child Loop BB4_5649 Depth 4
	;; [unrolled: 1-line block ×3, first 2 shown]
	s_sub_i32 s16, s42, s21
	v_mov_b32_e32 v21, 0
	s_cmp_ge_i32 s16, s25
	s_mov_b32 s62, 0
	s_cselect_b32 s17, s25, 0
	s_sub_i32 s16, s16, s17
	s_ashr_i32 s17, s16, 31
	v_mul_lo_u32 v3, v55, s16
	v_mad_u64_u32 v[8:9], null, v54, s16, 0
	v_mul_lo_u32 v10, v54, s17
	v_add3_u32 v9, v9, v10, v3
	v_sub_co_u32 v10, vcc_lo, v66, v8
	v_sub_co_ci_u32_e64 v11, null, v67, v9, vcc_lo
	v_cmp_lt_i64_e32 vcc_lo, v[54:55], v[10:11]
	v_cndmask_b32_e32 v11, v10, v54, vcc_lo
	v_max_i32_e32 v3, 0, v11
	v_cmp_lt_i32_e32 vcc_lo, 0, v11
	v_add_nc_u32_e32 v10, 31, v3
	s_and_b32 s16, s57, vcc_lo
	v_lshrrev_b32_e32 v10, 1, v10
	v_and_b32_e32 v12, 0x3ffffff0, v10
	v_mov_b32_e32 v10, 0
	v_max_i32_e32 v12, s45, v12
	s_and_saveexec_b32 s61, s16
	s_cbranch_execz .LBB4_5612
; %bb.5432:                             ;   in Loop: Header=BB4_5431 Depth=2
	v_add_co_u32 v22, vcc_lo, v8, v75
	v_add_co_ci_u32_e64 v23, null, v9, v76, vcc_lo
	v_mov_b32_e32 v21, 0
	s_mov_b32 s72, 1
	s_mov_b32 s63, -1
	s_branch .LBB4_5434
.LBB4_5433:                             ;   in Loop: Header=BB4_5434 Depth=3
	s_or_b32 exec_lo, exec_lo, s16
	v_add_nc_u32_e32 v21, v12, v21
	s_xor_b32 s16, s63, -1
	v_mov_b32_e32 v10, s72
	s_mov_b32 s63, 0
	s_mov_b32 s72, 2
	v_cmp_ge_i32_e32 vcc_lo, v21, v3
	s_or_b32 s16, s16, vcc_lo
	s_and_b32 s16, exec_lo, s16
	s_or_b32 s62, s16, s62
	s_andn2_b32 exec_lo, exec_lo, s62
	s_cbranch_execz .LBB4_5611
.LBB4_5434:                             ;   Parent Loop BB4_47 Depth=1
                                        ;     Parent Loop BB4_5431 Depth=2
                                        ; =>    This Loop Header: Depth=3
                                        ;         Child Loop BB4_5442 Depth 4
                                        ;         Child Loop BB4_5470 Depth 4
	;; [unrolled: 1-line block ×5, first 2 shown]
                                        ;           Child Loop BB4_5522 Depth 5
                                        ;         Child Loop BB4_5531 Depth 4
                                        ;         Child Loop BB4_5536 Depth 4
                                        ;           Child Loop BB4_5537 Depth 5
                                        ;         Child Loop BB4_5549 Depth 4
                                        ;         Child Loop BB4_5554 Depth 4
	;; [unrolled: 1-line block ×6, first 2 shown]
	s_and_saveexec_b32 s17, s4
	s_cbranch_execz .LBB4_5436
; %bb.5435:                             ;   in Loop: Header=BB4_5434 Depth=3
	s_trap 2
	ds_read_b128 v[8:11], v0
	v_ashrrev_i32_e32 v13, 31, v21
	s_waitcnt lgkmcnt(0)
	v_add_co_u32 v14, vcc_lo, v10, v22
	v_add_co_ci_u32_e64 v15, null, v11, v23, vcc_lo
	v_add_co_u32 v8, vcc_lo, v8, v22
	v_add_co_ci_u32_e64 v9, null, v9, v23, vcc_lo
	;; [unrolled: 2-line block ×3, first 2 shown]
	v_cmp_ne_u64_e32 vcc_lo, 0, v[10:11]
	v_add_co_u32 v8, s16, v8, v21
	v_add_co_ci_u32_e64 v9, null, v9, v13, s16
	v_cndmask_b32_e32 v11, 0, v15, vcc_lo
	v_cndmask_b32_e32 v10, 0, v14, vcc_lo
	ds_write_b64 v0, v[8:9]
	ds_write_b64 v0, v[10:11]
.LBB4_5436:                             ;   in Loop: Header=BB4_5434 Depth=3
	s_or_b32 exec_lo, exec_lo, s17
	v_sub_nc_u32_e32 v8, v3, v21
	v_and_b32_e32 v9, 12, v100
	s_mov_b32 s17, exec_lo
	v_min_i32_e32 v12, v12, v8
	v_cmpx_ne_u32_e32 0, v9
	s_cbranch_execz .LBB4_5462
; %bb.5437:                             ;   in Loop: Header=BB4_5434 Depth=3
	v_and_b32_e32 v17, 8, v100
	s_mov_b32 s18, exec_lo
	s_waitcnt vmcnt(0) lgkmcnt(1)
	v_add_co_u32 v10, vcc_lo, v48, v17
	v_add_co_ci_u32_e64 v11, null, 0, v49, vcc_lo
	v_add_co_u32 v8, vcc_lo, v64, 2
	v_add_co_ci_u32_e64 v9, null, 0, v65, vcc_lo
	v_cmpx_lt_u64_e64 v[10:11], v[8:9]
	s_cbranch_execz .LBB4_5449
; %bb.5438:                             ;   in Loop: Header=BB4_5434 Depth=3
	v_and_b32_e32 v10, 64, v100
	s_mov_b32 s19, 0
	s_mov_b32 s74, 0
                                        ; implicit-def: $sgpr22
                                        ; implicit-def: $sgpr23
                                        ; implicit-def: $sgpr73
	v_cmp_eq_u32_e32 vcc_lo, 0, v10
	s_branch .LBB4_5442
.LBB4_5439:                             ;   in Loop: Header=BB4_5442 Depth=4
	s_waitcnt vmcnt(0) lgkmcnt(0)
	v_add_co_u32 v13, s16, v48, v17
	v_add_co_ci_u32_e64 v14, null, 0, v49, s16
	s_or_b32 s77, s77, exec_lo
	v_cmp_ge_u64_e64 s16, v[13:14], v[8:9]
	s_orn2_b32 s76, s16, exec_lo
.LBB4_5440:                             ;   in Loop: Header=BB4_5442 Depth=4
	s_or_b32 exec_lo, exec_lo, s79
	s_andn2_b32 s16, s73, exec_lo
	s_and_b32 s73, s77, exec_lo
	s_andn2_b32 s23, s23, exec_lo
	s_and_b32 s76, s76, exec_lo
	s_or_b32 s73, s16, s73
	s_or_b32 s23, s23, s76
.LBB4_5441:                             ;   in Loop: Header=BB4_5442 Depth=4
	s_or_b32 exec_lo, exec_lo, s75
	s_and_b32 s16, exec_lo, s23
	s_or_b32 s19, s16, s19
	s_andn2_b32 s16, s22, exec_lo
	s_and_b32 s22, s73, exec_lo
	s_or_b32 s22, s16, s22
	s_andn2_b32 exec_lo, exec_lo, s19
	s_cbranch_execz .LBB4_5446
.LBB4_5442:                             ;   Parent Loop BB4_47 Depth=1
                                        ;     Parent Loop BB4_5431 Depth=2
                                        ;       Parent Loop BB4_5434 Depth=3
                                        ; =>      This Inner Loop Header: Depth=4
	s_sleep 1
	s_waitcnt vmcnt(0) lgkmcnt(0)
	flat_load_dwordx2 v[48:49], v[32:33] glc dlc
	s_or_b32 s73, s73, exec_lo
	s_or_b32 s23, s23, exec_lo
                                        ; implicit-def: $vgpr10
	s_and_saveexec_b32 s75, vcc_lo
	s_cbranch_execz .LBB4_5441
; %bb.5443:                             ;   in Loop: Header=BB4_5442 Depth=4
	s_cmpk_lt_i32 s74, 0x270f
	s_mov_b32 s76, -1
	s_cselect_b32 s78, -1, 0
	s_cmpk_gt_i32 s74, 0x270e
	s_cbranch_scc0 .LBB4_5445
; %bb.5444:                             ;   in Loop: Header=BB4_5442 Depth=4
	s_trap 2
	ds_read_b64 v[10:11], v0
	s_andn2_b32 s74, s78, exec_lo
	s_mov_b32 s77, 0
	s_waitcnt vmcnt(0) lgkmcnt(0)
	s_waitcnt_vscnt null, 0x0
	flat_load_dword v10, v[10:11] glc dlc
	s_waitcnt vmcnt(0) lgkmcnt(0)
	buffer_gl1_inv
	buffer_gl0_inv
	v_cmp_eq_u32_e64 s16, 0, v10
	s_and_b32 s16, s16, exec_lo
	s_or_b32 s78, s74, s16
	s_mov_b32 s74, 0
	s_and_saveexec_b32 s79, s78
	s_cbranch_execz .LBB4_5440
	s_branch .LBB4_5439
.LBB4_5445:                             ;   in Loop: Header=BB4_5442 Depth=4
	s_add_i32 s74, s74, 1
	s_mov_b32 s77, -1
                                        ; implicit-def: $vgpr10
	s_and_saveexec_b32 s79, s78
	s_cbranch_execz .LBB4_5440
	s_branch .LBB4_5439
.LBB4_5446:                             ;   in Loop: Header=BB4_5434 Depth=3
	s_or_b32 exec_lo, exec_lo, s19
	s_xor_b32 s16, s22, -1
	s_and_saveexec_b32 s19, s16
	s_xor_b32 s16, exec_lo, s19
	s_cbranch_execz .LBB4_5448
; %bb.5447:                             ;   in Loop: Header=BB4_5434 Depth=3
	v_or_b32_e32 v100, 64, v100
	s_waitcnt vmcnt(0) lgkmcnt(0)
	s_waitcnt_vscnt null, 0x0
	ds_write_b32 v0, v10
	s_trap 2
.LBB4_5448:                             ;   in Loop: Header=BB4_5434 Depth=3
	s_or_b32 exec_lo, exec_lo, s16
.LBB4_5449:                             ;   in Loop: Header=BB4_5434 Depth=3
	s_or_b32 exec_lo, exec_lo, s18
	v_and_b32_e32 v10, 0x108, v100
	;;#ASMSTART
	s_wakeup
	;;#ASMEND
	v_cmp_ne_u32_e32 vcc_lo, 0x108, v10
                                        ; implicit-def: $vgpr10_vgpr11
	s_and_saveexec_b32 s16, vcc_lo
	s_xor_b32 s16, exec_lo, s16
; %bb.5450:                             ;   in Loop: Header=BB4_5434 Depth=3
	v_and_b32_e32 v10, 7, v64
	v_mov_b32_e32 v11, v2
                                        ; implicit-def: $vgpr64_vgpr65
; %bb.5451:                             ;   in Loop: Header=BB4_5434 Depth=3
	s_andn2_saveexec_b32 s16, s16
	s_cbranch_execz .LBB4_5453
; %bb.5452:                             ;   in Loop: Header=BB4_5434 Depth=3
	v_and_b32_e32 v10, 7, v64
	v_ashrrev_i32_e32 v13, 31, v12
	v_mov_b32_e32 v11, v2
	v_mad_u64_u32 v[14:15], null, v10, 24, v[6:7]
	flat_store_dwordx2 v[14:15], v[12:13] offset:8
.LBB4_5453:                             ;   in Loop: Header=BB4_5434 Depth=3
	s_or_b32 exec_lo, exec_lo, s16
	v_and_b32_e32 v13, 0x100, v100
	s_mov_b32 s16, -1
	v_cmp_ne_u32_e32 vcc_lo, 0, v13
                                        ; implicit-def: $vgpr13_vgpr14
	s_and_saveexec_b32 s18, vcc_lo
	s_cbranch_execz .LBB4_5457
; %bb.5454:                             ;   in Loop: Header=BB4_5434 Depth=3
	v_mad_u64_u32 v[15:16], null, v10, 24, v[6:7]
	v_mov_b32_e32 v13, v16
	v_mad_u64_u32 v[13:14], null, v11, 24, v[13:14]
	v_mov_b32_e32 v16, v13
	flat_load_dword v13, v[15:16]
	s_waitcnt vmcnt(0) lgkmcnt(0)
	v_cmp_eq_u32_e64 s16, 1, v13
	v_cmp_ne_u32_e32 vcc_lo, 1, v13
                                        ; implicit-def: $vgpr13_vgpr14
	s_and_saveexec_b32 s19, s16
	s_cbranch_execz .LBB4_5456
; %bb.5455:                             ;   in Loop: Header=BB4_5434 Depth=3
	flat_load_dword v13, v[15:16] offset:4 glc dlc
	s_waitcnt vmcnt(0) lgkmcnt(0)
	v_ashrrev_i32_e32 v14, 31, v13
.LBB4_5456:                             ;   in Loop: Header=BB4_5434 Depth=3
	s_or_b32 exec_lo, exec_lo, s19
	s_orn2_b32 s16, vcc_lo, exec_lo
.LBB4_5457:                             ;   in Loop: Header=BB4_5434 Depth=3
	s_or_b32 exec_lo, exec_lo, s18
	s_and_saveexec_b32 s18, s16
; %bb.5458:                             ;   in Loop: Header=BB4_5434 Depth=3
	v_mul_lo_u32 v11, v11, v101
	v_mul_lo_u32 v15, v10, v102
	v_mad_u64_u32 v[13:14], null, v10, v101, 0
	v_add3_u32 v14, v14, v15, v11
; %bb.5459:                             ;   in Loop: Header=BB4_5434 Depth=3
	s_or_b32 exec_lo, exec_lo, s18
	v_cmp_eq_u32_e32 vcc_lo, 0, v17
	v_and_b32_e32 v16, 0x2000, v100
	s_mov_b32 s16, exec_lo
	v_cndmask_b32_e32 v15, 0xd0, v41, vcc_lo
	v_add_co_u32 v10, vcc_lo, v34, v13
	v_add_co_ci_u32_e64 v11, null, v35, v14, vcc_lo
	v_add_nc_u32_e32 v13, v0, v15
	ds_write_b64 v13, v[10:11] offset:584
	v_cmpx_ne_u32_e32 0, v16
	s_cbranch_execz .LBB4_5461
; %bb.5460:                             ;   in Loop: Header=BB4_5434 Depth=3
	ds_read_b64 v[10:11], v0 offset:872
	s_waitcnt lgkmcnt(0)
	v_add_co_u32 v10, vcc_lo, v10, 1
	v_add_co_ci_u32_e64 v11, null, 0, v11, vcc_lo
	ds_write_b64 v0, v[10:11] offset:872
.LBB4_5461:                             ;   in Loop: Header=BB4_5434 Depth=3
	s_or_b32 exec_lo, exec_lo, s16
	v_mov_b32_e32 v65, v9
	v_mov_b32_e32 v64, v8
.LBB4_5462:                             ;   in Loop: Header=BB4_5434 Depth=3
	s_or_b32 exec_lo, exec_lo, s17
	s_and_saveexec_b32 s16, s6
	s_cbranch_execz .LBB4_5481
; %bb.5463:                             ;   in Loop: Header=BB4_5434 Depth=3
	s_and_saveexec_b32 s17, s29
	s_xor_b32 s17, exec_lo, s17
	s_cbranch_execz .LBB4_5478
; %bb.5464:                             ;   in Loop: Header=BB4_5434 Depth=3
	s_and_saveexec_b32 s18, s11
	s_cbranch_execz .LBB4_5477
; %bb.5465:                             ;   in Loop: Header=BB4_5434 Depth=3
	s_mov_b32 s22, exec_lo
	s_mov_b32 s19, exec_lo
	v_mbcnt_lo_u32_b32 v8, s22, 0
	s_waitcnt vmcnt(0) lgkmcnt(0)
	s_waitcnt_vscnt null, 0x0
	buffer_gl1_inv
	buffer_gl0_inv
	v_cmpx_eq_u32_e32 0, v8
	s_cbranch_execz .LBB4_5467
; %bb.5466:                             ;   in Loop: Header=BB4_5434 Depth=3
	s_bcnt1_i32_b32 s22, s22
	v_mov_b32_e32 v9, v2
	v_mov_b32_e32 v8, s22
	ds_add_u64 v0, v[8:9]
	s_trap 2
.LBB4_5467:                             ;   in Loop: Header=BB4_5434 Depth=3
	s_or_b32 exec_lo, exec_lo, s19
	s_trap 2
	ds_read_b64 v[8:9], v0
	s_waitcnt lgkmcnt(0)
	buffer_gl0_inv
	v_add_co_u32 v38, vcc_lo, v38, v103
	v_add_co_ci_u32_e64 v39, null, 0, v39, vcc_lo
	s_mov_b32 s19, exec_lo
	v_cmpx_lt_u64_e64 v[8:9], v[38:39]
	s_cbranch_execz .LBB4_5476
; %bb.5468:                             ;   in Loop: Header=BB4_5434 Depth=3
	s_mov_b32 s22, 0
	s_mov_b32 s74, 0
                                        ; implicit-def: $sgpr23
                                        ; implicit-def: $sgpr73
	s_inst_prefetch 0x1
	s_branch .LBB4_5470
	.p2align	6
.LBB4_5469:                             ;   in Loop: Header=BB4_5470 Depth=4
	s_or_b32 exec_lo, exec_lo, s76
	s_and_b32 s75, exec_lo, s77
	s_or_b32 s22, s75, s22
	s_andn2_b32 s23, s23, exec_lo
	s_and_b32 s75, s73, exec_lo
	s_or_b32 s23, s23, s75
	s_andn2_b32 exec_lo, exec_lo, s22
	s_cbranch_execz .LBB4_5474
.LBB4_5470:                             ;   Parent Loop BB4_47 Depth=1
                                        ;     Parent Loop BB4_5431 Depth=2
                                        ;       Parent Loop BB4_5434 Depth=3
                                        ; =>      This Inner Loop Header: Depth=4
	s_add_i32 s74, s74, 1
	s_cmpk_lg_i32 s74, 0x2710
	s_cselect_b32 s75, -1, 0
	s_and_b32 vcc_lo, exec_lo, s75
	s_cbranch_vccz .LBB4_5472
; %bb.5471:                             ;   in Loop: Header=BB4_5470 Depth=4
	s_mov_b32 s77, -1
	s_or_b32 s73, s73, exec_lo
	s_and_saveexec_b32 s76, s75
	s_cbranch_execz .LBB4_5469
	s_branch .LBB4_5473
	.p2align	6
.LBB4_5472:                             ;   in Loop: Header=BB4_5470 Depth=4
	s_trap 2
	ds_read_b64 v[8:9], v0
	s_andn2_b32 s75, s75, exec_lo
	s_mov_b32 s74, 0
	s_waitcnt lgkmcnt(0)
	flat_load_dword v8, v[8:9] glc dlc
	s_waitcnt vmcnt(0) lgkmcnt(0)
	buffer_gl1_inv
	buffer_gl0_inv
	v_cmp_eq_u32_e32 vcc_lo, 0, v8
	s_and_b32 s76, vcc_lo, exec_lo
	s_or_b32 s75, s75, s76
	s_mov_b32 s77, -1
	s_or_b32 s73, s73, exec_lo
	s_and_saveexec_b32 s76, s75
	s_cbranch_execz .LBB4_5469
.LBB4_5473:                             ;   in Loop: Header=BB4_5470 Depth=4
	s_sleep 1
	s_trap 2
	ds_read_b64 v[8:9], v0
	s_waitcnt lgkmcnt(0)
	buffer_gl0_inv
	s_andn2_b32 s73, s73, exec_lo
	v_cmp_ge_u64_e32 vcc_lo, v[8:9], v[38:39]
	s_orn2_b32 s77, vcc_lo, exec_lo
	s_branch .LBB4_5469
.LBB4_5474:                             ;   in Loop: Header=BB4_5434 Depth=3
	s_inst_prefetch 0x2
	s_or_b32 exec_lo, exec_lo, s22
	s_and_saveexec_b32 s22, s23
	s_xor_b32 s22, exec_lo, s22
	s_cbranch_execz .LBB4_5476
; %bb.5475:                             ;   in Loop: Header=BB4_5434 Depth=3
	ds_write_b32 v0, v113
	s_trap 2
.LBB4_5476:                             ;   in Loop: Header=BB4_5434 Depth=3
	s_or_b32 exec_lo, exec_lo, s19
	;;#ASMSTART
	s_wakeup
	;;#ASMEND
.LBB4_5477:                             ;   in Loop: Header=BB4_5434 Depth=3
	s_or_b32 exec_lo, exec_lo, s18
.LBB4_5478:                             ;   in Loop: Header=BB4_5434 Depth=3
	s_andn2_saveexec_b32 s17, s17
	s_cbranch_execz .LBB4_5480
; %bb.5479:                             ;   in Loop: Header=BB4_5434 Depth=3
	s_waitcnt vmcnt(0) lgkmcnt(0)
	s_waitcnt_vscnt null, 0x0
	buffer_gl1_inv
	buffer_gl0_inv
	s_barrier
.LBB4_5480:                             ;   in Loop: Header=BB4_5434 Depth=3
	s_or_b32 exec_lo, exec_lo, s17
.LBB4_5481:                             ;   in Loop: Header=BB4_5434 Depth=3
	s_or_b32 exec_lo, exec_lo, s16
	s_trap 2
	ds_read_b32 v8, v0
	v_and_b32_e32 v9, 0x4000, v100
	s_xor_b32 s16, s5, -1
	v_cmp_ne_u32_e32 vcc_lo, 0, v9
	s_and_b32 s17, s16, vcc_lo
	s_and_saveexec_b32 s16, s17
	s_cbranch_execz .LBB4_5500
; %bb.5482:                             ;   in Loop: Header=BB4_5434 Depth=3
	s_and_saveexec_b32 s17, s29
	s_xor_b32 s17, exec_lo, s17
	s_cbranch_execz .LBB4_5497
; %bb.5483:                             ;   in Loop: Header=BB4_5434 Depth=3
	s_and_saveexec_b32 s18, s11
	s_cbranch_execz .LBB4_5496
; %bb.5484:                             ;   in Loop: Header=BB4_5434 Depth=3
	s_mov_b32 s22, exec_lo
	s_mov_b32 s19, exec_lo
	v_mbcnt_lo_u32_b32 v9, s22, 0
	s_waitcnt vmcnt(0) lgkmcnt(0)
	s_waitcnt_vscnt null, 0x0
	buffer_gl1_inv
	buffer_gl0_inv
	v_cmpx_eq_u32_e32 0, v9
	s_cbranch_execz .LBB4_5486
; %bb.5485:                             ;   in Loop: Header=BB4_5434 Depth=3
	s_bcnt1_i32_b32 s22, s22
	v_mov_b32_e32 v10, v2
	v_mov_b32_e32 v9, s22
	ds_add_u64 v0, v[9:10]
	s_trap 2
.LBB4_5486:                             ;   in Loop: Header=BB4_5434 Depth=3
	s_or_b32 exec_lo, exec_lo, s19
	s_trap 2
	ds_read_b64 v[9:10], v0
	s_waitcnt lgkmcnt(0)
	buffer_gl0_inv
	v_add_co_u32 v38, vcc_lo, v38, v103
	v_add_co_ci_u32_e64 v39, null, 0, v39, vcc_lo
	s_mov_b32 s19, exec_lo
	v_cmpx_lt_u64_e64 v[9:10], v[38:39]
	s_cbranch_execz .LBB4_5495
; %bb.5487:                             ;   in Loop: Header=BB4_5434 Depth=3
	s_mov_b32 s22, 0
	s_mov_b32 s74, 0
                                        ; implicit-def: $sgpr23
                                        ; implicit-def: $sgpr73
	s_inst_prefetch 0x1
	s_branch .LBB4_5489
	.p2align	6
.LBB4_5488:                             ;   in Loop: Header=BB4_5489 Depth=4
	s_or_b32 exec_lo, exec_lo, s76
	s_and_b32 s75, exec_lo, s77
	s_or_b32 s22, s75, s22
	s_andn2_b32 s23, s23, exec_lo
	s_and_b32 s75, s73, exec_lo
	s_or_b32 s23, s23, s75
	s_andn2_b32 exec_lo, exec_lo, s22
	s_cbranch_execz .LBB4_5493
.LBB4_5489:                             ;   Parent Loop BB4_47 Depth=1
                                        ;     Parent Loop BB4_5431 Depth=2
                                        ;       Parent Loop BB4_5434 Depth=3
                                        ; =>      This Inner Loop Header: Depth=4
	s_add_i32 s74, s74, 1
	s_cmpk_lg_i32 s74, 0x2710
	s_cselect_b32 s75, -1, 0
	s_and_b32 vcc_lo, exec_lo, s75
	s_cbranch_vccz .LBB4_5491
; %bb.5490:                             ;   in Loop: Header=BB4_5489 Depth=4
	s_mov_b32 s77, -1
	s_or_b32 s73, s73, exec_lo
	s_and_saveexec_b32 s76, s75
	s_cbranch_execz .LBB4_5488
	s_branch .LBB4_5492
	.p2align	6
.LBB4_5491:                             ;   in Loop: Header=BB4_5489 Depth=4
	s_trap 2
	ds_read_b64 v[9:10], v0
	s_andn2_b32 s75, s75, exec_lo
	s_mov_b32 s74, 0
	s_waitcnt lgkmcnt(0)
	flat_load_dword v9, v[9:10] glc dlc
	s_waitcnt vmcnt(0) lgkmcnt(0)
	buffer_gl1_inv
	buffer_gl0_inv
	v_cmp_eq_u32_e32 vcc_lo, 0, v9
	s_and_b32 s76, vcc_lo, exec_lo
	s_or_b32 s75, s75, s76
	s_mov_b32 s77, -1
	s_or_b32 s73, s73, exec_lo
	s_and_saveexec_b32 s76, s75
	s_cbranch_execz .LBB4_5488
.LBB4_5492:                             ;   in Loop: Header=BB4_5489 Depth=4
	s_sleep 1
	s_trap 2
	ds_read_b64 v[9:10], v0
	s_waitcnt lgkmcnt(0)
	buffer_gl0_inv
	s_andn2_b32 s73, s73, exec_lo
	v_cmp_ge_u64_e32 vcc_lo, v[9:10], v[38:39]
	s_orn2_b32 s77, vcc_lo, exec_lo
	s_branch .LBB4_5488
.LBB4_5493:                             ;   in Loop: Header=BB4_5434 Depth=3
	s_inst_prefetch 0x2
	s_or_b32 exec_lo, exec_lo, s22
	s_and_saveexec_b32 s22, s23
	s_xor_b32 s22, exec_lo, s22
	s_cbranch_execz .LBB4_5495
; %bb.5494:                             ;   in Loop: Header=BB4_5434 Depth=3
	ds_write_b32 v0, v113
	s_trap 2
.LBB4_5495:                             ;   in Loop: Header=BB4_5434 Depth=3
	s_or_b32 exec_lo, exec_lo, s19
	;;#ASMSTART
	s_wakeup
	;;#ASMEND
.LBB4_5496:                             ;   in Loop: Header=BB4_5434 Depth=3
	s_or_b32 exec_lo, exec_lo, s18
.LBB4_5497:                             ;   in Loop: Header=BB4_5434 Depth=3
	s_andn2_saveexec_b32 s17, s17
	s_cbranch_execz .LBB4_5499
; %bb.5498:                             ;   in Loop: Header=BB4_5434 Depth=3
	s_waitcnt vmcnt(0) lgkmcnt(0)
	s_waitcnt_vscnt null, 0x0
	buffer_gl1_inv
	buffer_gl0_inv
	s_barrier
.LBB4_5499:                             ;   in Loop: Header=BB4_5434 Depth=3
	s_or_b32 exec_lo, exec_lo, s17
.LBB4_5500:                             ;   in Loop: Header=BB4_5434 Depth=3
	s_or_b32 exec_lo, exec_lo, s16
	s_trap 2
	ds_read_b64 v[13:14], v0
	s_waitcnt lgkmcnt(0)
	v_cmp_eq_u64_e32 vcc_lo, 0, v[13:14]
	s_cbranch_vccnz .LBB4_5509
; %bb.5501:                             ;   in Loop: Header=BB4_5434 Depth=3
	s_trap 2
	ds_read_b64 v[15:16], v0
	s_waitcnt lgkmcnt(0)
	v_cmp_eq_u64_e32 vcc_lo, 0, v[15:16]
	s_cbranch_vccnz .LBB4_5509
; %bb.5502:                             ;   in Loop: Header=BB4_5434 Depth=3
	s_trap 2
	ds_read_b64 v[17:18], v0
	v_cmp_eq_u32_e64 s16, 0, v8
	v_cndmask_b32_e64 v68, 0, v12, s16
	s_mov_b32 s16, -1
	s_waitcnt lgkmcnt(0)
	v_cmp_ne_u64_e32 vcc_lo, 0, v[17:18]
	s_cbranch_vccz .LBB4_5540
; %bb.5503:                             ;   in Loop: Header=BB4_5434 Depth=3
	s_and_saveexec_b32 s17, s14
	s_cbranch_execz .LBB4_5505
; %bb.5504:                             ;   in Loop: Header=BB4_5434 Depth=3
	ds_read_b32 v8, v0 offset:720
	s_waitcnt lgkmcnt(0)
	v_and_b32_e32 v8, 15, v8
	v_cmp_eq_u32_e32 vcc_lo, 0, v8
	s_orn2_b32 s16, vcc_lo, exec_lo
.LBB4_5505:                             ;   in Loop: Header=BB4_5434 Depth=3
	s_or_b32 exec_lo, exec_lo, s17
	s_and_saveexec_b32 s17, s15
	s_cbranch_execz .LBB4_5507
; %bb.5506:                             ;   in Loop: Header=BB4_5434 Depth=3
	ds_read_b32 v8, v0 offset:784
	s_waitcnt lgkmcnt(0)
	v_and_b32_e32 v8, 15, v8
	v_cmp_eq_u32_e32 vcc_lo, 0, v8
	s_and_b32 s18, s16, vcc_lo
	s_andn2_b32 s16, s16, exec_lo
	s_and_b32 s18, s18, exec_lo
	s_or_b32 s16, s16, s18
.LBB4_5507:                             ;   in Loop: Header=BB4_5434 Depth=3
	s_or_b32 exec_lo, exec_lo, s17
	s_xor_b32 s16, s16, -1
	v_mov_b32_e32 v19, 0
	v_cndmask_b32_e64 v8, 0, 1, s16
	v_mov_b32_e32 v20, v68
	v_mov_b32_e32 v69, v0
	s_mov_b32 s16, -1
	v_cmp_ne_u32_e32 vcc_lo, 0, v8
	v_mov_b32_e32 v8, v56
	s_cbranch_vccz .LBB4_5514
; %bb.5508:                             ;   in Loop: Header=BB4_5434 Depth=3
	s_and_saveexec_b32 s22, s16
	s_cbranch_execnz .LBB4_5529
	s_branch .LBB4_5539
.LBB4_5509:                             ;   in Loop: Header=BB4_5434 Depth=3
	s_mov_b32 s16, 0
	s_and_saveexec_b32 s17, s6
	s_cbranch_execnz .LBB4_5570
.LBB4_5510:                             ;   in Loop: Header=BB4_5434 Depth=3
	s_or_b32 exec_lo, exec_lo, s17
                                        ; implicit-def: $vgpr8
	s_and_saveexec_b32 s17, s13
	s_xor_b32 s17, exec_lo, s17
	s_cbranch_execz .LBB4_5588
.LBB4_5511:                             ;   in Loop: Header=BB4_5434 Depth=3
	v_and_b32_e32 v8, 16, v100
	v_cmp_ne_u32_e32 vcc_lo, 0, v8
	v_and_b32_e32 v8, 16, v100
	s_and_b32 s18, vcc_lo, s16
	s_and_saveexec_b32 s16, s18
	s_cbranch_execz .LBB4_5513
; %bb.5512:                             ;   in Loop: Header=BB4_5434 Depth=3
	v_mov_b32_e32 v8, 1
	s_waitcnt vmcnt(0) lgkmcnt(0)
	s_waitcnt_vscnt null, 0x0
	buffer_gl1_inv
	buffer_gl0_inv
.LBB4_5513:                             ;   in Loop: Header=BB4_5434 Depth=3
	s_or_b32 exec_lo, exec_lo, s16
	s_andn2_saveexec_b32 s16, s17
	s_cbranch_execz .LBB4_5607
	s_branch .LBB4_5589
.LBB4_5514:                             ;   in Loop: Header=BB4_5434 Depth=3
	v_ashrrev_i32_e32 v8, 31, v68
	s_mov_b32 s17, exec_lo
	v_lshrrev_b32_e32 v8, 22, v8
	v_add_nc_u32_e32 v8, v68, v8
	v_ashrrev_i32_e32 v69, 10, v8
	v_sub_nc_u32_e32 v71, v69, v56
	v_cmpx_lt_i32_e32 0, v71
	s_cbranch_execz .LBB4_5518
; %bb.5515:                             ;   in Loop: Header=BB4_5434 Depth=3
	v_add_co_u32 v8, vcc_lo, v13, v72
	v_add_co_ci_u32_e64 v9, null, v14, v74, vcc_lo
	v_add_co_u32 v10, vcc_lo, v15, v72
	v_add_co_ci_u32_e64 v11, null, v16, v74, vcc_lo
	;; [unrolled: 2-line block ×3, first 2 shown]
	s_mov_b32 s18, 0
	.p2align	6
.LBB4_5516:                             ;   Parent Loop BB4_47 Depth=1
                                        ;     Parent Loop BB4_5431 Depth=2
                                        ;       Parent Loop BB4_5434 Depth=3
                                        ; =>      This Inner Loop Header: Depth=4
	s_clause 0x1
	global_load_dwordx4 v[80:83], v[8:9], off slc
	global_load_dwordx4 v[84:87], v[8:9], off offset:512 slc
	v_sub_nc_u32_e32 v71, v71, v103
	v_add_co_u32 v8, vcc_lo, v8, v44
	v_add_co_ci_u32_e64 v9, null, 0, v9, vcc_lo
	v_cmp_gt_i32_e32 vcc_lo, 1, v71
	s_waitcnt vmcnt(1)
	global_store_dwordx4 v[10:11], v[80:83], off glc slc
	s_waitcnt vmcnt(0)
	global_store_dwordx4 v[10:11], v[84:87], off offset:512 glc slc
	global_store_dwordx4 v[19:20], v[80:83], off glc slc
	global_store_dwordx4 v[19:20], v[84:87], off offset:512 glc slc
	v_add_co_u32 v10, s16, v10, v44
	v_add_co_ci_u32_e64 v11, null, 0, v11, s16
	v_add_co_u32 v19, s16, v19, v44
	v_add_co_ci_u32_e64 v20, null, 0, v20, s16
	s_or_b32 s18, vcc_lo, s18
	s_andn2_b32 exec_lo, exec_lo, s18
	s_cbranch_execnz .LBB4_5516
; %bb.5517:                             ;   in Loop: Header=BB4_5434 Depth=3
	s_or_b32 exec_lo, exec_lo, s18
.LBB4_5518:                             ;   in Loop: Header=BB4_5434 Depth=3
	s_or_b32 exec_lo, exec_lo, s17
	v_lshlrev_b32_e32 v70, 10, v69
	v_mov_b32_e32 v19, 0
	s_mov_b32 s16, 0
	s_mov_b32 s19, exec_lo
                                        ; implicit-def: $vgpr20
                                        ; implicit-def: $vgpr69
                                        ; implicit-def: $vgpr8
	v_cmpx_ne_u32_e64 v68, v70
	s_cbranch_execz .LBB4_5528
; %bb.5519:                             ;   in Loop: Header=BB4_5434 Depth=3
	v_lshlrev_b32_e32 v8, 5, v71
	v_sub_nc_u32_e32 v10, v68, v70
	s_mov_b32 s73, exec_lo
	v_sub_nc_u32_e32 v8, v58, v8
	v_ashrrev_i32_e32 v11, 31, v10
	v_ashrrev_i32_e32 v9, 31, v8
	v_lshrrev_b32_e32 v11, 23, v11
	v_lshrrev_b32_e32 v9, 27, v9
	v_add_nc_u32_e32 v11, v10, v11
	v_add_nc_u32_e32 v9, v8, v9
	v_and_b32_e32 v71, 0xfffffe00, v11
	v_ashrrev_i32_e32 v11, 9, v11
	v_and_b32_e32 v19, 0xffffffe0, v9
	v_sub_nc_u32_e32 v81, v10, v71
	v_ashrrev_i32_e32 v9, 5, v9
	v_sub_nc_u32_e32 v80, v8, v19
	v_cmp_lt_i32_e64 s16, 15, v81
	v_lshlrev_b32_e32 v8, 4, v80
	v_add_co_ci_u32_e64 v11, null, 0, v11, s16
	v_lshl_add_u32 v8, v9, 9, v8
	v_sub_nc_u32_e32 v82, v11, v9
	v_sub_nc_u32_e32 v69, v10, v8
	v_cmpx_lt_i32_e32 15, v69
	s_cbranch_execz .LBB4_5525
; %bb.5520:                             ;   in Loop: Header=BB4_5434 Depth=3
	v_add_nc_u32_e32 v8, v8, v70
	s_mov_b32 s74, 0
	v_ashrrev_i32_e32 v9, 31, v8
	v_add_co_u32 v19, vcc_lo, v8, v13
	v_add_co_ci_u32_e64 v20, null, v9, v14, vcc_lo
	v_add_co_u32 v83, vcc_lo, v8, v15
	v_add_co_ci_u32_e64 v84, null, v9, v16, vcc_lo
	;; [unrolled: 2-line block ×3, first 2 shown]
	s_inst_prefetch 0x1
	.p2align	6
.LBB4_5521:                             ;   Parent Loop BB4_47 Depth=1
                                        ;     Parent Loop BB4_5431 Depth=2
                                        ;       Parent Loop BB4_5434 Depth=3
                                        ; =>      This Loop Header: Depth=4
                                        ;           Child Loop BB4_5522 Depth 5
	global_load_dwordx4 v[8:11], v[19:20], off slc
	s_mov_b64 s[22:23], 0
	s_mov_b32 s75, -1
	.p2align	6
.LBB4_5522:                             ;   Parent Loop BB4_47 Depth=1
                                        ;     Parent Loop BB4_5431 Depth=2
                                        ;       Parent Loop BB4_5434 Depth=3
                                        ;         Parent Loop BB4_5521 Depth=4
                                        ; =>        This Inner Loop Header: Depth=5
	s_cmp_eq_u32 s22, 1
	s_cselect_b32 vcc_lo, -1, 0
	s_cmp_eq_u32 s22, 0
	v_cndmask_b32_e32 v96, v83, v85, vcc_lo
	v_cndmask_b32_e32 v97, v84, v86, vcc_lo
	s_mov_b64 s[22:23], 1
	v_add_co_u32 v26, s17, 0x200, v96
	v_add_co_ci_u32_e64 v27, null, 0, v97, s17
	s_cselect_b32 s17, -1, 0
	v_cndmask_b32_e32 v85, v85, v26, vcc_lo
	v_cndmask_b32_e64 v83, v83, v26, s17
	v_cndmask_b32_e32 v86, v86, v27, vcc_lo
	v_cndmask_b32_e64 v84, v84, v27, s17
	s_and_b32 s18, exec_lo, s75
	s_mov_b32 s75, 0
	s_mov_b32 vcc_lo, s18
	s_waitcnt vmcnt(0)
	global_store_dwordx4 v[96:97], v[8:11], off glc slc
	s_cbranch_vccnz .LBB4_5522
; %bb.5523:                             ;   in Loop: Header=BB4_5521 Depth=4
	v_sub_nc_u32_e32 v69, v69, v43
	v_add_co_u32 v83, vcc_lo, v83, v46
	v_add_co_ci_u32_e64 v84, null, v84, v57, vcc_lo
	v_add_co_u32 v85, vcc_lo, v85, v46
	v_add_co_ci_u32_e64 v86, null, v86, v57, vcc_lo
	v_cmp_gt_i32_e32 vcc_lo, 16, v69
	v_add_co_u32 v19, s17, v62, v19
	v_add_co_ci_u32_e64 v20, null, v63, v20, s17
	v_sub_nc_u32_e32 v82, v82, v103
	s_or_b32 s74, vcc_lo, s74
	s_andn2_b32 exec_lo, exec_lo, s74
	s_cbranch_execnz .LBB4_5521
; %bb.5524:                             ;   in Loop: Header=BB4_5434 Depth=3
	s_inst_prefetch 0x2
	s_or_b32 exec_lo, exec_lo, s74
.LBB4_5525:                             ;   in Loop: Header=BB4_5434 Depth=3
	s_or_b32 exec_lo, exec_lo, s73
	v_and_b32_e32 v9, 15, v68
	v_mov_b32_e32 v19, 0
	s_mov_b32 s17, 0
	s_mov_b32 s18, exec_lo
                                        ; implicit-def: $vgpr69
                                        ; implicit-def: $vgpr8
	v_cndmask_b32_e64 v20, v81, v9, s16
	v_cmpx_ne_u32_e32 0, v20
	s_cbranch_execz .LBB4_5527
; %bb.5526:                             ;   in Loop: Header=BB4_5434 Depth=3
	v_cmp_lt_i32_e32 vcc_lo, 0, v82
	v_sub_nc_u32_e32 v9, v81, v9
	s_mov_b32 s17, exec_lo
	v_cndmask_b32_e32 v8, 0, v103, vcc_lo
	v_cndmask_b32_e64 v9, 0, v9, s16
	v_sub_nc_u32_e32 v8, v8, v82
	v_add3_u32 v19, v71, v70, v9
	v_lshl_add_u32 v69, v8, 5, v80
	v_ashrrev_i32_e32 v8, 31, v69
	v_lshrrev_b32_e32 v8, 27, v8
	v_add_nc_u32_e32 v8, v69, v8
	v_ashrrev_i32_e32 v8, 5, v8
.LBB4_5527:                             ;   in Loop: Header=BB4_5434 Depth=3
	s_or_b32 exec_lo, exec_lo, s18
	s_and_b32 s16, s17, exec_lo
.LBB4_5528:                             ;   in Loop: Header=BB4_5434 Depth=3
	s_or_b32 exec_lo, exec_lo, s19
	s_and_saveexec_b32 s22, s16
	s_cbranch_execz .LBB4_5539
.LBB4_5529:                             ;   in Loop: Header=BB4_5434 Depth=3
	v_ashrrev_i32_e32 v9, 31, v20
	s_mov_b32 s17, exec_lo
	v_lshrrev_b32_e32 v9, 23, v9
	v_add_nc_u32_e32 v9, v20, v9
	v_ashrrev_i32_e32 v80, 9, v9
	v_ashrrev_i32_e32 v9, 31, v69
	v_sub_nc_u32_e32 v70, v80, v8
	v_lshrrev_b32_e32 v71, 27, v9
	v_cmpx_lt_i32_e32 0, v70
	s_cbranch_execz .LBB4_5533
; %bb.5530:                             ;   in Loop: Header=BB4_5434 Depth=3
	v_add_nc_u32_e32 v9, v69, v71
	v_lshlrev_b32_e32 v8, 9, v8
	v_add_co_u32 v81, vcc_lo, 0x1e0, v13
	v_add_co_ci_u32_e64 v82, null, 0, v14, vcc_lo
	v_and_b32_e32 v9, 0xffffffe0, v9
	s_mov_b32 s18, 0
	v_sub_nc_u32_e32 v9, v69, v9
	v_add3_u32 v26, v19, v9, v8
	v_ashrrev_i32_e32 v27, 31, v26
	v_add_co_u32 v8, vcc_lo, v26, v15
	v_add_co_ci_u32_e64 v9, null, v27, v16, vcc_lo
	v_add_co_u32 v10, vcc_lo, v26, v17
	v_add_co_ci_u32_e64 v11, null, v27, v18, vcc_lo
	;; [unrolled: 2-line block ×3, first 2 shown]
.LBB4_5531:                             ;   Parent Loop BB4_47 Depth=1
                                        ;     Parent Loop BB4_5431 Depth=2
                                        ;       Parent Loop BB4_5434 Depth=3
                                        ; =>      This Inner Loop Header: Depth=4
	v_add_co_u32 v81, vcc_lo, 0xfffffe20, v17
	v_add_co_ci_u32_e64 v82, null, -1, v18, vcc_lo
	v_add_co_u32 v83, vcc_lo, 0xfffffe40, v17
	v_add_co_ci_u32_e64 v84, null, -1, v18, vcc_lo
	;; [unrolled: 2-line block ×15, first 2 shown]
	flat_load_ubyte v26, v[17:18] slc
	flat_load_ubyte v27, v[81:82] slc
	;; [unrolled: 1-line block ×16, first 2 shown]
	v_sub_nc_u32_e32 v70, v70, v103
	v_add_co_u32 v17, vcc_lo, v17, v43
	v_add_co_ci_u32_e64 v18, null, 0, v18, vcc_lo
	v_cmp_gt_i32_e32 vcc_lo, 1, v70
	s_waitcnt vmcnt(15) lgkmcnt(15)
	flat_store_byte v[8:9], v26 offset:480 glc slc
	s_waitcnt vmcnt(14) lgkmcnt(15)
	flat_store_byte v[8:9], v27 glc slc
	s_waitcnt vmcnt(13) lgkmcnt(15)
	flat_store_byte v[8:9], v81 offset:32 glc slc
	s_waitcnt vmcnt(12) lgkmcnt(15)
	flat_store_byte v[8:9], v82 offset:64 glc slc
	;; [unrolled: 2-line block ×14, first 2 shown]
	flat_store_byte v[10:11], v27 glc slc
	flat_store_byte v[10:11], v81 offset:32 glc slc
	flat_store_byte v[10:11], v82 offset:64 glc slc
	;; [unrolled: 1-line block ×15, first 2 shown]
	v_add_co_u32 v8, s16, v8, v43
	v_add_co_ci_u32_e64 v9, null, 0, v9, s16
	v_add_co_u32 v10, s16, v10, v43
	v_add_co_ci_u32_e64 v11, null, 0, v11, s16
	s_or_b32 s18, vcc_lo, s18
	s_andn2_b32 exec_lo, exec_lo, s18
	s_cbranch_execnz .LBB4_5531
; %bb.5532:                             ;   in Loop: Header=BB4_5434 Depth=3
	s_or_b32 exec_lo, exec_lo, s18
.LBB4_5533:                             ;   in Loop: Header=BB4_5434 Depth=3
	s_or_b32 exec_lo, exec_lo, s17
	v_lshlrev_b32_e32 v8, 9, v80
	v_cmp_ne_u32_e32 vcc_lo, v20, v8
	s_and_b32 exec_lo, exec_lo, vcc_lo
	s_cbranch_execz .LBB4_5539
; %bb.5534:                             ;   in Loop: Header=BB4_5434 Depth=3
	v_add_nc_u32_e32 v9, v69, v71
	v_lshlrev_b32_e32 v10, 5, v70
	v_and_b32_e32 v9, 0xffffffe0, v9
	v_sub_nc_u32_e32 v9, v69, v9
	v_sub_nc_u32_e32 v9, v9, v10
	v_add_nc_u32_e32 v8, v8, v9
	v_sub_nc_u32_e32 v10, v20, v8
	v_cmp_lt_i32_e32 vcc_lo, 0, v10
	s_and_b32 exec_lo, exec_lo, vcc_lo
	s_cbranch_execz .LBB4_5539
; %bb.5535:                             ;   in Loop: Header=BB4_5434 Depth=3
	s_trap 2
	ds_read_b64 v[17:18], v0
	ds_read_b128 v[80:83], v0
	v_add_nc_u32_e32 v19, v8, v19
	s_mov_b32 s23, 0
	v_ashrrev_i32_e32 v20, 31, v19
	s_waitcnt lgkmcnt(1)
	v_add_co_u32 v8, vcc_lo, v17, v19
	v_add_co_ci_u32_e64 v9, null, v18, v20, vcc_lo
	s_waitcnt lgkmcnt(0)
	v_add_co_u32 v11, vcc_lo, v80, v19
	v_add_co_ci_u32_e64 v17, null, v81, v20, vcc_lo
	v_add_co_u32 v18, vcc_lo, v82, v19
	v_add_co_ci_u32_e64 v19, null, v83, v20, vcc_lo
	s_inst_prefetch 0x1
	.p2align	6
.LBB4_5536:                             ;   Parent Loop BB4_47 Depth=1
                                        ;     Parent Loop BB4_5431 Depth=2
                                        ;       Parent Loop BB4_5434 Depth=3
                                        ; =>      This Loop Header: Depth=4
                                        ;           Child Loop BB4_5537 Depth 5
	flat_load_ubyte v20, v[8:9] slc
	s_mov_b64 s[18:19], 0
	s_mov_b32 s73, -1
	.p2align	6
.LBB4_5537:                             ;   Parent Loop BB4_47 Depth=1
                                        ;     Parent Loop BB4_5431 Depth=2
                                        ;       Parent Loop BB4_5434 Depth=3
                                        ;         Parent Loop BB4_5536 Depth=4
                                        ; =>        This Inner Loop Header: Depth=5
	s_cmp_eq_u32 s18, 1
	s_cselect_b32 vcc_lo, -1, 0
	s_cmp_eq_u32 s18, 0
	v_cndmask_b32_e32 v69, v11, v18, vcc_lo
	v_cndmask_b32_e32 v70, v17, v19, vcc_lo
	s_mov_b64 s[18:19], 1
	v_add_co_u32 v26, s16, v69, 32
	v_add_co_ci_u32_e64 v27, null, 0, v70, s16
	s_cselect_b32 s16, -1, 0
	v_cndmask_b32_e32 v18, v18, v26, vcc_lo
	v_cndmask_b32_e64 v11, v11, v26, s16
	v_cndmask_b32_e32 v19, v19, v27, vcc_lo
	v_cndmask_b32_e64 v17, v17, v27, s16
	s_and_b32 s17, exec_lo, s73
	s_mov_b32 s73, 0
	s_mov_b32 vcc_lo, s17
	s_waitcnt vmcnt(0) lgkmcnt(0)
	flat_store_byte v[69:70], v20 glc slc
	s_cbranch_vccnz .LBB4_5537
; %bb.5538:                             ;   in Loop: Header=BB4_5536 Depth=4
	v_sub_nc_u32_e32 v10, v10, v112
	v_add_co_u32 v11, vcc_lo, v11, v45
	v_add_co_ci_u32_e64 v17, null, v17, v47, vcc_lo
	v_add_co_u32 v18, vcc_lo, v18, v45
	v_add_co_ci_u32_e64 v19, null, v19, v47, vcc_lo
	v_cmp_gt_i32_e32 vcc_lo, 1, v10
	v_add_co_u32 v8, s16, v59, v8
	v_add_co_ci_u32_e64 v9, null, v60, v9, s16
	s_or_b32 s23, vcc_lo, s23
	s_andn2_b32 exec_lo, exec_lo, s23
	s_cbranch_execnz .LBB4_5536
.LBB4_5539:                             ;   in Loop: Header=BB4_5434 Depth=3
	s_inst_prefetch 0x2
	s_or_b32 exec_lo, exec_lo, s22
	s_mov_b32 s16, 0
.LBB4_5540:                             ;   in Loop: Header=BB4_5434 Depth=3
	s_and_b32 vcc_lo, exec_lo, s16
	s_cbranch_vccz .LBB4_5569
; %bb.5541:                             ;   in Loop: Header=BB4_5434 Depth=3
	s_mov_b32 s16, -1
	s_and_saveexec_b32 s17, s14
	s_cbranch_execz .LBB4_5543
; %bb.5542:                             ;   in Loop: Header=BB4_5434 Depth=3
	ds_read_b32 v8, v0 offset:720
	s_waitcnt lgkmcnt(0)
	v_and_b32_e32 v8, 15, v8
	v_cmp_eq_u32_e32 vcc_lo, 0, v8
	s_orn2_b32 s16, vcc_lo, exec_lo
.LBB4_5543:                             ;   in Loop: Header=BB4_5434 Depth=3
	s_or_b32 exec_lo, exec_lo, s17
	s_and_saveexec_b32 s17, s12
	s_cbranch_execz .LBB4_5545
; %bb.5544:                             ;   in Loop: Header=BB4_5434 Depth=3
	ds_read_b32 v8, v0 offset:784
	s_waitcnt lgkmcnt(0)
	v_and_b32_e32 v8, 15, v8
	v_cmp_eq_u32_e32 vcc_lo, 0, v8
	s_and_b32 s18, s16, vcc_lo
	s_andn2_b32 s16, s16, exec_lo
	s_and_b32 s18, s18, exec_lo
	s_or_b32 s16, s16, s18
.LBB4_5545:                             ;   in Loop: Header=BB4_5434 Depth=3
	s_or_b32 exec_lo, exec_lo, s17
	s_xor_b32 s16, s16, -1
	v_mov_b32_e32 v10, 0
	v_cndmask_b32_e64 v8, 0, 1, s16
	v_mov_b32_e32 v9, v0
	v_mov_b32_e32 v69, v56
	s_mov_b32 s16, -1
	v_cmp_ne_u32_e32 vcc_lo, 0, v8
	v_mov_b32_e32 v8, v68
	s_cbranch_vccz .LBB4_5547
; %bb.5546:                             ;   in Loop: Header=BB4_5434 Depth=3
	s_and_saveexec_b32 s17, s16
	s_cbranch_execnz .LBB4_5560
	s_branch .LBB4_5568
.LBB4_5547:                             ;   in Loop: Header=BB4_5434 Depth=3
	v_ashrrev_i32_e32 v8, 31, v68
	s_mov_b32 s17, exec_lo
	v_lshrrev_b32_e32 v8, 21, v8
	v_add_nc_u32_e32 v8, v68, v8
	v_ashrrev_i32_e32 v18, 11, v8
	v_sub_nc_u32_e32 v17, v18, v56
	v_cmpx_lt_i32_e32 0, v17
	s_cbranch_execz .LBB4_5551
; %bb.5548:                             ;   in Loop: Header=BB4_5434 Depth=3
	v_mov_b32_e32 v8, v15
	v_mov_b32_e32 v10, v13
	;; [unrolled: 1-line block ×4, first 2 shown]
	s_mov_b32 s18, 0
	s_inst_prefetch 0x1
	.p2align	6
.LBB4_5549:                             ;   Parent Loop BB4_47 Depth=1
                                        ;     Parent Loop BB4_5431 Depth=2
                                        ;       Parent Loop BB4_5434 Depth=3
                                        ; =>      This Inner Loop Header: Depth=4
	v_add_co_u32 v19, vcc_lo, v61, v10
	v_add_co_ci_u32_e64 v20, null, v73, v11, vcc_lo
	v_sub_nc_u32_e32 v17, v17, v103
	s_clause 0x3
	global_load_dwordx4 v[80:83], v[19:20], off slc
	global_load_dwordx4 v[84:87], v[19:20], off offset:512 slc
	global_load_dwordx4 v[96:99], v[19:20], off offset:1024 slc
	;; [unrolled: 1-line block ×3, first 2 shown]
	v_add_co_u32 v19, vcc_lo, v61, v8
	v_add_co_ci_u32_e64 v20, null, v73, v9, vcc_lo
	v_add_co_u32 v10, vcc_lo, v10, v42
	v_add_co_ci_u32_e64 v11, null, 0, v11, vcc_lo
	v_add_co_u32 v8, vcc_lo, v8, v42
	v_cmp_gt_i32_e64 s16, 1, v17
	v_add_co_ci_u32_e64 v9, null, 0, v9, vcc_lo
	s_waitcnt vmcnt(3)
	global_store_dwordx4 v[19:20], v[80:83], off glc slc
	s_waitcnt vmcnt(2)
	global_store_dwordx4 v[19:20], v[84:87], off offset:512 glc slc
	s_waitcnt vmcnt(1)
	global_store_dwordx4 v[19:20], v[96:99], off offset:1024 glc slc
	;; [unrolled: 2-line block ×3, first 2 shown]
	s_or_b32 s18, s16, s18
	s_andn2_b32 exec_lo, exec_lo, s18
	s_cbranch_execnz .LBB4_5549
; %bb.5550:                             ;   in Loop: Header=BB4_5434 Depth=3
	s_inst_prefetch 0x2
	s_or_b32 exec_lo, exec_lo, s18
.LBB4_5551:                             ;   in Loop: Header=BB4_5434 Depth=3
	s_or_b32 exec_lo, exec_lo, s17
	v_lshlrev_b32_e32 v11, 11, v18
	v_mov_b32_e32 v10, 0
	s_mov_b32 s16, 0
	s_mov_b32 s18, exec_lo
                                        ; implicit-def: $vgpr8
                                        ; implicit-def: $vgpr9
                                        ; implicit-def: $vgpr69
	v_cmpx_ne_u32_e64 v68, v11
	s_cbranch_execz .LBB4_5559
; %bb.5552:                             ;   in Loop: Header=BB4_5434 Depth=3
	v_lshlrev_b32_e32 v8, 5, v17
	v_sub_nc_u32_e32 v10, v68, v11
	s_mov_b32 s19, exec_lo
	v_sub_nc_u32_e32 v8, v58, v8
	v_ashrrev_i32_e32 v17, 31, v10
	v_ashrrev_i32_e32 v9, 31, v8
	v_lshrrev_b32_e32 v17, 23, v17
	v_lshrrev_b32_e32 v9, 27, v9
	v_add_nc_u32_e32 v20, v10, v17
	v_add_nc_u32_e32 v9, v8, v9
	v_and_b32_e32 v17, 0xfffffe00, v20
	v_ashrrev_i32_e32 v20, 9, v20
	v_and_b32_e32 v18, 0xffffffe0, v9
	v_sub_nc_u32_e32 v19, v10, v17
	v_ashrrev_i32_e32 v26, 5, v9
	v_sub_nc_u32_e32 v18, v8, v18
	v_cmp_lt_i32_e32 vcc_lo, 15, v19
	v_lshlrev_b32_e32 v8, 4, v18
	v_add_co_ci_u32_e64 v20, null, 0, v20, vcc_lo
	v_lshl_add_u32 v9, v26, 9, v8
	v_sub_nc_u32_e32 v20, v20, v26
	v_sub_nc_u32_e32 v8, v10, v9
	v_cmpx_lt_i32_e32 15, v8
	s_cbranch_execz .LBB4_5556
; %bb.5553:                             ;   in Loop: Header=BB4_5434 Depth=3
	v_add_nc_u32_e32 v9, v9, v11
	s_mov_b32 s22, 0
	v_ashrrev_i32_e32 v10, 31, v9
	.p2align	6
.LBB4_5554:                             ;   Parent Loop BB4_47 Depth=1
                                        ;     Parent Loop BB4_5431 Depth=2
                                        ;       Parent Loop BB4_5434 Depth=3
                                        ; =>      This Inner Loop Header: Depth=4
	v_add_co_u32 v69, s16, v13, v9
	v_add_co_ci_u32_e64 v70, null, v14, v10, s16
	v_sub_nc_u32_e32 v8, v8, v43
	v_sub_nc_u32_e32 v20, v20, v103
	global_load_dwordx4 v[80:83], v[69:70], off slc
	v_add_co_u32 v69, s16, v15, v9
	v_add_co_ci_u32_e64 v70, null, v16, v10, s16
	v_cmp_gt_i32_e64 s16, 16, v8
	v_add_co_u32 v9, s17, v9, v43
	v_add_co_ci_u32_e64 v10, null, 0, v10, s17
	s_or_b32 s22, s16, s22
	s_waitcnt vmcnt(0)
	global_store_dwordx4 v[69:70], v[80:83], off glc slc
	s_andn2_b32 exec_lo, exec_lo, s22
	s_cbranch_execnz .LBB4_5554
; %bb.5555:                             ;   in Loop: Header=BB4_5434 Depth=3
	s_or_b32 exec_lo, exec_lo, s22
.LBB4_5556:                             ;   in Loop: Header=BB4_5434 Depth=3
	s_or_b32 exec_lo, exec_lo, s19
	v_and_b32_e32 v70, 15, v68
	v_mov_b32_e32 v10, 0
	s_mov_b32 s17, 0
	s_mov_b32 s19, exec_lo
                                        ; implicit-def: $vgpr9
                                        ; implicit-def: $vgpr69
	v_cndmask_b32_e32 v8, v19, v70, vcc_lo
	v_cmpx_ne_u32_e32 0, v8
	s_cbranch_execz .LBB4_5558
; %bb.5557:                             ;   in Loop: Header=BB4_5434 Depth=3
	v_cmp_lt_i32_e64 s16, 0, v20
	s_mov_b32 s17, exec_lo
	v_cndmask_b32_e64 v9, 0, v103, s16
	v_sub_nc_u32_e32 v9, v9, v20
	v_lshl_add_u32 v9, v9, 5, v18
	v_sub_nc_u32_e32 v18, v19, v70
	v_ashrrev_i32_e32 v10, 31, v9
	v_cndmask_b32_e32 v18, 0, v18, vcc_lo
	v_lshrrev_b32_e32 v10, 27, v10
	v_add_nc_u32_e32 v19, v9, v10
	v_add3_u32 v10, v17, v11, v18
	v_ashrrev_i32_e32 v69, 5, v19
.LBB4_5558:                             ;   in Loop: Header=BB4_5434 Depth=3
	s_or_b32 exec_lo, exec_lo, s19
	s_and_b32 s16, s17, exec_lo
.LBB4_5559:                             ;   in Loop: Header=BB4_5434 Depth=3
	s_or_b32 exec_lo, exec_lo, s18
	s_and_saveexec_b32 s17, s16
	s_cbranch_execz .LBB4_5568
.LBB4_5560:                             ;   in Loop: Header=BB4_5434 Depth=3
	v_ashrrev_i32_e32 v11, 31, v8
	s_mov_b32 s16, exec_lo
	v_lshrrev_b32_e32 v11, 23, v11
	v_add_nc_u32_e32 v11, v8, v11
	v_ashrrev_i32_e32 v17, 9, v11
	v_sub_nc_u32_e32 v11, v17, v69
	v_cmpx_lt_i32_e32 0, v11
	s_cbranch_execz .LBB4_5564
; %bb.5561:                             ;   in Loop: Header=BB4_5434 Depth=3
	v_ashrrev_i32_e32 v18, 31, v9
	v_lshlrev_b32_e32 v19, 9, v69
	s_mov_b32 s18, 0
	v_lshrrev_b32_e32 v18, 27, v18
	v_add_nc_u32_e32 v18, v9, v18
	v_and_b32_e32 v18, 0xffffffe0, v18
	v_sub_nc_u32_e32 v18, v9, v18
	v_add3_u32 v18, v10, v18, v19
	v_ashrrev_i32_e32 v19, 31, v18
.LBB4_5562:                             ;   Parent Loop BB4_47 Depth=1
                                        ;     Parent Loop BB4_5431 Depth=2
                                        ;       Parent Loop BB4_5434 Depth=3
                                        ; =>      This Inner Loop Header: Depth=4
	v_add_co_u32 v69, vcc_lo, v18, v13
	v_add_co_ci_u32_e64 v70, null, v19, v14, vcc_lo
	v_sub_nc_u32_e32 v11, v11, v103
	s_clause 0xf
	flat_load_ubyte v20, v[69:70] slc
	flat_load_ubyte v26, v[69:70] offset:32 slc
	flat_load_ubyte v27, v[69:70] offset:64 slc
	;; [unrolled: 1-line block ×15, first 2 shown]
	v_add_co_u32 v69, vcc_lo, v18, v15
	v_add_co_ci_u32_e64 v70, null, v19, v16, vcc_lo
	v_add_co_u32 v13, vcc_lo, v13, v43
	v_add_co_ci_u32_e64 v14, null, 0, v14, vcc_lo
	;; [unrolled: 2-line block ×3, first 2 shown]
	v_cmp_gt_i32_e32 vcc_lo, 1, v11
	s_waitcnt vmcnt(15) lgkmcnt(15)
	flat_store_byte v[69:70], v20 glc slc
	s_waitcnt vmcnt(14) lgkmcnt(15)
	flat_store_byte v[69:70], v26 offset:32 glc slc
	s_waitcnt vmcnt(13) lgkmcnt(15)
	flat_store_byte v[69:70], v27 offset:64 glc slc
	s_waitcnt vmcnt(12) lgkmcnt(15)
	flat_store_byte v[69:70], v71 offset:96 glc slc
	s_waitcnt vmcnt(11) lgkmcnt(15)
	flat_store_byte v[69:70], v80 offset:128 glc slc
	s_waitcnt vmcnt(10) lgkmcnt(15)
	flat_store_byte v[69:70], v81 offset:160 glc slc
	s_waitcnt vmcnt(9) lgkmcnt(15)
	flat_store_byte v[69:70], v82 offset:192 glc slc
	s_waitcnt vmcnt(8) lgkmcnt(15)
	flat_store_byte v[69:70], v83 offset:224 glc slc
	s_waitcnt vmcnt(7) lgkmcnt(15)
	flat_store_byte v[69:70], v84 offset:256 glc slc
	s_waitcnt vmcnt(6) lgkmcnt(15)
	flat_store_byte v[69:70], v85 offset:288 glc slc
	s_waitcnt vmcnt(5) lgkmcnt(15)
	flat_store_byte v[69:70], v86 offset:320 glc slc
	s_waitcnt vmcnt(4) lgkmcnt(15)
	flat_store_byte v[69:70], v87 offset:352 glc slc
	s_waitcnt vmcnt(3) lgkmcnt(15)
	flat_store_byte v[69:70], v96 offset:384 glc slc
	s_waitcnt vmcnt(2) lgkmcnt(15)
	flat_store_byte v[69:70], v97 offset:416 glc slc
	s_waitcnt vmcnt(1) lgkmcnt(15)
	flat_store_byte v[69:70], v98 offset:448 glc slc
	s_waitcnt vmcnt(0) lgkmcnt(15)
	flat_store_byte v[69:70], v99 offset:480 glc slc
	s_or_b32 s18, vcc_lo, s18
	s_andn2_b32 exec_lo, exec_lo, s18
	s_cbranch_execnz .LBB4_5562
; %bb.5563:                             ;   in Loop: Header=BB4_5434 Depth=3
	s_or_b32 exec_lo, exec_lo, s18
.LBB4_5564:                             ;   in Loop: Header=BB4_5434 Depth=3
	s_or_b32 exec_lo, exec_lo, s16
	v_lshlrev_b32_e32 v13, 9, v17
	v_cmp_ne_u32_e32 vcc_lo, v8, v13
	s_and_b32 exec_lo, exec_lo, vcc_lo
	s_cbranch_execz .LBB4_5568
; %bb.5565:                             ;   in Loop: Header=BB4_5434 Depth=3
	v_ashrrev_i32_e32 v14, 31, v9
	v_lshlrev_b32_e32 v11, 5, v11
	v_lshrrev_b32_e32 v14, 27, v14
	v_add_nc_u32_e32 v14, v9, v14
	v_and_b32_e32 v14, 0xffffffe0, v14
	v_sub_nc_u32_e32 v9, v9, v14
	v_sub_nc_u32_e32 v9, v9, v11
	v_add_nc_u32_e32 v13, v13, v9
	v_sub_nc_u32_e32 v11, v8, v13
	v_cmp_lt_i32_e32 vcc_lo, 0, v11
	s_and_b32 exec_lo, exec_lo, vcc_lo
	s_cbranch_execz .LBB4_5568
; %bb.5566:                             ;   in Loop: Header=BB4_5434 Depth=3
	s_trap 2
	ds_read_b64 v[8:9], v0
	v_add_nc_u32_e32 v10, v13, v10
	s_mov_b32 s18, 0
	v_ashrrev_i32_e32 v13, 31, v10
	.p2align	6
.LBB4_5567:                             ;   Parent Loop BB4_47 Depth=1
                                        ;     Parent Loop BB4_5431 Depth=2
                                        ;       Parent Loop BB4_5434 Depth=3
                                        ; =>      This Inner Loop Header: Depth=4
	s_waitcnt lgkmcnt(0)
	v_add_co_u32 v14, vcc_lo, v8, v10
	v_add_co_ci_u32_e64 v15, null, v9, v13, vcc_lo
	v_sub_nc_u32_e32 v11, v11, v112
	v_add_co_u32 v10, s16, v10, v112
	flat_load_ubyte v16, v[14:15] slc
	v_add_co_ci_u32_e64 v13, null, 0, v13, s16
	v_cmp_gt_i32_e32 vcc_lo, 1, v11
	s_or_b32 s18, vcc_lo, s18
	s_waitcnt vmcnt(0) lgkmcnt(0)
	flat_store_byte v[14:15], v16 glc slc
	s_andn2_b32 exec_lo, exec_lo, s18
	s_cbranch_execnz .LBB4_5567
.LBB4_5568:                             ;   in Loop: Header=BB4_5434 Depth=3
	s_or_b32 exec_lo, exec_lo, s17
.LBB4_5569:                             ;   in Loop: Header=BB4_5434 Depth=3
	v_cmp_lt_i32_e64 s16, 0, v68
	s_and_saveexec_b32 s17, s6
	s_cbranch_execz .LBB4_5510
.LBB4_5570:                             ;   in Loop: Header=BB4_5434 Depth=3
	s_and_saveexec_b32 s18, s29
	s_xor_b32 s18, exec_lo, s18
	s_cbranch_execz .LBB4_5585
; %bb.5571:                             ;   in Loop: Header=BB4_5434 Depth=3
	s_and_saveexec_b32 s19, s11
	s_cbranch_execz .LBB4_5584
; %bb.5572:                             ;   in Loop: Header=BB4_5434 Depth=3
	s_mov_b32 s23, exec_lo
	s_mov_b32 s22, exec_lo
	v_mbcnt_lo_u32_b32 v8, s23, 0
	s_waitcnt vmcnt(0) lgkmcnt(0)
	s_waitcnt_vscnt null, 0x0
	buffer_gl1_inv
	buffer_gl0_inv
	v_cmpx_eq_u32_e32 0, v8
	s_cbranch_execz .LBB4_5574
; %bb.5573:                             ;   in Loop: Header=BB4_5434 Depth=3
	s_bcnt1_i32_b32 s23, s23
	v_mov_b32_e32 v9, v2
	v_mov_b32_e32 v8, s23
	ds_add_u64 v0, v[8:9]
	s_trap 2
.LBB4_5574:                             ;   in Loop: Header=BB4_5434 Depth=3
	s_or_b32 exec_lo, exec_lo, s22
	s_trap 2
	ds_read_b64 v[8:9], v0
	s_waitcnt lgkmcnt(0)
	buffer_gl0_inv
	v_add_co_u32 v38, vcc_lo, v38, v103
	v_add_co_ci_u32_e64 v39, null, 0, v39, vcc_lo
	s_mov_b32 s22, exec_lo
	v_cmpx_lt_u64_e64 v[8:9], v[38:39]
	s_cbranch_execz .LBB4_5583
; %bb.5575:                             ;   in Loop: Header=BB4_5434 Depth=3
	s_mov_b32 s23, 0
	s_mov_b32 s75, 0
                                        ; implicit-def: $sgpr73
                                        ; implicit-def: $sgpr74
	s_inst_prefetch 0x1
	s_branch .LBB4_5577
	.p2align	6
.LBB4_5576:                             ;   in Loop: Header=BB4_5577 Depth=4
	s_or_b32 exec_lo, exec_lo, s77
	s_and_b32 s76, exec_lo, s78
	s_or_b32 s23, s76, s23
	s_andn2_b32 s73, s73, exec_lo
	s_and_b32 s76, s74, exec_lo
	s_or_b32 s73, s73, s76
	s_andn2_b32 exec_lo, exec_lo, s23
	s_cbranch_execz .LBB4_5581
.LBB4_5577:                             ;   Parent Loop BB4_47 Depth=1
                                        ;     Parent Loop BB4_5431 Depth=2
                                        ;       Parent Loop BB4_5434 Depth=3
                                        ; =>      This Inner Loop Header: Depth=4
	s_add_i32 s75, s75, 1
	s_cmpk_lg_i32 s75, 0x2710
	s_cselect_b32 s76, -1, 0
	s_and_b32 vcc_lo, exec_lo, s76
	s_cbranch_vccz .LBB4_5579
; %bb.5578:                             ;   in Loop: Header=BB4_5577 Depth=4
	s_mov_b32 s78, -1
	s_or_b32 s74, s74, exec_lo
	s_and_saveexec_b32 s77, s76
	s_cbranch_execz .LBB4_5576
	s_branch .LBB4_5580
	.p2align	6
.LBB4_5579:                             ;   in Loop: Header=BB4_5577 Depth=4
	s_trap 2
	ds_read_b64 v[8:9], v0
	s_andn2_b32 s76, s76, exec_lo
	s_mov_b32 s75, 0
	s_waitcnt lgkmcnt(0)
	flat_load_dword v8, v[8:9] glc dlc
	s_waitcnt vmcnt(0) lgkmcnt(0)
	buffer_gl1_inv
	buffer_gl0_inv
	v_cmp_eq_u32_e32 vcc_lo, 0, v8
	s_and_b32 s77, vcc_lo, exec_lo
	s_or_b32 s76, s76, s77
	s_mov_b32 s78, -1
	s_or_b32 s74, s74, exec_lo
	s_and_saveexec_b32 s77, s76
	s_cbranch_execz .LBB4_5576
.LBB4_5580:                             ;   in Loop: Header=BB4_5577 Depth=4
	s_sleep 1
	s_trap 2
	ds_read_b64 v[8:9], v0
	s_waitcnt lgkmcnt(0)
	buffer_gl0_inv
	s_andn2_b32 s74, s74, exec_lo
	v_cmp_ge_u64_e32 vcc_lo, v[8:9], v[38:39]
	s_orn2_b32 s78, vcc_lo, exec_lo
	s_branch .LBB4_5576
.LBB4_5581:                             ;   in Loop: Header=BB4_5434 Depth=3
	s_inst_prefetch 0x2
	s_or_b32 exec_lo, exec_lo, s23
	s_and_saveexec_b32 s23, s73
	s_xor_b32 s23, exec_lo, s23
	s_cbranch_execz .LBB4_5583
; %bb.5582:                             ;   in Loop: Header=BB4_5434 Depth=3
	ds_write_b32 v0, v113
	s_trap 2
.LBB4_5583:                             ;   in Loop: Header=BB4_5434 Depth=3
	s_or_b32 exec_lo, exec_lo, s22
	;;#ASMSTART
	s_wakeup
	;;#ASMEND
.LBB4_5584:                             ;   in Loop: Header=BB4_5434 Depth=3
	s_or_b32 exec_lo, exec_lo, s19
.LBB4_5585:                             ;   in Loop: Header=BB4_5434 Depth=3
	s_andn2_saveexec_b32 s18, s18
	s_cbranch_execz .LBB4_5587
; %bb.5586:                             ;   in Loop: Header=BB4_5434 Depth=3
	s_waitcnt vmcnt(0) lgkmcnt(0)
	s_waitcnt_vscnt null, 0x0
	buffer_gl1_inv
	buffer_gl0_inv
	s_barrier
.LBB4_5587:                             ;   in Loop: Header=BB4_5434 Depth=3
	s_or_b32 exec_lo, exec_lo, s18
	s_or_b32 exec_lo, exec_lo, s17
                                        ; implicit-def: $vgpr8
	s_and_saveexec_b32 s17, s13
	s_xor_b32 s17, exec_lo, s17
	s_cbranch_execnz .LBB4_5511
.LBB4_5588:                             ;   in Loop: Header=BB4_5434 Depth=3
	s_andn2_saveexec_b32 s16, s17
	s_cbranch_execz .LBB4_5607
.LBB4_5589:                             ;   in Loop: Header=BB4_5434 Depth=3
	s_and_saveexec_b32 s17, s29
	s_xor_b32 s17, exec_lo, s17
	s_cbranch_execz .LBB4_5604
; %bb.5590:                             ;   in Loop: Header=BB4_5434 Depth=3
	s_and_saveexec_b32 s18, s11
	s_cbranch_execz .LBB4_5603
; %bb.5591:                             ;   in Loop: Header=BB4_5434 Depth=3
	s_mov_b32 s22, exec_lo
	s_mov_b32 s19, exec_lo
	v_mbcnt_lo_u32_b32 v8, s22, 0
	;;#ASMSTART
	s_waitcnt lgkmcnt(0) vmcnt(0)
	;;#ASMEND
	v_cmpx_eq_u32_e32 0, v8
	s_cbranch_execz .LBB4_5593
; %bb.5592:                             ;   in Loop: Header=BB4_5434 Depth=3
	s_bcnt1_i32_b32 s22, s22
	v_mov_b32_e32 v9, v2
	v_mov_b32_e32 v8, s22
	s_waitcnt vmcnt(0) lgkmcnt(0)
	s_waitcnt_vscnt null, 0x0
	ds_add_u64 v0, v[8:9]
	s_trap 2
.LBB4_5593:                             ;   in Loop: Header=BB4_5434 Depth=3
	s_or_b32 exec_lo, exec_lo, s19
	s_trap 2
	ds_read_b64 v[8:9], v0
	s_waitcnt vmcnt(0) lgkmcnt(0)
	buffer_gl0_inv
	v_add_co_u32 v38, vcc_lo, v38, v103
	v_add_co_ci_u32_e64 v39, null, 0, v39, vcc_lo
	s_mov_b32 s19, exec_lo
	v_cmpx_lt_u64_e64 v[8:9], v[38:39]
	s_cbranch_execz .LBB4_5602
; %bb.5594:                             ;   in Loop: Header=BB4_5434 Depth=3
	s_mov_b32 s22, 0
	s_mov_b32 s74, 0
                                        ; implicit-def: $sgpr23
                                        ; implicit-def: $sgpr73
	s_inst_prefetch 0x1
	s_branch .LBB4_5596
	.p2align	6
.LBB4_5595:                             ;   in Loop: Header=BB4_5596 Depth=4
	s_or_b32 exec_lo, exec_lo, s76
	s_and_b32 s75, exec_lo, s77
	s_or_b32 s22, s75, s22
	s_andn2_b32 s23, s23, exec_lo
	s_and_b32 s75, s73, exec_lo
	s_or_b32 s23, s23, s75
	s_andn2_b32 exec_lo, exec_lo, s22
	s_cbranch_execz .LBB4_5600
.LBB4_5596:                             ;   Parent Loop BB4_47 Depth=1
                                        ;     Parent Loop BB4_5431 Depth=2
                                        ;       Parent Loop BB4_5434 Depth=3
                                        ; =>      This Inner Loop Header: Depth=4
	s_add_i32 s74, s74, 1
	s_cmpk_lg_i32 s74, 0x2710
	s_cselect_b32 s75, -1, 0
	s_and_b32 vcc_lo, exec_lo, s75
	s_cbranch_vccz .LBB4_5598
; %bb.5597:                             ;   in Loop: Header=BB4_5596 Depth=4
	s_mov_b32 s77, -1
	s_or_b32 s73, s73, exec_lo
	s_and_saveexec_b32 s76, s75
	s_cbranch_execz .LBB4_5595
	s_branch .LBB4_5599
	.p2align	6
.LBB4_5598:                             ;   in Loop: Header=BB4_5596 Depth=4
	s_trap 2
	ds_read_b64 v[8:9], v0
	s_andn2_b32 s75, s75, exec_lo
	s_mov_b32 s74, 0
	s_waitcnt lgkmcnt(0)
	s_waitcnt_vscnt null, 0x0
	flat_load_dword v8, v[8:9] glc dlc
	s_waitcnt vmcnt(0) lgkmcnt(0)
	buffer_gl1_inv
	buffer_gl0_inv
	v_cmp_eq_u32_e32 vcc_lo, 0, v8
	s_and_b32 s76, vcc_lo, exec_lo
	s_or_b32 s75, s75, s76
	s_mov_b32 s77, -1
	s_or_b32 s73, s73, exec_lo
	s_and_saveexec_b32 s76, s75
	s_cbranch_execz .LBB4_5595
.LBB4_5599:                             ;   in Loop: Header=BB4_5596 Depth=4
	s_sleep 1
	s_trap 2
	ds_read_b64 v[8:9], v0
	s_waitcnt lgkmcnt(0)
	buffer_gl0_inv
	s_andn2_b32 s73, s73, exec_lo
	v_cmp_ge_u64_e32 vcc_lo, v[8:9], v[38:39]
	s_orn2_b32 s77, vcc_lo, exec_lo
	s_branch .LBB4_5595
.LBB4_5600:                             ;   in Loop: Header=BB4_5434 Depth=3
	s_inst_prefetch 0x2
	s_or_b32 exec_lo, exec_lo, s22
	s_and_saveexec_b32 s22, s23
	s_xor_b32 s22, exec_lo, s22
	s_cbranch_execz .LBB4_5602
; %bb.5601:                             ;   in Loop: Header=BB4_5434 Depth=3
	ds_write_b32 v0, v113
	s_trap 2
.LBB4_5602:                             ;   in Loop: Header=BB4_5434 Depth=3
	s_or_b32 exec_lo, exec_lo, s19
	;;#ASMSTART
	s_wakeup
	;;#ASMEND
.LBB4_5603:                             ;   in Loop: Header=BB4_5434 Depth=3
	s_or_b32 exec_lo, exec_lo, s18
.LBB4_5604:                             ;   in Loop: Header=BB4_5434 Depth=3
	s_andn2_saveexec_b32 s17, s17
	s_cbranch_execz .LBB4_5606
; %bb.5605:                             ;   in Loop: Header=BB4_5434 Depth=3
	;;#ASMSTART
	s_waitcnt lgkmcnt(0) vmcnt(0)
	;;#ASMEND
	s_barrier
.LBB4_5606:                             ;   in Loop: Header=BB4_5434 Depth=3
	s_or_b32 exec_lo, exec_lo, s17
	v_and_b32_e32 v8, 16, v100
.LBB4_5607:                             ;   in Loop: Header=BB4_5434 Depth=3
	s_or_b32 exec_lo, exec_lo, s16
	v_cmp_ne_u32_e32 vcc_lo, 0, v8
	s_xor_b32 s16, s7, -1
	s_and_b32 s17, vcc_lo, s16
	s_and_saveexec_b32 s16, s17
	s_cbranch_execz .LBB4_5609
; %bb.5608:                             ;   in Loop: Header=BB4_5434 Depth=3
	s_waitcnt vmcnt(0) lgkmcnt(0)
	s_waitcnt_vscnt null, 0x0
	flat_store_dword v[36:37], v113
.LBB4_5609:                             ;   in Loop: Header=BB4_5434 Depth=3
	s_or_b32 exec_lo, exec_lo, s16
	v_and_b32_e32 v8, 48, v100
	s_mov_b32 s16, exec_lo
	v_cmpx_ne_u32_e32 0, v8
	s_cbranch_execz .LBB4_5433
; %bb.5610:                             ;   in Loop: Header=BB4_5434 Depth=3
	v_add_co_u32 v64, vcc_lo, v64, 2
	v_add_co_ci_u32_e64 v65, null, 0, v65, vcc_lo
	s_waitcnt vmcnt(0) lgkmcnt(0)
	s_waitcnt_vscnt null, 0x0
	flat_store_dwordx2 v[32:33], v[64:65]
	s_branch .LBB4_5433
.LBB4_5611:                             ;   in Loop: Header=BB4_5431 Depth=2
	s_or_b32 exec_lo, exec_lo, s62
.LBB4_5612:                             ;   in Loop: Header=BB4_5431 Depth=2
	s_or_b32 exec_lo, exec_lo, s61
	s_mov_b32 s17, exec_lo
	v_cmpx_gt_i32_e32 2, v10
	s_cbranch_execz .LBB4_5688
; %bb.5613:                             ;   in Loop: Header=BB4_5431 Depth=2
	v_cmp_eq_u32_e64 s19, 0, v10
	s_mov_b32 s18, 0
	s_branch .LBB4_5615
.LBB4_5614:                             ;   in Loop: Header=BB4_5615 Depth=3
	s_or_b32 exec_lo, exec_lo, s16
	v_add_nc_u32_e32 v21, v12, v21
	s_mov_b32 s19, 0
	s_andn2_b32 exec_lo, exec_lo, s18
	s_cbranch_execz .LBB4_5687
.LBB4_5615:                             ;   Parent Loop BB4_47 Depth=1
                                        ;     Parent Loop BB4_5431 Depth=2
                                        ; =>    This Loop Header: Depth=3
                                        ;         Child Loop BB4_5621 Depth 4
                                        ;         Child Loop BB4_5649 Depth 4
	;; [unrolled: 1-line block ×3, first 2 shown]
	v_sub_nc_u32_e32 v8, v3, v21
	v_and_b32_e32 v9, 12, v100
	s_mov_b32 s22, exec_lo
	v_min_i32_e32 v12, v12, v8
	v_cmpx_ne_u32_e32 0, v9
	s_cbranch_execz .LBB4_5641
; %bb.5616:                             ;   in Loop: Header=BB4_5615 Depth=3
	v_and_b32_e32 v17, 8, v100
	s_mov_b32 s23, exec_lo
	s_waitcnt vmcnt(0) lgkmcnt(1)
	v_add_co_u32 v10, vcc_lo, v48, v17
	v_add_co_ci_u32_e64 v11, null, 0, v49, vcc_lo
	v_add_co_u32 v8, vcc_lo, v64, 2
	v_add_co_ci_u32_e64 v9, null, 0, v65, vcc_lo
	v_cmpx_lt_u64_e64 v[10:11], v[8:9]
	s_cbranch_execz .LBB4_5628
; %bb.5617:                             ;   in Loop: Header=BB4_5615 Depth=3
	v_and_b32_e32 v10, 64, v100
	s_mov_b32 s61, 0
	s_mov_b32 s73, 0
                                        ; implicit-def: $sgpr62
                                        ; implicit-def: $sgpr63
                                        ; implicit-def: $sgpr72
	v_cmp_eq_u32_e32 vcc_lo, 0, v10
	s_branch .LBB4_5621
.LBB4_5618:                             ;   in Loop: Header=BB4_5621 Depth=4
	s_waitcnt vmcnt(0) lgkmcnt(0)
	v_add_co_u32 v13, s16, v48, v17
	v_add_co_ci_u32_e64 v14, null, 0, v49, s16
	s_or_b32 s76, s76, exec_lo
	v_cmp_ge_u64_e64 s16, v[13:14], v[8:9]
	s_orn2_b32 s75, s16, exec_lo
.LBB4_5619:                             ;   in Loop: Header=BB4_5621 Depth=4
	s_or_b32 exec_lo, exec_lo, s78
	s_andn2_b32 s16, s72, exec_lo
	s_and_b32 s72, s76, exec_lo
	s_andn2_b32 s63, s63, exec_lo
	s_and_b32 s75, s75, exec_lo
	s_or_b32 s72, s16, s72
	s_or_b32 s63, s63, s75
.LBB4_5620:                             ;   in Loop: Header=BB4_5621 Depth=4
	s_or_b32 exec_lo, exec_lo, s74
	s_and_b32 s16, exec_lo, s63
	s_or_b32 s61, s16, s61
	s_andn2_b32 s16, s62, exec_lo
	s_and_b32 s62, s72, exec_lo
	s_or_b32 s62, s16, s62
	s_andn2_b32 exec_lo, exec_lo, s61
	s_cbranch_execz .LBB4_5625
.LBB4_5621:                             ;   Parent Loop BB4_47 Depth=1
                                        ;     Parent Loop BB4_5431 Depth=2
                                        ;       Parent Loop BB4_5615 Depth=3
                                        ; =>      This Inner Loop Header: Depth=4
	s_sleep 1
	s_waitcnt vmcnt(0) lgkmcnt(0)
	flat_load_dwordx2 v[48:49], v[32:33] glc dlc
	s_or_b32 s72, s72, exec_lo
	s_or_b32 s63, s63, exec_lo
                                        ; implicit-def: $vgpr10
	s_and_saveexec_b32 s74, vcc_lo
	s_cbranch_execz .LBB4_5620
; %bb.5622:                             ;   in Loop: Header=BB4_5621 Depth=4
	s_cmpk_lt_i32 s73, 0x270f
	s_mov_b32 s75, -1
	s_cselect_b32 s77, -1, 0
	s_cmpk_gt_i32 s73, 0x270e
	s_cbranch_scc0 .LBB4_5624
; %bb.5623:                             ;   in Loop: Header=BB4_5621 Depth=4
	s_trap 2
	ds_read_b64 v[10:11], v0
	s_andn2_b32 s73, s77, exec_lo
	s_mov_b32 s76, 0
	s_waitcnt vmcnt(0) lgkmcnt(0)
	s_waitcnt_vscnt null, 0x0
	flat_load_dword v10, v[10:11] glc dlc
	s_waitcnt vmcnt(0) lgkmcnt(0)
	buffer_gl1_inv
	buffer_gl0_inv
	v_cmp_eq_u32_e64 s16, 0, v10
	s_and_b32 s16, s16, exec_lo
	s_or_b32 s77, s73, s16
	s_mov_b32 s73, 0
	s_and_saveexec_b32 s78, s77
	s_cbranch_execz .LBB4_5619
	s_branch .LBB4_5618
.LBB4_5624:                             ;   in Loop: Header=BB4_5621 Depth=4
	s_add_i32 s73, s73, 1
	s_mov_b32 s76, -1
                                        ; implicit-def: $vgpr10
	s_and_saveexec_b32 s78, s77
	s_cbranch_execz .LBB4_5619
	s_branch .LBB4_5618
.LBB4_5625:                             ;   in Loop: Header=BB4_5615 Depth=3
	s_or_b32 exec_lo, exec_lo, s61
	s_xor_b32 s16, s62, -1
	s_and_saveexec_b32 s61, s16
	s_xor_b32 s16, exec_lo, s61
	s_cbranch_execz .LBB4_5627
; %bb.5626:                             ;   in Loop: Header=BB4_5615 Depth=3
	v_or_b32_e32 v100, 64, v100
	s_waitcnt vmcnt(0) lgkmcnt(0)
	s_waitcnt_vscnt null, 0x0
	ds_write_b32 v0, v10
	s_trap 2
.LBB4_5627:                             ;   in Loop: Header=BB4_5615 Depth=3
	s_or_b32 exec_lo, exec_lo, s16
.LBB4_5628:                             ;   in Loop: Header=BB4_5615 Depth=3
	s_or_b32 exec_lo, exec_lo, s23
	v_and_b32_e32 v10, 0x108, v100
	;;#ASMSTART
	s_wakeup
	;;#ASMEND
	v_cmp_ne_u32_e32 vcc_lo, 0x108, v10
                                        ; implicit-def: $vgpr10_vgpr11
	s_and_saveexec_b32 s16, vcc_lo
	s_xor_b32 s16, exec_lo, s16
; %bb.5629:                             ;   in Loop: Header=BB4_5615 Depth=3
	v_and_b32_e32 v10, 7, v64
	v_mov_b32_e32 v11, v2
                                        ; implicit-def: $vgpr64_vgpr65
; %bb.5630:                             ;   in Loop: Header=BB4_5615 Depth=3
	s_andn2_saveexec_b32 s16, s16
	s_cbranch_execz .LBB4_5632
; %bb.5631:                             ;   in Loop: Header=BB4_5615 Depth=3
	v_and_b32_e32 v10, 7, v64
	v_ashrrev_i32_e32 v13, 31, v12
	v_mov_b32_e32 v11, v2
	v_mad_u64_u32 v[14:15], null, v10, 24, v[6:7]
	flat_store_dwordx2 v[14:15], v[12:13] offset:8
.LBB4_5632:                             ;   in Loop: Header=BB4_5615 Depth=3
	s_or_b32 exec_lo, exec_lo, s16
	v_and_b32_e32 v13, 0x100, v100
	s_mov_b32 s16, -1
	v_cmp_ne_u32_e32 vcc_lo, 0, v13
                                        ; implicit-def: $vgpr13_vgpr14
	s_and_saveexec_b32 s23, vcc_lo
	s_cbranch_execz .LBB4_5636
; %bb.5633:                             ;   in Loop: Header=BB4_5615 Depth=3
	v_mad_u64_u32 v[15:16], null, v10, 24, v[6:7]
	v_mov_b32_e32 v13, v16
	v_mad_u64_u32 v[13:14], null, v11, 24, v[13:14]
	v_mov_b32_e32 v16, v13
	flat_load_dword v13, v[15:16]
	s_waitcnt vmcnt(0) lgkmcnt(0)
	v_cmp_eq_u32_e64 s16, 1, v13
	v_cmp_ne_u32_e32 vcc_lo, 1, v13
                                        ; implicit-def: $vgpr13_vgpr14
	s_and_saveexec_b32 s61, s16
	s_cbranch_execz .LBB4_5635
; %bb.5634:                             ;   in Loop: Header=BB4_5615 Depth=3
	flat_load_dword v13, v[15:16] offset:4 glc dlc
	s_waitcnt vmcnt(0) lgkmcnt(0)
	v_ashrrev_i32_e32 v14, 31, v13
.LBB4_5635:                             ;   in Loop: Header=BB4_5615 Depth=3
	s_or_b32 exec_lo, exec_lo, s61
	s_orn2_b32 s16, vcc_lo, exec_lo
.LBB4_5636:                             ;   in Loop: Header=BB4_5615 Depth=3
	s_or_b32 exec_lo, exec_lo, s23
	s_and_saveexec_b32 s23, s16
; %bb.5637:                             ;   in Loop: Header=BB4_5615 Depth=3
	v_mul_lo_u32 v11, v11, v101
	v_mul_lo_u32 v15, v10, v102
	v_mad_u64_u32 v[13:14], null, v10, v101, 0
	v_add3_u32 v14, v14, v15, v11
; %bb.5638:                             ;   in Loop: Header=BB4_5615 Depth=3
	s_or_b32 exec_lo, exec_lo, s23
	v_cmp_eq_u32_e32 vcc_lo, 0, v17
	v_and_b32_e32 v16, 0x2000, v100
	s_mov_b32 s16, exec_lo
	v_cndmask_b32_e32 v15, 0xd0, v41, vcc_lo
	v_add_co_u32 v10, vcc_lo, v34, v13
	v_add_co_ci_u32_e64 v11, null, v35, v14, vcc_lo
	v_add_nc_u32_e32 v13, v0, v15
	ds_write_b64 v13, v[10:11] offset:584
	v_cmpx_ne_u32_e32 0, v16
	s_cbranch_execz .LBB4_5640
; %bb.5639:                             ;   in Loop: Header=BB4_5615 Depth=3
	ds_read_b64 v[10:11], v0 offset:872
	s_waitcnt lgkmcnt(0)
	v_add_co_u32 v10, vcc_lo, v10, 1
	v_add_co_ci_u32_e64 v11, null, 0, v11, vcc_lo
	ds_write_b64 v0, v[10:11] offset:872
.LBB4_5640:                             ;   in Loop: Header=BB4_5615 Depth=3
	s_or_b32 exec_lo, exec_lo, s16
	v_mov_b32_e32 v65, v9
	v_mov_b32_e32 v64, v8
.LBB4_5641:                             ;   in Loop: Header=BB4_5615 Depth=3
	s_or_b32 exec_lo, exec_lo, s22
	s_xor_b32 s16, s19, -1
	s_and_b32 s16, exec_lo, s16
	s_or_b32 s18, s16, s18
	s_and_saveexec_b32 s16, s6
	s_cbranch_execz .LBB4_5660
; %bb.5642:                             ;   in Loop: Header=BB4_5615 Depth=3
	s_and_saveexec_b32 s19, s29
	s_xor_b32 s19, exec_lo, s19
	s_cbranch_execz .LBB4_5657
; %bb.5643:                             ;   in Loop: Header=BB4_5615 Depth=3
	s_and_saveexec_b32 s22, s11
	s_cbranch_execz .LBB4_5656
; %bb.5644:                             ;   in Loop: Header=BB4_5615 Depth=3
	s_mov_b32 s61, exec_lo
	s_mov_b32 s23, exec_lo
	v_mbcnt_lo_u32_b32 v8, s61, 0
	s_waitcnt vmcnt(0) lgkmcnt(0)
	s_waitcnt_vscnt null, 0x0
	buffer_gl1_inv
	buffer_gl0_inv
	v_cmpx_eq_u32_e32 0, v8
	s_cbranch_execz .LBB4_5646
; %bb.5645:                             ;   in Loop: Header=BB4_5615 Depth=3
	s_bcnt1_i32_b32 s61, s61
	v_mov_b32_e32 v9, v2
	v_mov_b32_e32 v8, s61
	ds_add_u64 v0, v[8:9]
	s_trap 2
.LBB4_5646:                             ;   in Loop: Header=BB4_5615 Depth=3
	s_or_b32 exec_lo, exec_lo, s23
	s_trap 2
	ds_read_b64 v[8:9], v0
	s_waitcnt lgkmcnt(0)
	buffer_gl0_inv
	v_add_co_u32 v38, vcc_lo, v38, v103
	v_add_co_ci_u32_e64 v39, null, 0, v39, vcc_lo
	s_mov_b32 s23, exec_lo
	v_cmpx_lt_u64_e64 v[8:9], v[38:39]
	s_cbranch_execz .LBB4_5655
; %bb.5647:                             ;   in Loop: Header=BB4_5615 Depth=3
	s_mov_b32 s61, 0
	s_mov_b32 s72, 0
                                        ; implicit-def: $sgpr62
                                        ; implicit-def: $sgpr63
	s_inst_prefetch 0x1
	s_branch .LBB4_5649
	.p2align	6
.LBB4_5648:                             ;   in Loop: Header=BB4_5649 Depth=4
	s_or_b32 exec_lo, exec_lo, s74
	s_and_b32 s73, exec_lo, s75
	s_or_b32 s61, s73, s61
	s_andn2_b32 s62, s62, exec_lo
	s_and_b32 s73, s63, exec_lo
	s_or_b32 s62, s62, s73
	s_andn2_b32 exec_lo, exec_lo, s61
	s_cbranch_execz .LBB4_5653
.LBB4_5649:                             ;   Parent Loop BB4_47 Depth=1
                                        ;     Parent Loop BB4_5431 Depth=2
                                        ;       Parent Loop BB4_5615 Depth=3
                                        ; =>      This Inner Loop Header: Depth=4
	s_add_i32 s72, s72, 1
	s_cmpk_lg_i32 s72, 0x2710
	s_cselect_b32 s73, -1, 0
	s_and_b32 vcc_lo, exec_lo, s73
	s_cbranch_vccz .LBB4_5651
; %bb.5650:                             ;   in Loop: Header=BB4_5649 Depth=4
	s_mov_b32 s75, -1
	s_or_b32 s63, s63, exec_lo
	s_and_saveexec_b32 s74, s73
	s_cbranch_execz .LBB4_5648
	s_branch .LBB4_5652
	.p2align	6
.LBB4_5651:                             ;   in Loop: Header=BB4_5649 Depth=4
	s_trap 2
	ds_read_b64 v[8:9], v0
	s_andn2_b32 s73, s73, exec_lo
	s_mov_b32 s72, 0
	s_waitcnt lgkmcnt(0)
	flat_load_dword v8, v[8:9] glc dlc
	s_waitcnt vmcnt(0) lgkmcnt(0)
	buffer_gl1_inv
	buffer_gl0_inv
	v_cmp_eq_u32_e32 vcc_lo, 0, v8
	s_and_b32 s74, vcc_lo, exec_lo
	s_or_b32 s73, s73, s74
	s_mov_b32 s75, -1
	s_or_b32 s63, s63, exec_lo
	s_and_saveexec_b32 s74, s73
	s_cbranch_execz .LBB4_5648
.LBB4_5652:                             ;   in Loop: Header=BB4_5649 Depth=4
	s_sleep 1
	s_trap 2
	ds_read_b64 v[8:9], v0
	s_waitcnt lgkmcnt(0)
	buffer_gl0_inv
	s_andn2_b32 s63, s63, exec_lo
	v_cmp_ge_u64_e32 vcc_lo, v[8:9], v[38:39]
	s_orn2_b32 s75, vcc_lo, exec_lo
	s_branch .LBB4_5648
.LBB4_5653:                             ;   in Loop: Header=BB4_5615 Depth=3
	s_inst_prefetch 0x2
	s_or_b32 exec_lo, exec_lo, s61
	s_and_saveexec_b32 s61, s62
	s_xor_b32 s61, exec_lo, s61
	s_cbranch_execz .LBB4_5655
; %bb.5654:                             ;   in Loop: Header=BB4_5615 Depth=3
	ds_write_b32 v0, v113
	s_trap 2
.LBB4_5655:                             ;   in Loop: Header=BB4_5615 Depth=3
	s_or_b32 exec_lo, exec_lo, s23
	;;#ASMSTART
	s_wakeup
	;;#ASMEND
.LBB4_5656:                             ;   in Loop: Header=BB4_5615 Depth=3
	s_or_b32 exec_lo, exec_lo, s22
.LBB4_5657:                             ;   in Loop: Header=BB4_5615 Depth=3
	s_andn2_saveexec_b32 s19, s19
	s_cbranch_execz .LBB4_5659
; %bb.5658:                             ;   in Loop: Header=BB4_5615 Depth=3
	s_waitcnt vmcnt(0) lgkmcnt(0)
	s_waitcnt_vscnt null, 0x0
	buffer_gl1_inv
	buffer_gl0_inv
	s_barrier
.LBB4_5659:                             ;   in Loop: Header=BB4_5615 Depth=3
	s_or_b32 exec_lo, exec_lo, s19
.LBB4_5660:                             ;   in Loop: Header=BB4_5615 Depth=3
	s_or_b32 exec_lo, exec_lo, s16
                                        ; implicit-def: $vgpr8
	s_and_saveexec_b32 s16, s13
	s_xor_b32 s19, exec_lo, s16
	s_cbranch_execz .LBB4_5664
; %bb.5661:                             ;   in Loop: Header=BB4_5615 Depth=3
	s_trap 2
	ds_read_b32 v8, v0
	v_cmp_lt_i32_e32 vcc_lo, 0, v12
	s_waitcnt lgkmcnt(0)
	v_readfirstlane_b32 s16, v8
	v_and_b32_e32 v8, 16, v100
	s_cmp_eq_u32 s16, 0
	v_cmp_ne_u32_e64 s16, 0, v8
	s_cselect_b32 s22, -1, 0
	v_and_b32_e32 v8, 16, v100
	s_and_b32 s22, vcc_lo, s22
	s_and_b32 s22, s16, s22
	s_and_saveexec_b32 s16, s22
	s_cbranch_execz .LBB4_5663
; %bb.5662:                             ;   in Loop: Header=BB4_5615 Depth=3
	v_mov_b32_e32 v8, 1
	s_waitcnt vmcnt(0)
	s_waitcnt_vscnt null, 0x0
	buffer_gl1_inv
	buffer_gl0_inv
.LBB4_5663:                             ;   in Loop: Header=BB4_5615 Depth=3
	s_or_b32 exec_lo, exec_lo, s16
	s_andn2_saveexec_b32 s16, s19
	s_cbranch_execz .LBB4_5683
	s_branch .LBB4_5665
.LBB4_5664:                             ;   in Loop: Header=BB4_5615 Depth=3
	s_andn2_saveexec_b32 s16, s19
	s_cbranch_execz .LBB4_5683
.LBB4_5665:                             ;   in Loop: Header=BB4_5615 Depth=3
	s_and_saveexec_b32 s19, s29
	s_xor_b32 s19, exec_lo, s19
	s_cbranch_execz .LBB4_5680
; %bb.5666:                             ;   in Loop: Header=BB4_5615 Depth=3
	s_and_saveexec_b32 s22, s11
	s_cbranch_execz .LBB4_5679
; %bb.5667:                             ;   in Loop: Header=BB4_5615 Depth=3
	s_mov_b32 s61, exec_lo
	s_mov_b32 s23, exec_lo
	v_mbcnt_lo_u32_b32 v8, s61, 0
	;;#ASMSTART
	s_waitcnt lgkmcnt(0) vmcnt(0)
	;;#ASMEND
	v_cmpx_eq_u32_e32 0, v8
	s_cbranch_execz .LBB4_5669
; %bb.5668:                             ;   in Loop: Header=BB4_5615 Depth=3
	s_bcnt1_i32_b32 s61, s61
	v_mov_b32_e32 v9, v2
	v_mov_b32_e32 v8, s61
	s_waitcnt vmcnt(0) lgkmcnt(0)
	s_waitcnt_vscnt null, 0x0
	ds_add_u64 v0, v[8:9]
	s_trap 2
.LBB4_5669:                             ;   in Loop: Header=BB4_5615 Depth=3
	s_or_b32 exec_lo, exec_lo, s23
	s_trap 2
	ds_read_b64 v[8:9], v0
	s_waitcnt vmcnt(0) lgkmcnt(0)
	buffer_gl0_inv
	v_add_co_u32 v38, vcc_lo, v38, v103
	v_add_co_ci_u32_e64 v39, null, 0, v39, vcc_lo
	s_mov_b32 s23, exec_lo
	v_cmpx_lt_u64_e64 v[8:9], v[38:39]
	s_cbranch_execz .LBB4_5678
; %bb.5670:                             ;   in Loop: Header=BB4_5615 Depth=3
	s_mov_b32 s61, 0
	s_mov_b32 s72, 0
                                        ; implicit-def: $sgpr62
                                        ; implicit-def: $sgpr63
	s_inst_prefetch 0x1
	s_branch .LBB4_5672
	.p2align	6
.LBB4_5671:                             ;   in Loop: Header=BB4_5672 Depth=4
	s_or_b32 exec_lo, exec_lo, s74
	s_and_b32 s73, exec_lo, s75
	s_or_b32 s61, s73, s61
	s_andn2_b32 s62, s62, exec_lo
	s_and_b32 s73, s63, exec_lo
	s_or_b32 s62, s62, s73
	s_andn2_b32 exec_lo, exec_lo, s61
	s_cbranch_execz .LBB4_5676
.LBB4_5672:                             ;   Parent Loop BB4_47 Depth=1
                                        ;     Parent Loop BB4_5431 Depth=2
                                        ;       Parent Loop BB4_5615 Depth=3
                                        ; =>      This Inner Loop Header: Depth=4
	s_add_i32 s72, s72, 1
	s_cmpk_lg_i32 s72, 0x2710
	s_cselect_b32 s73, -1, 0
	s_and_b32 vcc_lo, exec_lo, s73
	s_cbranch_vccz .LBB4_5674
; %bb.5673:                             ;   in Loop: Header=BB4_5672 Depth=4
	s_mov_b32 s75, -1
	s_or_b32 s63, s63, exec_lo
	s_and_saveexec_b32 s74, s73
	s_cbranch_execz .LBB4_5671
	s_branch .LBB4_5675
	.p2align	6
.LBB4_5674:                             ;   in Loop: Header=BB4_5672 Depth=4
	s_trap 2
	ds_read_b64 v[8:9], v0
	s_andn2_b32 s73, s73, exec_lo
	s_mov_b32 s72, 0
	s_waitcnt lgkmcnt(0)
	s_waitcnt_vscnt null, 0x0
	flat_load_dword v8, v[8:9] glc dlc
	s_waitcnt vmcnt(0) lgkmcnt(0)
	buffer_gl1_inv
	buffer_gl0_inv
	v_cmp_eq_u32_e32 vcc_lo, 0, v8
	s_and_b32 s74, vcc_lo, exec_lo
	s_or_b32 s73, s73, s74
	s_mov_b32 s75, -1
	s_or_b32 s63, s63, exec_lo
	s_and_saveexec_b32 s74, s73
	s_cbranch_execz .LBB4_5671
.LBB4_5675:                             ;   in Loop: Header=BB4_5672 Depth=4
	s_sleep 1
	s_trap 2
	ds_read_b64 v[8:9], v0
	s_waitcnt lgkmcnt(0)
	buffer_gl0_inv
	s_andn2_b32 s63, s63, exec_lo
	v_cmp_ge_u64_e32 vcc_lo, v[8:9], v[38:39]
	s_orn2_b32 s75, vcc_lo, exec_lo
	s_branch .LBB4_5671
.LBB4_5676:                             ;   in Loop: Header=BB4_5615 Depth=3
	s_inst_prefetch 0x2
	s_or_b32 exec_lo, exec_lo, s61
	s_and_saveexec_b32 s61, s62
	s_xor_b32 s61, exec_lo, s61
	s_cbranch_execz .LBB4_5678
; %bb.5677:                             ;   in Loop: Header=BB4_5615 Depth=3
	ds_write_b32 v0, v113
	s_trap 2
.LBB4_5678:                             ;   in Loop: Header=BB4_5615 Depth=3
	s_or_b32 exec_lo, exec_lo, s23
	;;#ASMSTART
	s_wakeup
	;;#ASMEND
.LBB4_5679:                             ;   in Loop: Header=BB4_5615 Depth=3
	s_or_b32 exec_lo, exec_lo, s22
.LBB4_5680:                             ;   in Loop: Header=BB4_5615 Depth=3
	s_andn2_saveexec_b32 s19, s19
	s_cbranch_execz .LBB4_5682
; %bb.5681:                             ;   in Loop: Header=BB4_5615 Depth=3
	;;#ASMSTART
	s_waitcnt lgkmcnt(0) vmcnt(0)
	;;#ASMEND
	s_barrier
.LBB4_5682:                             ;   in Loop: Header=BB4_5615 Depth=3
	s_or_b32 exec_lo, exec_lo, s19
	v_and_b32_e32 v8, 16, v100
.LBB4_5683:                             ;   in Loop: Header=BB4_5615 Depth=3
	s_or_b32 exec_lo, exec_lo, s16
	v_cmp_ne_u32_e32 vcc_lo, 0, v8
	s_xor_b32 s16, s7, -1
	s_and_b32 s19, vcc_lo, s16
	s_and_saveexec_b32 s16, s19
	s_cbranch_execz .LBB4_5685
; %bb.5684:                             ;   in Loop: Header=BB4_5615 Depth=3
	s_waitcnt vmcnt(0) lgkmcnt(0)
	s_waitcnt_vscnt null, 0x0
	flat_store_dword v[36:37], v113
.LBB4_5685:                             ;   in Loop: Header=BB4_5615 Depth=3
	s_or_b32 exec_lo, exec_lo, s16
	v_and_b32_e32 v8, 48, v100
	s_mov_b32 s16, exec_lo
	v_cmpx_ne_u32_e32 0, v8
	s_cbranch_execz .LBB4_5614
; %bb.5686:                             ;   in Loop: Header=BB4_5615 Depth=3
	v_add_co_u32 v64, vcc_lo, v64, 2
	v_add_co_ci_u32_e64 v65, null, 0, v65, vcc_lo
	s_waitcnt vmcnt(0) lgkmcnt(0)
	s_waitcnt_vscnt null, 0x0
	flat_store_dwordx2 v[32:33], v[64:65]
	s_branch .LBB4_5614
.LBB4_5687:                             ;   in Loop: Header=BB4_5431 Depth=2
	s_or_b32 exec_lo, exec_lo, s18
.LBB4_5688:                             ;   in Loop: Header=BB4_5431 Depth=2
	s_or_b32 exec_lo, exec_lo, s17
	s_add_i32 s16, s21, 1
	s_cmp_eq_u32 s21, s56
	s_cbranch_scc1 .LBB4_5690
; %bb.5689:                             ;   in Loop: Header=BB4_5431 Depth=2
	s_mov_b32 s21, s16
	s_branch .LBB4_5431
.LBB4_5690:                             ;   in Loop: Header=BB4_47 Depth=1
	v_mul_lo_u32 v3, v55, s58
	v_mul_lo_u32 v10, v54, s59
	v_mad_u64_u32 v[8:9], null, v54, s58, 0
	v_mov_b32_e32 v17, 0
	v_add3_u32 v9, v9, v10, v3
	v_sub_co_u32 v10, vcc_lo, v66, v8
	v_sub_co_ci_u32_e64 v11, null, v67, v9, vcc_lo
	v_cmp_lt_i64_e32 vcc_lo, v[54:55], v[10:11]
	v_cndmask_b32_e32 v11, v10, v54, vcc_lo
	v_max_i32_e32 v3, 0, v11
	v_cmp_lt_i32_e32 vcc_lo, 0, v11
	v_add_nc_u32_e32 v10, 31, v3
	s_and_b32 s16, s57, vcc_lo
	v_lshrrev_b32_e32 v10, 1, v10
	v_and_b32_e32 v12, 0x3ffffff0, v10
	v_mov_b32_e32 v10, 0
	v_max_i32_e32 v16, s45, v12
	s_and_saveexec_b32 s18, s16
	s_cbranch_execz .LBB4_5830
; %bb.5691:                             ;   in Loop: Header=BB4_47 Depth=1
	v_add_co_u32 v18, vcc_lo, v8, v75
	v_add_co_ci_u32_e64 v19, null, v9, v76, vcc_lo
	v_mov_b32_e32 v17, 0
	s_mov_b32 s22, 1
	s_mov_b32 s21, -1
	s_mov_b32 s19, 0
	s_branch .LBB4_5693
.LBB4_5692:                             ;   in Loop: Header=BB4_5693 Depth=2
	s_or_b32 exec_lo, exec_lo, s16
	v_add_nc_u32_e32 v17, v16, v17
	s_xor_b32 s16, s21, -1
	v_mov_b32_e32 v10, s22
	s_mov_b32 s21, 0
	s_mov_b32 s22, 2
	v_cmp_ge_i32_e32 vcc_lo, v17, v3
	s_or_b32 s16, s16, vcc_lo
	s_and_b32 s16, exec_lo, s16
	s_or_b32 s19, s16, s19
	s_andn2_b32 exec_lo, exec_lo, s19
	s_cbranch_execz .LBB4_5829
.LBB4_5693:                             ;   Parent Loop BB4_47 Depth=1
                                        ; =>  This Loop Header: Depth=2
                                        ;       Child Loop BB4_5701 Depth 3
                                        ;       Child Loop BB4_5725 Depth 3
	;; [unrolled: 1-line block ×9, first 2 shown]
	s_and_saveexec_b32 s17, s4
	s_cbranch_execz .LBB4_5695
; %bb.5694:                             ;   in Loop: Header=BB4_5693 Depth=2
	s_trap 2
	ds_read_b128 v[8:11], v0
	v_ashrrev_i32_e32 v12, 31, v17
	s_waitcnt lgkmcnt(0)
	v_add_co_u32 v13, vcc_lo, v10, v18
	v_add_co_ci_u32_e64 v14, null, v11, v19, vcc_lo
	v_add_co_u32 v8, vcc_lo, v8, v18
	v_add_co_ci_u32_e64 v9, null, v9, v19, vcc_lo
	;; [unrolled: 2-line block ×3, first 2 shown]
	v_cmp_ne_u64_e32 vcc_lo, 0, v[10:11]
	v_add_co_u32 v8, s16, v8, v17
	v_add_co_ci_u32_e64 v9, null, v9, v12, s16
	v_cndmask_b32_e32 v11, 0, v14, vcc_lo
	v_cndmask_b32_e32 v10, 0, v13, vcc_lo
	ds_write_b64 v0, v[8:9]
	ds_write_b64 v0, v[10:11]
.LBB4_5695:                             ;   in Loop: Header=BB4_5693 Depth=2
	s_or_b32 exec_lo, exec_lo, s17
	v_and_b32_e32 v8, 4, v100
	s_mov_b32 s17, exec_lo
	v_cmpx_ne_u32_e32 0, v8
	s_cbranch_execz .LBB4_5717
; %bb.5696:                             ;   in Loop: Header=BB4_5693 Depth=2
	v_add_co_u32 v8, vcc_lo, v64, 2
	v_add_co_ci_u32_e64 v9, null, 0, v65, vcc_lo
	s_mov_b32 s23, exec_lo
	s_waitcnt vmcnt(0) lgkmcnt(1)
	v_cmpx_lt_u64_e64 v[48:49], v[8:9]
	s_cbranch_execz .LBB4_5708
; %bb.5697:                             ;   in Loop: Header=BB4_5693 Depth=2
	v_and_b32_e32 v10, 64, v100
	s_mov_b32 s61, 0
	s_mov_b32 s73, 0
                                        ; implicit-def: $sgpr62
                                        ; implicit-def: $sgpr63
                                        ; implicit-def: $sgpr72
	v_cmp_eq_u32_e32 vcc_lo, 0, v10
	s_branch .LBB4_5701
.LBB4_5698:                             ;   in Loop: Header=BB4_5701 Depth=3
	s_waitcnt vmcnt(0) lgkmcnt(0)
	v_cmp_ge_u64_e64 s16, v[48:49], v[8:9]
	s_or_b32 s76, s76, exec_lo
	s_orn2_b32 s75, s16, exec_lo
.LBB4_5699:                             ;   in Loop: Header=BB4_5701 Depth=3
	s_or_b32 exec_lo, exec_lo, s78
	s_andn2_b32 s16, s72, exec_lo
	s_and_b32 s72, s76, exec_lo
	s_andn2_b32 s63, s63, exec_lo
	s_and_b32 s75, s75, exec_lo
	s_or_b32 s72, s16, s72
	s_or_b32 s63, s63, s75
.LBB4_5700:                             ;   in Loop: Header=BB4_5701 Depth=3
	s_or_b32 exec_lo, exec_lo, s74
	s_and_b32 s16, exec_lo, s63
	s_or_b32 s61, s16, s61
	s_andn2_b32 s16, s62, exec_lo
	s_and_b32 s62, s72, exec_lo
	s_or_b32 s62, s16, s62
	s_andn2_b32 exec_lo, exec_lo, s61
	s_cbranch_execz .LBB4_5705
.LBB4_5701:                             ;   Parent Loop BB4_47 Depth=1
                                        ;     Parent Loop BB4_5693 Depth=2
                                        ; =>    This Inner Loop Header: Depth=3
	s_sleep 1
	s_waitcnt vmcnt(0) lgkmcnt(0)
	flat_load_dwordx2 v[48:49], v[32:33] glc dlc
	s_or_b32 s72, s72, exec_lo
	s_or_b32 s63, s63, exec_lo
                                        ; implicit-def: $vgpr10
	s_and_saveexec_b32 s74, vcc_lo
	s_cbranch_execz .LBB4_5700
; %bb.5702:                             ;   in Loop: Header=BB4_5701 Depth=3
	s_cmpk_lt_i32 s73, 0x270f
	s_mov_b32 s75, -1
	s_cselect_b32 s77, -1, 0
	s_cmpk_gt_i32 s73, 0x270e
	s_cbranch_scc0 .LBB4_5704
; %bb.5703:                             ;   in Loop: Header=BB4_5701 Depth=3
	s_trap 2
	ds_read_b64 v[10:11], v0
	s_andn2_b32 s73, s77, exec_lo
	s_mov_b32 s76, 0
	s_waitcnt vmcnt(0) lgkmcnt(0)
	s_waitcnt_vscnt null, 0x0
	flat_load_dword v10, v[10:11] glc dlc
	s_waitcnt vmcnt(0) lgkmcnt(0)
	buffer_gl1_inv
	buffer_gl0_inv
	v_cmp_eq_u32_e64 s16, 0, v10
	s_and_b32 s16, s16, exec_lo
	s_or_b32 s77, s73, s16
	s_mov_b32 s73, 0
	s_and_saveexec_b32 s78, s77
	s_cbranch_execz .LBB4_5699
	s_branch .LBB4_5698
.LBB4_5704:                             ;   in Loop: Header=BB4_5701 Depth=3
	s_add_i32 s73, s73, 1
	s_mov_b32 s76, -1
                                        ; implicit-def: $vgpr10
	s_and_saveexec_b32 s78, s77
	s_cbranch_execz .LBB4_5699
	s_branch .LBB4_5698
.LBB4_5705:                             ;   in Loop: Header=BB4_5693 Depth=2
	s_or_b32 exec_lo, exec_lo, s61
	s_xor_b32 s16, s62, -1
	s_and_saveexec_b32 s61, s16
	s_xor_b32 s16, exec_lo, s61
	s_cbranch_execz .LBB4_5707
; %bb.5706:                             ;   in Loop: Header=BB4_5693 Depth=2
	v_or_b32_e32 v100, 64, v100
	s_waitcnt vmcnt(0) lgkmcnt(0)
	s_waitcnt_vscnt null, 0x0
	ds_write_b32 v0, v10
	s_trap 2
.LBB4_5707:                             ;   in Loop: Header=BB4_5693 Depth=2
	s_or_b32 exec_lo, exec_lo, s16
.LBB4_5708:                             ;   in Loop: Header=BB4_5693 Depth=2
	s_or_b32 exec_lo, exec_lo, s23
	v_and_b32_e32 v10, 0x100, v100
	v_and_b32_e32 v14, 7, v64
	s_mov_b32 s16, -1
	;;#ASMSTART
	s_wakeup
	;;#ASMEND
	v_cmp_ne_u32_e32 vcc_lo, 0, v10
                                        ; implicit-def: $vgpr10_vgpr11
	s_and_saveexec_b32 s23, vcc_lo
	s_cbranch_execz .LBB4_5712
; %bb.5709:                             ;   in Loop: Header=BB4_5693 Depth=2
	v_mad_u64_u32 v[12:13], null, v14, 24, v[6:7]
	flat_load_dword v10, v[12:13]
	s_waitcnt vmcnt(0) lgkmcnt(0)
	v_cmp_eq_u32_e64 s16, 1, v10
	v_cmp_ne_u32_e32 vcc_lo, 1, v10
                                        ; implicit-def: $vgpr10_vgpr11
	s_and_saveexec_b32 s61, s16
	s_cbranch_execz .LBB4_5711
; %bb.5710:                             ;   in Loop: Header=BB4_5693 Depth=2
	flat_load_dword v10, v[12:13] offset:4 glc dlc
	s_waitcnt vmcnt(0) lgkmcnt(0)
	v_ashrrev_i32_e32 v11, 31, v10
.LBB4_5711:                             ;   in Loop: Header=BB4_5693 Depth=2
	s_or_b32 exec_lo, exec_lo, s61
	s_orn2_b32 s16, vcc_lo, exec_lo
.LBB4_5712:                             ;   in Loop: Header=BB4_5693 Depth=2
	s_or_b32 exec_lo, exec_lo, s23
	s_and_saveexec_b32 s23, s16
; %bb.5713:                             ;   in Loop: Header=BB4_5693 Depth=2
	v_mad_i64_i32 v[10:11], null, v14, v101, 0
; %bb.5714:                             ;   in Loop: Header=BB4_5693 Depth=2
	s_or_b32 exec_lo, exec_lo, s23
	v_add_co_u32 v10, vcc_lo, v34, v10
	v_and_b32_e32 v12, 0x2000, v100
	v_add_co_ci_u32_e64 v11, null, v35, v11, vcc_lo
	s_mov_b32 s16, exec_lo
	ds_write_b64 v0, v[10:11] offset:720
	v_cmpx_ne_u32_e32 0, v12
	s_cbranch_execz .LBB4_5716
; %bb.5715:                             ;   in Loop: Header=BB4_5693 Depth=2
	ds_read_b64 v[10:11], v0 offset:872
	s_waitcnt lgkmcnt(0)
	v_add_co_u32 v10, vcc_lo, v10, 1
	v_add_co_ci_u32_e64 v11, null, 0, v11, vcc_lo
	ds_write_b64 v0, v[10:11] offset:872
.LBB4_5716:                             ;   in Loop: Header=BB4_5693 Depth=2
	s_or_b32 exec_lo, exec_lo, s16
	v_mov_b32_e32 v65, v9
	v_mov_b32_e32 v64, v8
.LBB4_5717:                             ;   in Loop: Header=BB4_5693 Depth=2
	s_or_b32 exec_lo, exec_lo, s17
	s_and_saveexec_b32 s16, s6
	s_cbranch_execz .LBB4_5736
; %bb.5718:                             ;   in Loop: Header=BB4_5693 Depth=2
	s_and_saveexec_b32 s17, s29
	s_xor_b32 s17, exec_lo, s17
	s_cbranch_execz .LBB4_5733
; %bb.5719:                             ;   in Loop: Header=BB4_5693 Depth=2
	s_and_saveexec_b32 s23, s11
	s_cbranch_execz .LBB4_5732
; %bb.5720:                             ;   in Loop: Header=BB4_5693 Depth=2
	s_mov_b32 s62, exec_lo
	s_mov_b32 s61, exec_lo
	v_mbcnt_lo_u32_b32 v8, s62, 0
	s_waitcnt vmcnt(0) lgkmcnt(0)
	s_waitcnt_vscnt null, 0x0
	buffer_gl1_inv
	buffer_gl0_inv
	v_cmpx_eq_u32_e32 0, v8
	s_cbranch_execz .LBB4_5722
; %bb.5721:                             ;   in Loop: Header=BB4_5693 Depth=2
	s_bcnt1_i32_b32 s62, s62
	v_mov_b32_e32 v9, v2
	v_mov_b32_e32 v8, s62
	ds_add_u64 v0, v[8:9]
	s_trap 2
.LBB4_5722:                             ;   in Loop: Header=BB4_5693 Depth=2
	s_or_b32 exec_lo, exec_lo, s61
	s_trap 2
	ds_read_b64 v[8:9], v0
	s_waitcnt lgkmcnt(0)
	buffer_gl0_inv
	v_add_co_u32 v38, vcc_lo, v38, v103
	v_add_co_ci_u32_e64 v39, null, 0, v39, vcc_lo
	s_mov_b32 s61, exec_lo
	v_cmpx_lt_u64_e64 v[8:9], v[38:39]
	s_cbranch_execz .LBB4_5731
; %bb.5723:                             ;   in Loop: Header=BB4_5693 Depth=2
	s_mov_b32 s62, 0
	s_mov_b32 s73, 0
                                        ; implicit-def: $sgpr63
                                        ; implicit-def: $sgpr72
	s_inst_prefetch 0x1
	s_branch .LBB4_5725
	.p2align	6
.LBB4_5724:                             ;   in Loop: Header=BB4_5725 Depth=3
	s_or_b32 exec_lo, exec_lo, s75
	s_and_b32 s74, exec_lo, s76
	s_or_b32 s62, s74, s62
	s_andn2_b32 s63, s63, exec_lo
	s_and_b32 s74, s72, exec_lo
	s_or_b32 s63, s63, s74
	s_andn2_b32 exec_lo, exec_lo, s62
	s_cbranch_execz .LBB4_5729
.LBB4_5725:                             ;   Parent Loop BB4_47 Depth=1
                                        ;     Parent Loop BB4_5693 Depth=2
                                        ; =>    This Inner Loop Header: Depth=3
	s_add_i32 s73, s73, 1
	s_cmpk_lg_i32 s73, 0x2710
	s_cselect_b32 s74, -1, 0
	s_and_b32 vcc_lo, exec_lo, s74
	s_cbranch_vccz .LBB4_5727
; %bb.5726:                             ;   in Loop: Header=BB4_5725 Depth=3
	s_mov_b32 s76, -1
	s_or_b32 s72, s72, exec_lo
	s_and_saveexec_b32 s75, s74
	s_cbranch_execz .LBB4_5724
	s_branch .LBB4_5728
	.p2align	6
.LBB4_5727:                             ;   in Loop: Header=BB4_5725 Depth=3
	s_trap 2
	ds_read_b64 v[8:9], v0
	s_andn2_b32 s74, s74, exec_lo
	s_mov_b32 s73, 0
	s_waitcnt lgkmcnt(0)
	flat_load_dword v8, v[8:9] glc dlc
	s_waitcnt vmcnt(0) lgkmcnt(0)
	buffer_gl1_inv
	buffer_gl0_inv
	v_cmp_eq_u32_e32 vcc_lo, 0, v8
	s_and_b32 s75, vcc_lo, exec_lo
	s_or_b32 s74, s74, s75
	s_mov_b32 s76, -1
	s_or_b32 s72, s72, exec_lo
	s_and_saveexec_b32 s75, s74
	s_cbranch_execz .LBB4_5724
.LBB4_5728:                             ;   in Loop: Header=BB4_5725 Depth=3
	s_sleep 1
	s_trap 2
	ds_read_b64 v[8:9], v0
	s_waitcnt lgkmcnt(0)
	buffer_gl0_inv
	s_andn2_b32 s72, s72, exec_lo
	v_cmp_ge_u64_e32 vcc_lo, v[8:9], v[38:39]
	s_orn2_b32 s76, vcc_lo, exec_lo
	s_branch .LBB4_5724
.LBB4_5729:                             ;   in Loop: Header=BB4_5693 Depth=2
	s_inst_prefetch 0x2
	s_or_b32 exec_lo, exec_lo, s62
	s_and_saveexec_b32 s62, s63
	s_xor_b32 s62, exec_lo, s62
	s_cbranch_execz .LBB4_5731
; %bb.5730:                             ;   in Loop: Header=BB4_5693 Depth=2
	ds_write_b32 v0, v113
	s_trap 2
.LBB4_5731:                             ;   in Loop: Header=BB4_5693 Depth=2
	s_or_b32 exec_lo, exec_lo, s61
	;;#ASMSTART
	s_wakeup
	;;#ASMEND
.LBB4_5732:                             ;   in Loop: Header=BB4_5693 Depth=2
	s_or_b32 exec_lo, exec_lo, s23
.LBB4_5733:                             ;   in Loop: Header=BB4_5693 Depth=2
	s_andn2_saveexec_b32 s17, s17
	s_cbranch_execz .LBB4_5735
; %bb.5734:                             ;   in Loop: Header=BB4_5693 Depth=2
	s_waitcnt vmcnt(0) lgkmcnt(0)
	s_waitcnt_vscnt null, 0x0
	buffer_gl1_inv
	buffer_gl0_inv
	s_barrier
.LBB4_5735:                             ;   in Loop: Header=BB4_5693 Depth=2
	s_or_b32 exec_lo, exec_lo, s17
.LBB4_5736:                             ;   in Loop: Header=BB4_5693 Depth=2
	s_or_b32 exec_lo, exec_lo, s16
	s_trap 2
	ds_read_b32 v12, v0
	v_and_b32_e32 v8, 0x4000, v100
	s_xor_b32 s16, s5, -1
	v_cmp_ne_u32_e32 vcc_lo, 0, v8
	s_and_b32 s17, s16, vcc_lo
	s_and_saveexec_b32 s16, s17
	s_cbranch_execz .LBB4_5755
; %bb.5737:                             ;   in Loop: Header=BB4_5693 Depth=2
	s_and_saveexec_b32 s17, s29
	s_xor_b32 s17, exec_lo, s17
	s_cbranch_execz .LBB4_5752
; %bb.5738:                             ;   in Loop: Header=BB4_5693 Depth=2
	s_and_saveexec_b32 s23, s11
	s_cbranch_execz .LBB4_5751
; %bb.5739:                             ;   in Loop: Header=BB4_5693 Depth=2
	s_mov_b32 s62, exec_lo
	s_mov_b32 s61, exec_lo
	v_mbcnt_lo_u32_b32 v8, s62, 0
	s_waitcnt vmcnt(0) lgkmcnt(0)
	s_waitcnt_vscnt null, 0x0
	buffer_gl1_inv
	buffer_gl0_inv
	v_cmpx_eq_u32_e32 0, v8
	s_cbranch_execz .LBB4_5741
; %bb.5740:                             ;   in Loop: Header=BB4_5693 Depth=2
	s_bcnt1_i32_b32 s62, s62
	v_mov_b32_e32 v9, v2
	v_mov_b32_e32 v8, s62
	ds_add_u64 v0, v[8:9]
	s_trap 2
.LBB4_5741:                             ;   in Loop: Header=BB4_5693 Depth=2
	s_or_b32 exec_lo, exec_lo, s61
	s_trap 2
	ds_read_b64 v[8:9], v0
	s_waitcnt lgkmcnt(0)
	buffer_gl0_inv
	v_add_co_u32 v38, vcc_lo, v38, v103
	v_add_co_ci_u32_e64 v39, null, 0, v39, vcc_lo
	s_mov_b32 s61, exec_lo
	v_cmpx_lt_u64_e64 v[8:9], v[38:39]
	s_cbranch_execz .LBB4_5750
; %bb.5742:                             ;   in Loop: Header=BB4_5693 Depth=2
	s_mov_b32 s62, 0
	s_mov_b32 s73, 0
                                        ; implicit-def: $sgpr63
                                        ; implicit-def: $sgpr72
	s_inst_prefetch 0x1
	s_branch .LBB4_5744
	.p2align	6
.LBB4_5743:                             ;   in Loop: Header=BB4_5744 Depth=3
	s_or_b32 exec_lo, exec_lo, s75
	s_and_b32 s74, exec_lo, s76
	s_or_b32 s62, s74, s62
	s_andn2_b32 s63, s63, exec_lo
	s_and_b32 s74, s72, exec_lo
	s_or_b32 s63, s63, s74
	s_andn2_b32 exec_lo, exec_lo, s62
	s_cbranch_execz .LBB4_5748
.LBB4_5744:                             ;   Parent Loop BB4_47 Depth=1
                                        ;     Parent Loop BB4_5693 Depth=2
                                        ; =>    This Inner Loop Header: Depth=3
	s_add_i32 s73, s73, 1
	s_cmpk_lg_i32 s73, 0x2710
	s_cselect_b32 s74, -1, 0
	s_and_b32 vcc_lo, exec_lo, s74
	s_cbranch_vccz .LBB4_5746
; %bb.5745:                             ;   in Loop: Header=BB4_5744 Depth=3
	s_mov_b32 s76, -1
	s_or_b32 s72, s72, exec_lo
	s_and_saveexec_b32 s75, s74
	s_cbranch_execz .LBB4_5743
	s_branch .LBB4_5747
	.p2align	6
.LBB4_5746:                             ;   in Loop: Header=BB4_5744 Depth=3
	s_trap 2
	ds_read_b64 v[8:9], v0
	s_andn2_b32 s74, s74, exec_lo
	s_mov_b32 s73, 0
	s_waitcnt lgkmcnt(0)
	flat_load_dword v8, v[8:9] glc dlc
	s_waitcnt vmcnt(0) lgkmcnt(0)
	buffer_gl1_inv
	buffer_gl0_inv
	v_cmp_eq_u32_e32 vcc_lo, 0, v8
	s_and_b32 s75, vcc_lo, exec_lo
	s_or_b32 s74, s74, s75
	s_mov_b32 s76, -1
	s_or_b32 s72, s72, exec_lo
	s_and_saveexec_b32 s75, s74
	s_cbranch_execz .LBB4_5743
.LBB4_5747:                             ;   in Loop: Header=BB4_5744 Depth=3
	s_sleep 1
	s_trap 2
	ds_read_b64 v[8:9], v0
	s_waitcnt lgkmcnt(0)
	buffer_gl0_inv
	s_andn2_b32 s72, s72, exec_lo
	v_cmp_ge_u64_e32 vcc_lo, v[8:9], v[38:39]
	s_orn2_b32 s76, vcc_lo, exec_lo
	s_branch .LBB4_5743
.LBB4_5748:                             ;   in Loop: Header=BB4_5693 Depth=2
	s_inst_prefetch 0x2
	s_or_b32 exec_lo, exec_lo, s62
	s_and_saveexec_b32 s62, s63
	s_xor_b32 s62, exec_lo, s62
	s_cbranch_execz .LBB4_5750
; %bb.5749:                             ;   in Loop: Header=BB4_5693 Depth=2
	ds_write_b32 v0, v113
	s_trap 2
.LBB4_5750:                             ;   in Loop: Header=BB4_5693 Depth=2
	s_or_b32 exec_lo, exec_lo, s61
	;;#ASMSTART
	s_wakeup
	;;#ASMEND
.LBB4_5751:                             ;   in Loop: Header=BB4_5693 Depth=2
	s_or_b32 exec_lo, exec_lo, s23
.LBB4_5752:                             ;   in Loop: Header=BB4_5693 Depth=2
	s_andn2_saveexec_b32 s17, s17
	s_cbranch_execz .LBB4_5754
; %bb.5753:                             ;   in Loop: Header=BB4_5693 Depth=2
	s_waitcnt vmcnt(0) lgkmcnt(0)
	s_waitcnt_vscnt null, 0x0
	buffer_gl1_inv
	buffer_gl0_inv
	s_barrier
.LBB4_5754:                             ;   in Loop: Header=BB4_5693 Depth=2
	s_or_b32 exec_lo, exec_lo, s17
.LBB4_5755:                             ;   in Loop: Header=BB4_5693 Depth=2
	s_or_b32 exec_lo, exec_lo, s16
	s_trap 2
	ds_read_b64 v[8:9], v0
	v_sub_nc_u32_e32 v10, v3, v17
	v_min_i32_e32 v16, v16, v10
	s_waitcnt lgkmcnt(0)
	v_cmp_eq_u64_e32 vcc_lo, 0, v[8:9]
	s_cbranch_vccnz .LBB4_5763
; %bb.5756:                             ;   in Loop: Header=BB4_5693 Depth=2
	s_trap 2
	ds_read_b64 v[10:11], v0
	s_waitcnt lgkmcnt(0)
	v_cmp_eq_u64_e32 vcc_lo, 0, v[10:11]
	s_cbranch_vccnz .LBB4_5763
; %bb.5757:                             ;   in Loop: Header=BB4_5693 Depth=2
	s_mov_b32 s16, -1
	s_and_saveexec_b32 s17, s14
	s_cbranch_execz .LBB4_5759
; %bb.5758:                             ;   in Loop: Header=BB4_5693 Depth=2
	ds_read_b32 v13, v0 offset:720
	s_waitcnt lgkmcnt(0)
	v_and_b32_e32 v13, 15, v13
	v_cmp_eq_u32_e32 vcc_lo, 0, v13
	s_orn2_b32 s16, vcc_lo, exec_lo
.LBB4_5759:                             ;   in Loop: Header=BB4_5693 Depth=2
	s_or_b32 exec_lo, exec_lo, s17
	s_and_saveexec_b32 s17, s12
	s_cbranch_execz .LBB4_5761
; %bb.5760:                             ;   in Loop: Header=BB4_5693 Depth=2
	ds_read_b32 v13, v0 offset:784
	s_waitcnt lgkmcnt(0)
	v_and_b32_e32 v13, 15, v13
	v_cmp_eq_u32_e32 vcc_lo, 0, v13
	s_and_b32 s23, s16, vcc_lo
	s_andn2_b32 s16, s16, exec_lo
	s_and_b32 s23, s23, exec_lo
	s_or_b32 s16, s16, s23
.LBB4_5761:                             ;   in Loop: Header=BB4_5693 Depth=2
	s_or_b32 exec_lo, exec_lo, s17
	v_cmp_eq_u32_e32 vcc_lo, 0, v12
	s_xor_b32 s16, s16, -1
	v_mov_b32_e32 v12, 0
	v_cndmask_b32_e64 v13, 0, 1, s16
	v_mov_b32_e32 v14, v0
	v_cndmask_b32_e32 v20, 0, v16, vcc_lo
	v_mov_b32_e32 v67, v56
	s_mov_b32 s16, -1
	v_cmp_ne_u32_e32 vcc_lo, 0, v13
	v_mov_b32_e32 v13, v20
	s_cbranch_vccz .LBB4_5768
; %bb.5762:                             ;   in Loop: Header=BB4_5693 Depth=2
	s_and_saveexec_b32 s17, s16
	s_cbranch_execnz .LBB4_5781
	s_branch .LBB4_5789
.LBB4_5763:                             ;   in Loop: Header=BB4_5693 Depth=2
	s_mov_b32 s16, 0
	s_and_saveexec_b32 s17, s6
	s_cbranch_execnz .LBB4_5790
.LBB4_5764:                             ;   in Loop: Header=BB4_5693 Depth=2
	s_or_b32 exec_lo, exec_lo, s17
	s_and_saveexec_b32 s17, s13
	s_xor_b32 s17, exec_lo, s17
	s_cbranch_execz .LBB4_5808
.LBB4_5765:                             ;   in Loop: Header=BB4_5693 Depth=2
	v_and_b32_e32 v8, 16, v100
	v_cmp_ne_u32_e32 vcc_lo, 0, v8
	s_and_b32 s23, vcc_lo, s16
	s_and_saveexec_b32 s16, s23
	s_cbranch_execz .LBB4_5767
; %bb.5766:                             ;   in Loop: Header=BB4_5693 Depth=2
	s_waitcnt vmcnt(0) lgkmcnt(0)
	s_waitcnt_vscnt null, 0x0
	buffer_gl1_inv
	buffer_gl0_inv
.LBB4_5767:                             ;   in Loop: Header=BB4_5693 Depth=2
	s_or_b32 exec_lo, exec_lo, s16
	s_andn2_saveexec_b32 s16, s17
	s_cbranch_execz .LBB4_5827
	s_branch .LBB4_5809
.LBB4_5768:                             ;   in Loop: Header=BB4_5693 Depth=2
	v_ashrrev_i32_e32 v12, 31, v20
	s_mov_b32 s17, exec_lo
	v_lshrrev_b32_e32 v12, 21, v12
	v_add_nc_u32_e32 v12, v20, v12
	v_ashrrev_i32_e32 v22, 11, v12
	v_sub_nc_u32_e32 v21, v22, v56
	v_cmpx_lt_i32_e32 0, v21
	s_cbranch_execz .LBB4_5772
; %bb.5769:                             ;   in Loop: Header=BB4_5693 Depth=2
	v_mov_b32_e32 v13, v11
	v_mov_b32_e32 v15, v9
	v_mov_b32_e32 v12, v10
	v_mov_b32_e32 v14, v8
	s_mov_b32 s23, 0
	s_inst_prefetch 0x1
	.p2align	6
.LBB4_5770:                             ;   Parent Loop BB4_47 Depth=1
                                        ;     Parent Loop BB4_5693 Depth=2
                                        ; =>    This Inner Loop Header: Depth=3
	v_add_co_u32 v70, vcc_lo, v61, v14
	v_add_co_ci_u32_e64 v71, null, v73, v15, vcc_lo
	v_sub_nc_u32_e32 v21, v21, v103
	s_clause 0x3
	global_load_dwordx4 v[66:69], v[70:71], off slc
	global_load_dwordx4 v[80:83], v[70:71], off offset:512 slc
	global_load_dwordx4 v[84:87], v[70:71], off offset:1024 slc
	;; [unrolled: 1-line block ×3, first 2 shown]
	v_add_co_u32 v70, vcc_lo, v61, v12
	v_add_co_ci_u32_e64 v71, null, v73, v13, vcc_lo
	v_add_co_u32 v14, vcc_lo, v14, v42
	v_add_co_ci_u32_e64 v15, null, 0, v15, vcc_lo
	v_add_co_u32 v12, vcc_lo, v12, v42
	v_cmp_gt_i32_e64 s16, 1, v21
	v_add_co_ci_u32_e64 v13, null, 0, v13, vcc_lo
	s_waitcnt vmcnt(3)
	global_store_dwordx4 v[70:71], v[66:69], off glc slc
	s_waitcnt vmcnt(2)
	global_store_dwordx4 v[70:71], v[80:83], off offset:512 glc slc
	s_waitcnt vmcnt(1)
	global_store_dwordx4 v[70:71], v[84:87], off offset:1024 glc slc
	;; [unrolled: 2-line block ×3, first 2 shown]
	s_or_b32 s23, s16, s23
	s_andn2_b32 exec_lo, exec_lo, s23
	s_cbranch_execnz .LBB4_5770
; %bb.5771:                             ;   in Loop: Header=BB4_5693 Depth=2
	s_inst_prefetch 0x2
	s_or_b32 exec_lo, exec_lo, s23
.LBB4_5772:                             ;   in Loop: Header=BB4_5693 Depth=2
	s_or_b32 exec_lo, exec_lo, s17
	v_lshlrev_b32_e32 v15, 11, v22
	v_mov_b32_e32 v12, 0
	s_mov_b32 s16, 0
	s_mov_b32 s23, exec_lo
                                        ; implicit-def: $vgpr13
                                        ; implicit-def: $vgpr14
                                        ; implicit-def: $vgpr67
	v_cmpx_ne_u32_e64 v20, v15
	s_cbranch_execz .LBB4_5780
; %bb.5773:                             ;   in Loop: Header=BB4_5693 Depth=2
	v_lshlrev_b32_e32 v12, 5, v21
	v_sub_nc_u32_e32 v14, v20, v15
	s_mov_b32 s61, exec_lo
	v_sub_nc_u32_e32 v12, v58, v12
	v_ashrrev_i32_e32 v21, 31, v14
	v_ashrrev_i32_e32 v13, 31, v12
	v_lshrrev_b32_e32 v21, 23, v21
	v_lshrrev_b32_e32 v13, 27, v13
	v_add_nc_u32_e32 v26, v14, v21
	v_add_nc_u32_e32 v13, v12, v13
	v_and_b32_e32 v21, 0xfffffe00, v26
	v_ashrrev_i32_e32 v26, 9, v26
	v_and_b32_e32 v22, 0xffffffe0, v13
	v_sub_nc_u32_e32 v23, v14, v21
	v_ashrrev_i32_e32 v27, 5, v13
	v_sub_nc_u32_e32 v22, v12, v22
	v_cmp_lt_i32_e32 vcc_lo, 15, v23
	v_lshlrev_b32_e32 v12, 4, v22
	v_add_co_ci_u32_e64 v26, null, 0, v26, vcc_lo
	v_lshl_add_u32 v13, v27, 9, v12
	v_sub_nc_u32_e32 v66, v26, v27
	v_sub_nc_u32_e32 v12, v14, v13
	v_cmpx_lt_i32_e32 15, v12
	s_cbranch_execz .LBB4_5777
; %bb.5774:                             ;   in Loop: Header=BB4_5693 Depth=2
	v_add_nc_u32_e32 v13, v13, v15
	s_mov_b32 s62, 0
	v_ashrrev_i32_e32 v14, 31, v13
	.p2align	6
.LBB4_5775:                             ;   Parent Loop BB4_47 Depth=1
                                        ;     Parent Loop BB4_5693 Depth=2
                                        ; =>    This Inner Loop Header: Depth=3
	v_add_co_u32 v67, s16, v8, v13
	v_add_co_ci_u32_e64 v68, null, v9, v14, s16
	v_sub_nc_u32_e32 v12, v12, v43
	v_add_co_u32 v80, s16, v10, v13
	global_load_dwordx4 v[67:70], v[67:68], off slc
	v_add_co_ci_u32_e64 v81, null, v11, v14, s16
	v_cmp_gt_i32_e64 s16, 16, v12
	v_add_co_u32 v13, s17, v13, v43
	v_sub_nc_u32_e32 v66, v66, v103
	v_add_co_ci_u32_e64 v14, null, 0, v14, s17
	s_or_b32 s62, s16, s62
	s_waitcnt vmcnt(0)
	global_store_dwordx4 v[80:81], v[67:70], off glc slc
	s_andn2_b32 exec_lo, exec_lo, s62
	s_cbranch_execnz .LBB4_5775
; %bb.5776:                             ;   in Loop: Header=BB4_5693 Depth=2
	s_or_b32 exec_lo, exec_lo, s62
.LBB4_5777:                             ;   in Loop: Header=BB4_5693 Depth=2
	s_or_b32 exec_lo, exec_lo, s61
	v_and_b32_e32 v68, 15, v20
	v_mov_b32_e32 v12, 0
	s_mov_b32 s17, 0
	s_mov_b32 s61, exec_lo
                                        ; implicit-def: $vgpr14
                                        ; implicit-def: $vgpr67
	v_cndmask_b32_e32 v13, v23, v68, vcc_lo
	v_cmpx_ne_u32_e32 0, v13
	s_cbranch_execz .LBB4_5779
; %bb.5778:                             ;   in Loop: Header=BB4_5693 Depth=2
	v_cmp_lt_i32_e64 s16, 0, v66
	s_mov_b32 s17, exec_lo
	v_cndmask_b32_e64 v12, 0, v103, s16
	v_sub_nc_u32_e32 v12, v12, v66
	v_lshl_add_u32 v14, v12, 5, v22
	v_sub_nc_u32_e32 v22, v23, v68
	v_ashrrev_i32_e32 v12, 31, v14
	v_cndmask_b32_e32 v22, 0, v22, vcc_lo
	v_lshrrev_b32_e32 v12, 27, v12
	v_add_nc_u32_e32 v23, v14, v12
	v_add3_u32 v12, v21, v15, v22
	v_ashrrev_i32_e32 v67, 5, v23
.LBB4_5779:                             ;   in Loop: Header=BB4_5693 Depth=2
	s_or_b32 exec_lo, exec_lo, s61
	s_and_b32 s16, s17, exec_lo
.LBB4_5780:                             ;   in Loop: Header=BB4_5693 Depth=2
	s_or_b32 exec_lo, exec_lo, s23
	s_and_saveexec_b32 s17, s16
	s_cbranch_execz .LBB4_5789
.LBB4_5781:                             ;   in Loop: Header=BB4_5693 Depth=2
	v_ashrrev_i32_e32 v15, 31, v13
	v_ashrrev_i32_e32 v21, 31, v14
	s_mov_b32 s16, exec_lo
	v_lshrrev_b32_e32 v15, 23, v15
	v_lshrrev_b32_e32 v21, 27, v21
	v_add_nc_u32_e32 v15, v13, v15
	v_ashrrev_i32_e32 v22, 9, v15
	v_sub_nc_u32_e32 v15, v22, v67
	v_cmpx_lt_i32_e32 0, v15
	s_cbranch_execz .LBB4_5785
; %bb.5782:                             ;   in Loop: Header=BB4_5693 Depth=2
	v_add_nc_u32_e32 v23, v14, v21
	v_lshlrev_b32_e32 v26, 9, v67
	s_mov_b32 s23, 0
	v_and_b32_e32 v23, 0xffffffe0, v23
	v_sub_nc_u32_e32 v23, v14, v23
	v_add3_u32 v23, v12, v23, v26
	v_ashrrev_i32_e32 v66, 31, v23
.LBB4_5783:                             ;   Parent Loop BB4_47 Depth=1
                                        ;     Parent Loop BB4_5693 Depth=2
                                        ; =>    This Inner Loop Header: Depth=3
	v_add_co_u32 v67, vcc_lo, v23, v8
	v_add_co_ci_u32_e64 v68, null, v66, v9, vcc_lo
	v_sub_nc_u32_e32 v15, v15, v103
	s_clause 0xf
	flat_load_ubyte v26, v[67:68] slc
	flat_load_ubyte v27, v[67:68] offset:32 slc
	flat_load_ubyte v69, v[67:68] offset:64 slc
	;; [unrolled: 1-line block ×15, first 2 shown]
	v_add_co_u32 v67, vcc_lo, v23, v10
	v_add_co_ci_u32_e64 v68, null, v66, v11, vcc_lo
	v_add_co_u32 v8, vcc_lo, v8, v43
	v_add_co_ci_u32_e64 v9, null, 0, v9, vcc_lo
	;; [unrolled: 2-line block ×3, first 2 shown]
	v_cmp_gt_i32_e32 vcc_lo, 1, v15
	s_waitcnt vmcnt(15) lgkmcnt(15)
	flat_store_byte v[67:68], v26 glc slc
	s_waitcnt vmcnt(14) lgkmcnt(15)
	flat_store_byte v[67:68], v27 offset:32 glc slc
	s_waitcnt vmcnt(13) lgkmcnt(15)
	flat_store_byte v[67:68], v69 offset:64 glc slc
	;; [unrolled: 2-line block ×15, first 2 shown]
	s_or_b32 s23, vcc_lo, s23
	s_andn2_b32 exec_lo, exec_lo, s23
	s_cbranch_execnz .LBB4_5783
; %bb.5784:                             ;   in Loop: Header=BB4_5693 Depth=2
	s_or_b32 exec_lo, exec_lo, s23
.LBB4_5785:                             ;   in Loop: Header=BB4_5693 Depth=2
	s_or_b32 exec_lo, exec_lo, s16
	v_lshlrev_b32_e32 v8, 9, v22
	v_cmp_ne_u32_e32 vcc_lo, v13, v8
	s_and_b32 exec_lo, exec_lo, vcc_lo
	s_cbranch_execz .LBB4_5789
; %bb.5786:                             ;   in Loop: Header=BB4_5693 Depth=2
	v_add_nc_u32_e32 v9, v14, v21
	v_lshlrev_b32_e32 v10, 5, v15
	v_and_b32_e32 v9, 0xffffffe0, v9
	v_sub_nc_u32_e32 v9, v14, v9
	v_sub_nc_u32_e32 v9, v9, v10
	v_add_nc_u32_e32 v11, v8, v9
	v_sub_nc_u32_e32 v10, v13, v11
	v_cmp_lt_i32_e32 vcc_lo, 0, v10
	s_and_b32 exec_lo, exec_lo, vcc_lo
	s_cbranch_execz .LBB4_5789
; %bb.5787:                             ;   in Loop: Header=BB4_5693 Depth=2
	s_trap 2
	ds_read_b64 v[8:9], v0
	v_add_nc_u32_e32 v11, v11, v12
	s_mov_b32 s23, 0
	v_ashrrev_i32_e32 v12, 31, v11
	.p2align	6
.LBB4_5788:                             ;   Parent Loop BB4_47 Depth=1
                                        ;     Parent Loop BB4_5693 Depth=2
                                        ; =>    This Inner Loop Header: Depth=3
	s_waitcnt lgkmcnt(0)
	v_add_co_u32 v13, vcc_lo, v8, v11
	v_add_co_ci_u32_e64 v14, null, v9, v12, vcc_lo
	v_sub_nc_u32_e32 v10, v10, v112
	v_add_co_u32 v11, s16, v11, v112
	flat_load_ubyte v15, v[13:14] slc
	v_add_co_ci_u32_e64 v12, null, 0, v12, s16
	v_cmp_gt_i32_e32 vcc_lo, 1, v10
	s_or_b32 s23, vcc_lo, s23
	s_waitcnt vmcnt(0) lgkmcnt(0)
	flat_store_byte v[13:14], v15 glc slc
	s_andn2_b32 exec_lo, exec_lo, s23
	s_cbranch_execnz .LBB4_5788
.LBB4_5789:                             ;   in Loop: Header=BB4_5693 Depth=2
	s_or_b32 exec_lo, exec_lo, s17
	v_cmp_lt_i32_e64 s16, 0, v20
	s_and_saveexec_b32 s17, s6
	s_cbranch_execz .LBB4_5764
.LBB4_5790:                             ;   in Loop: Header=BB4_5693 Depth=2
	s_and_saveexec_b32 s23, s29
	s_xor_b32 s23, exec_lo, s23
	s_cbranch_execz .LBB4_5805
; %bb.5791:                             ;   in Loop: Header=BB4_5693 Depth=2
	s_and_saveexec_b32 s61, s11
	s_cbranch_execz .LBB4_5804
; %bb.5792:                             ;   in Loop: Header=BB4_5693 Depth=2
	s_mov_b32 s63, exec_lo
	s_mov_b32 s62, exec_lo
	v_mbcnt_lo_u32_b32 v8, s63, 0
	s_waitcnt vmcnt(0) lgkmcnt(0)
	s_waitcnt_vscnt null, 0x0
	buffer_gl1_inv
	buffer_gl0_inv
	v_cmpx_eq_u32_e32 0, v8
	s_cbranch_execz .LBB4_5794
; %bb.5793:                             ;   in Loop: Header=BB4_5693 Depth=2
	s_bcnt1_i32_b32 s63, s63
	v_mov_b32_e32 v9, v2
	v_mov_b32_e32 v8, s63
	ds_add_u64 v0, v[8:9]
	s_trap 2
.LBB4_5794:                             ;   in Loop: Header=BB4_5693 Depth=2
	s_or_b32 exec_lo, exec_lo, s62
	s_trap 2
	ds_read_b64 v[8:9], v0
	s_waitcnt lgkmcnt(0)
	buffer_gl0_inv
	v_add_co_u32 v38, vcc_lo, v38, v103
	v_add_co_ci_u32_e64 v39, null, 0, v39, vcc_lo
	s_mov_b32 s62, exec_lo
	v_cmpx_lt_u64_e64 v[8:9], v[38:39]
	s_cbranch_execz .LBB4_5803
; %bb.5795:                             ;   in Loop: Header=BB4_5693 Depth=2
	s_mov_b32 s63, 0
	s_mov_b32 s74, 0
                                        ; implicit-def: $sgpr72
                                        ; implicit-def: $sgpr73
	s_inst_prefetch 0x1
	s_branch .LBB4_5797
	.p2align	6
.LBB4_5796:                             ;   in Loop: Header=BB4_5797 Depth=3
	s_or_b32 exec_lo, exec_lo, s76
	s_and_b32 s75, exec_lo, s77
	s_or_b32 s63, s75, s63
	s_andn2_b32 s72, s72, exec_lo
	s_and_b32 s75, s73, exec_lo
	s_or_b32 s72, s72, s75
	s_andn2_b32 exec_lo, exec_lo, s63
	s_cbranch_execz .LBB4_5801
.LBB4_5797:                             ;   Parent Loop BB4_47 Depth=1
                                        ;     Parent Loop BB4_5693 Depth=2
                                        ; =>    This Inner Loop Header: Depth=3
	s_add_i32 s74, s74, 1
	s_cmpk_lg_i32 s74, 0x2710
	s_cselect_b32 s75, -1, 0
	s_and_b32 vcc_lo, exec_lo, s75
	s_cbranch_vccz .LBB4_5799
; %bb.5798:                             ;   in Loop: Header=BB4_5797 Depth=3
	s_mov_b32 s77, -1
	s_or_b32 s73, s73, exec_lo
	s_and_saveexec_b32 s76, s75
	s_cbranch_execz .LBB4_5796
	s_branch .LBB4_5800
	.p2align	6
.LBB4_5799:                             ;   in Loop: Header=BB4_5797 Depth=3
	s_trap 2
	ds_read_b64 v[8:9], v0
	s_andn2_b32 s75, s75, exec_lo
	s_mov_b32 s74, 0
	s_waitcnt lgkmcnt(0)
	flat_load_dword v8, v[8:9] glc dlc
	s_waitcnt vmcnt(0) lgkmcnt(0)
	buffer_gl1_inv
	buffer_gl0_inv
	v_cmp_eq_u32_e32 vcc_lo, 0, v8
	s_and_b32 s76, vcc_lo, exec_lo
	s_or_b32 s75, s75, s76
	s_mov_b32 s77, -1
	s_or_b32 s73, s73, exec_lo
	s_and_saveexec_b32 s76, s75
	s_cbranch_execz .LBB4_5796
.LBB4_5800:                             ;   in Loop: Header=BB4_5797 Depth=3
	s_sleep 1
	s_trap 2
	ds_read_b64 v[8:9], v0
	s_waitcnt lgkmcnt(0)
	buffer_gl0_inv
	s_andn2_b32 s73, s73, exec_lo
	v_cmp_ge_u64_e32 vcc_lo, v[8:9], v[38:39]
	s_orn2_b32 s77, vcc_lo, exec_lo
	s_branch .LBB4_5796
.LBB4_5801:                             ;   in Loop: Header=BB4_5693 Depth=2
	s_inst_prefetch 0x2
	s_or_b32 exec_lo, exec_lo, s63
	s_and_saveexec_b32 s63, s72
	s_xor_b32 s63, exec_lo, s63
	s_cbranch_execz .LBB4_5803
; %bb.5802:                             ;   in Loop: Header=BB4_5693 Depth=2
	ds_write_b32 v0, v113
	s_trap 2
.LBB4_5803:                             ;   in Loop: Header=BB4_5693 Depth=2
	s_or_b32 exec_lo, exec_lo, s62
	;;#ASMSTART
	s_wakeup
	;;#ASMEND
.LBB4_5804:                             ;   in Loop: Header=BB4_5693 Depth=2
	s_or_b32 exec_lo, exec_lo, s61
.LBB4_5805:                             ;   in Loop: Header=BB4_5693 Depth=2
	s_andn2_saveexec_b32 s23, s23
	s_cbranch_execz .LBB4_5807
; %bb.5806:                             ;   in Loop: Header=BB4_5693 Depth=2
	s_waitcnt vmcnt(0) lgkmcnt(0)
	s_waitcnt_vscnt null, 0x0
	buffer_gl1_inv
	buffer_gl0_inv
	s_barrier
.LBB4_5807:                             ;   in Loop: Header=BB4_5693 Depth=2
	s_or_b32 exec_lo, exec_lo, s23
	s_or_b32 exec_lo, exec_lo, s17
	s_and_saveexec_b32 s17, s13
	s_xor_b32 s17, exec_lo, s17
	s_cbranch_execnz .LBB4_5765
.LBB4_5808:                             ;   in Loop: Header=BB4_5693 Depth=2
	s_andn2_saveexec_b32 s16, s17
	s_cbranch_execz .LBB4_5827
.LBB4_5809:                             ;   in Loop: Header=BB4_5693 Depth=2
	s_and_saveexec_b32 s17, s29
	s_xor_b32 s17, exec_lo, s17
	s_cbranch_execz .LBB4_5824
; %bb.5810:                             ;   in Loop: Header=BB4_5693 Depth=2
	s_and_saveexec_b32 s23, s11
	s_cbranch_execz .LBB4_5823
; %bb.5811:                             ;   in Loop: Header=BB4_5693 Depth=2
	s_mov_b32 s62, exec_lo
	s_mov_b32 s61, exec_lo
	v_mbcnt_lo_u32_b32 v8, s62, 0
	;;#ASMSTART
	s_waitcnt lgkmcnt(0) vmcnt(0)
	;;#ASMEND
	v_cmpx_eq_u32_e32 0, v8
	s_cbranch_execz .LBB4_5813
; %bb.5812:                             ;   in Loop: Header=BB4_5693 Depth=2
	s_bcnt1_i32_b32 s62, s62
	v_mov_b32_e32 v9, v2
	v_mov_b32_e32 v8, s62
	s_waitcnt vmcnt(0) lgkmcnt(0)
	s_waitcnt_vscnt null, 0x0
	ds_add_u64 v0, v[8:9]
	s_trap 2
.LBB4_5813:                             ;   in Loop: Header=BB4_5693 Depth=2
	s_or_b32 exec_lo, exec_lo, s61
	s_trap 2
	ds_read_b64 v[8:9], v0
	s_waitcnt vmcnt(0) lgkmcnt(0)
	buffer_gl0_inv
	v_add_co_u32 v38, vcc_lo, v38, v103
	v_add_co_ci_u32_e64 v39, null, 0, v39, vcc_lo
	s_mov_b32 s61, exec_lo
	v_cmpx_lt_u64_e64 v[8:9], v[38:39]
	s_cbranch_execz .LBB4_5822
; %bb.5814:                             ;   in Loop: Header=BB4_5693 Depth=2
	s_mov_b32 s62, 0
	s_mov_b32 s73, 0
                                        ; implicit-def: $sgpr63
                                        ; implicit-def: $sgpr72
	s_inst_prefetch 0x1
	s_branch .LBB4_5816
	.p2align	6
.LBB4_5815:                             ;   in Loop: Header=BB4_5816 Depth=3
	s_or_b32 exec_lo, exec_lo, s75
	s_and_b32 s74, exec_lo, s76
	s_or_b32 s62, s74, s62
	s_andn2_b32 s63, s63, exec_lo
	s_and_b32 s74, s72, exec_lo
	s_or_b32 s63, s63, s74
	s_andn2_b32 exec_lo, exec_lo, s62
	s_cbranch_execz .LBB4_5820
.LBB4_5816:                             ;   Parent Loop BB4_47 Depth=1
                                        ;     Parent Loop BB4_5693 Depth=2
                                        ; =>    This Inner Loop Header: Depth=3
	s_add_i32 s73, s73, 1
	s_cmpk_lg_i32 s73, 0x2710
	s_cselect_b32 s74, -1, 0
	s_and_b32 vcc_lo, exec_lo, s74
	s_cbranch_vccz .LBB4_5818
; %bb.5817:                             ;   in Loop: Header=BB4_5816 Depth=3
	s_mov_b32 s76, -1
	s_or_b32 s72, s72, exec_lo
	s_and_saveexec_b32 s75, s74
	s_cbranch_execz .LBB4_5815
	s_branch .LBB4_5819
	.p2align	6
.LBB4_5818:                             ;   in Loop: Header=BB4_5816 Depth=3
	s_trap 2
	ds_read_b64 v[8:9], v0
	s_andn2_b32 s74, s74, exec_lo
	s_mov_b32 s73, 0
	s_waitcnt lgkmcnt(0)
	s_waitcnt_vscnt null, 0x0
	flat_load_dword v8, v[8:9] glc dlc
	s_waitcnt vmcnt(0) lgkmcnt(0)
	buffer_gl1_inv
	buffer_gl0_inv
	v_cmp_eq_u32_e32 vcc_lo, 0, v8
	s_and_b32 s75, vcc_lo, exec_lo
	s_or_b32 s74, s74, s75
	s_mov_b32 s76, -1
	s_or_b32 s72, s72, exec_lo
	s_and_saveexec_b32 s75, s74
	s_cbranch_execz .LBB4_5815
.LBB4_5819:                             ;   in Loop: Header=BB4_5816 Depth=3
	s_sleep 1
	s_trap 2
	ds_read_b64 v[8:9], v0
	s_waitcnt lgkmcnt(0)
	buffer_gl0_inv
	s_andn2_b32 s72, s72, exec_lo
	v_cmp_ge_u64_e32 vcc_lo, v[8:9], v[38:39]
	s_orn2_b32 s76, vcc_lo, exec_lo
	s_branch .LBB4_5815
.LBB4_5820:                             ;   in Loop: Header=BB4_5693 Depth=2
	s_inst_prefetch 0x2
	s_or_b32 exec_lo, exec_lo, s62
	s_and_saveexec_b32 s62, s63
	s_xor_b32 s62, exec_lo, s62
	s_cbranch_execz .LBB4_5822
; %bb.5821:                             ;   in Loop: Header=BB4_5693 Depth=2
	ds_write_b32 v0, v113
	s_trap 2
.LBB4_5822:                             ;   in Loop: Header=BB4_5693 Depth=2
	s_or_b32 exec_lo, exec_lo, s61
	;;#ASMSTART
	s_wakeup
	;;#ASMEND
.LBB4_5823:                             ;   in Loop: Header=BB4_5693 Depth=2
	s_or_b32 exec_lo, exec_lo, s23
.LBB4_5824:                             ;   in Loop: Header=BB4_5693 Depth=2
	s_andn2_saveexec_b32 s17, s17
	s_cbranch_execz .LBB4_5826
; %bb.5825:                             ;   in Loop: Header=BB4_5693 Depth=2
	;;#ASMSTART
	s_waitcnt lgkmcnt(0) vmcnt(0)
	;;#ASMEND
	s_barrier
.LBB4_5826:                             ;   in Loop: Header=BB4_5693 Depth=2
	s_or_b32 exec_lo, exec_lo, s17
.LBB4_5827:                             ;   in Loop: Header=BB4_5693 Depth=2
	s_or_b32 exec_lo, exec_lo, s16
	v_and_b32_e32 v8, 32, v100
	s_mov_b32 s16, exec_lo
	v_cmpx_ne_u32_e32 0, v8
	s_cbranch_execz .LBB4_5692
; %bb.5828:                             ;   in Loop: Header=BB4_5693 Depth=2
	v_add_co_u32 v64, vcc_lo, v64, 2
	v_add_co_ci_u32_e64 v65, null, 0, v65, vcc_lo
	s_waitcnt vmcnt(0) lgkmcnt(0)
	s_waitcnt_vscnt null, 0x0
	flat_store_dwordx2 v[32:33], v[64:65]
	s_branch .LBB4_5692
.LBB4_5829:                             ;   in Loop: Header=BB4_47 Depth=1
	s_or_b32 exec_lo, exec_lo, s19
.LBB4_5830:                             ;   in Loop: Header=BB4_47 Depth=1
	s_or_b32 exec_lo, exec_lo, s18
	s_mov_b32 s17, exec_lo
	v_cmpx_gt_i32_e32 2, v10
	s_cbranch_execnz .LBB4_5831
; %bb.5943:                             ;   in Loop: Header=BB4_47 Depth=1
	s_getpc_b64 s[34:35]
.Lpost_getpc8:
	s_add_u32 s34, s34, (.LBB4_46-.Lpost_getpc8)&4294967295
	s_addc_u32 s35, s35, (.LBB4_46-.Lpost_getpc8)>>32
	s_setpc_b64 s[34:35]
.LBB4_5831:                             ;   in Loop: Header=BB4_47 Depth=1
	v_cmp_eq_u32_e64 s19, 0, v10
	s_mov_b32 s18, 0
	s_branch .LBB4_5833
.LBB4_5832:                             ;   in Loop: Header=BB4_5833 Depth=2
	s_or_b32 exec_lo, exec_lo, s16
	v_add_nc_u32_e32 v17, v16, v17
	s_mov_b32 s19, 0
	s_andn2_b32 exec_lo, exec_lo, s18
	s_cbranch_execnz .LBB4_5833
; %bb.5945:                             ;   in Loop: Header=BB4_47 Depth=1
	s_getpc_b64 s[34:35]
.Lpost_getpc9:
	s_add_u32 s34, s34, (.LBB4_45-.Lpost_getpc9)&4294967295
	s_addc_u32 s35, s35, (.LBB4_45-.Lpost_getpc9)>>32
	s_setpc_b64 s[34:35]
.LBB4_5833:                             ;   Parent Loop BB4_47 Depth=1
                                        ; =>  This Loop Header: Depth=2
                                        ;       Child Loop BB4_5839 Depth 3
                                        ;       Child Loop BB4_5863 Depth 3
	;; [unrolled: 1-line block ×3, first 2 shown]
	v_and_b32_e32 v8, 4, v100
	s_mov_b32 s21, exec_lo
	v_cmpx_ne_u32_e32 0, v8
	s_cbranch_execz .LBB4_5855
; %bb.5834:                             ;   in Loop: Header=BB4_5833 Depth=2
	v_add_co_u32 v8, vcc_lo, v64, 2
	v_add_co_ci_u32_e64 v9, null, 0, v65, vcc_lo
	s_mov_b32 s22, exec_lo
	s_waitcnt vmcnt(0) lgkmcnt(1)
	v_cmpx_lt_u64_e64 v[48:49], v[8:9]
	s_cbranch_execz .LBB4_5846
; %bb.5835:                             ;   in Loop: Header=BB4_5833 Depth=2
	v_and_b32_e32 v10, 64, v100
	s_mov_b32 s23, 0
	s_mov_b32 s72, 0
                                        ; implicit-def: $sgpr61
                                        ; implicit-def: $sgpr62
                                        ; implicit-def: $sgpr63
	v_cmp_eq_u32_e32 vcc_lo, 0, v10
	s_branch .LBB4_5839
.LBB4_5836:                             ;   in Loop: Header=BB4_5839 Depth=3
	s_waitcnt vmcnt(0) lgkmcnt(0)
	v_cmp_ge_u64_e64 s16, v[48:49], v[8:9]
	s_or_b32 s75, s75, exec_lo
	s_orn2_b32 s74, s16, exec_lo
.LBB4_5837:                             ;   in Loop: Header=BB4_5839 Depth=3
	s_or_b32 exec_lo, exec_lo, s77
	s_andn2_b32 s16, s63, exec_lo
	s_and_b32 s63, s75, exec_lo
	s_andn2_b32 s62, s62, exec_lo
	s_and_b32 s74, s74, exec_lo
	s_or_b32 s63, s16, s63
	s_or_b32 s62, s62, s74
.LBB4_5838:                             ;   in Loop: Header=BB4_5839 Depth=3
	s_or_b32 exec_lo, exec_lo, s73
	s_and_b32 s16, exec_lo, s62
	s_or_b32 s23, s16, s23
	s_andn2_b32 s16, s61, exec_lo
	s_and_b32 s61, s63, exec_lo
	s_or_b32 s61, s16, s61
	s_andn2_b32 exec_lo, exec_lo, s23
	s_cbranch_execz .LBB4_5843
.LBB4_5839:                             ;   Parent Loop BB4_47 Depth=1
                                        ;     Parent Loop BB4_5833 Depth=2
                                        ; =>    This Inner Loop Header: Depth=3
	s_sleep 1
	s_waitcnt vmcnt(0) lgkmcnt(0)
	flat_load_dwordx2 v[48:49], v[32:33] glc dlc
	s_or_b32 s63, s63, exec_lo
	s_or_b32 s62, s62, exec_lo
                                        ; implicit-def: $vgpr10
	s_and_saveexec_b32 s73, vcc_lo
	s_cbranch_execz .LBB4_5838
; %bb.5840:                             ;   in Loop: Header=BB4_5839 Depth=3
	s_cmpk_lt_i32 s72, 0x270f
	s_mov_b32 s74, -1
	s_cselect_b32 s76, -1, 0
	s_cmpk_gt_i32 s72, 0x270e
	s_cbranch_scc0 .LBB4_5842
; %bb.5841:                             ;   in Loop: Header=BB4_5839 Depth=3
	s_trap 2
	ds_read_b64 v[10:11], v0
	s_andn2_b32 s72, s76, exec_lo
	s_mov_b32 s75, 0
	s_waitcnt vmcnt(0) lgkmcnt(0)
	s_waitcnt_vscnt null, 0x0
	flat_load_dword v10, v[10:11] glc dlc
	s_waitcnt vmcnt(0) lgkmcnt(0)
	buffer_gl1_inv
	buffer_gl0_inv
	v_cmp_eq_u32_e64 s16, 0, v10
	s_and_b32 s16, s16, exec_lo
	s_or_b32 s76, s72, s16
	s_mov_b32 s72, 0
	s_and_saveexec_b32 s77, s76
	s_cbranch_execz .LBB4_5837
	s_branch .LBB4_5836
.LBB4_5842:                             ;   in Loop: Header=BB4_5839 Depth=3
	s_add_i32 s72, s72, 1
	s_mov_b32 s75, -1
                                        ; implicit-def: $vgpr10
	s_and_saveexec_b32 s77, s76
	s_cbranch_execz .LBB4_5837
	s_branch .LBB4_5836
.LBB4_5843:                             ;   in Loop: Header=BB4_5833 Depth=2
	s_or_b32 exec_lo, exec_lo, s23
	s_xor_b32 s16, s61, -1
	s_and_saveexec_b32 s23, s16
	s_xor_b32 s16, exec_lo, s23
	s_cbranch_execz .LBB4_5845
; %bb.5844:                             ;   in Loop: Header=BB4_5833 Depth=2
	v_or_b32_e32 v100, 64, v100
	s_waitcnt vmcnt(0) lgkmcnt(0)
	s_waitcnt_vscnt null, 0x0
	ds_write_b32 v0, v10
	s_trap 2
.LBB4_5845:                             ;   in Loop: Header=BB4_5833 Depth=2
	s_or_b32 exec_lo, exec_lo, s16
.LBB4_5846:                             ;   in Loop: Header=BB4_5833 Depth=2
	s_or_b32 exec_lo, exec_lo, s22
	v_and_b32_e32 v10, 0x100, v100
	v_and_b32_e32 v14, 7, v64
	s_mov_b32 s16, -1
	;;#ASMSTART
	s_wakeup
	;;#ASMEND
	v_cmp_ne_u32_e32 vcc_lo, 0, v10
                                        ; implicit-def: $vgpr10_vgpr11
	s_and_saveexec_b32 s22, vcc_lo
	s_cbranch_execz .LBB4_5850
; %bb.5847:                             ;   in Loop: Header=BB4_5833 Depth=2
	v_mad_u64_u32 v[12:13], null, v14, 24, v[6:7]
	flat_load_dword v10, v[12:13]
	s_waitcnt vmcnt(0) lgkmcnt(0)
	v_cmp_eq_u32_e64 s16, 1, v10
	v_cmp_ne_u32_e32 vcc_lo, 1, v10
                                        ; implicit-def: $vgpr10_vgpr11
	s_and_saveexec_b32 s23, s16
	s_cbranch_execz .LBB4_5849
; %bb.5848:                             ;   in Loop: Header=BB4_5833 Depth=2
	flat_load_dword v10, v[12:13] offset:4 glc dlc
	s_waitcnt vmcnt(0) lgkmcnt(0)
	v_ashrrev_i32_e32 v11, 31, v10
.LBB4_5849:                             ;   in Loop: Header=BB4_5833 Depth=2
	s_or_b32 exec_lo, exec_lo, s23
	s_orn2_b32 s16, vcc_lo, exec_lo
.LBB4_5850:                             ;   in Loop: Header=BB4_5833 Depth=2
	s_or_b32 exec_lo, exec_lo, s22
	s_and_saveexec_b32 s22, s16
; %bb.5851:                             ;   in Loop: Header=BB4_5833 Depth=2
	v_mad_i64_i32 v[10:11], null, v14, v101, 0
; %bb.5852:                             ;   in Loop: Header=BB4_5833 Depth=2
	s_or_b32 exec_lo, exec_lo, s22
	v_add_co_u32 v10, vcc_lo, v34, v10
	v_and_b32_e32 v12, 0x2000, v100
	v_add_co_ci_u32_e64 v11, null, v35, v11, vcc_lo
	s_mov_b32 s16, exec_lo
	ds_write_b64 v0, v[10:11] offset:720
	v_cmpx_ne_u32_e32 0, v12
	s_cbranch_execz .LBB4_5854
; %bb.5853:                             ;   in Loop: Header=BB4_5833 Depth=2
	ds_read_b64 v[10:11], v0 offset:872
	s_waitcnt lgkmcnt(0)
	v_add_co_u32 v10, vcc_lo, v10, 1
	v_add_co_ci_u32_e64 v11, null, 0, v11, vcc_lo
	ds_write_b64 v0, v[10:11] offset:872
.LBB4_5854:                             ;   in Loop: Header=BB4_5833 Depth=2
	s_or_b32 exec_lo, exec_lo, s16
	v_mov_b32_e32 v65, v9
	v_mov_b32_e32 v64, v8
.LBB4_5855:                             ;   in Loop: Header=BB4_5833 Depth=2
	s_or_b32 exec_lo, exec_lo, s21
	s_xor_b32 s16, s19, -1
	s_and_b32 s16, exec_lo, s16
	s_or_b32 s18, s16, s18
	s_and_saveexec_b32 s16, s6
	s_cbranch_execz .LBB4_5874
; %bb.5856:                             ;   in Loop: Header=BB4_5833 Depth=2
	s_and_saveexec_b32 s19, s29
	s_xor_b32 s19, exec_lo, s19
	s_cbranch_execz .LBB4_5871
; %bb.5857:                             ;   in Loop: Header=BB4_5833 Depth=2
	s_and_saveexec_b32 s21, s11
	s_cbranch_execz .LBB4_5870
; %bb.5858:                             ;   in Loop: Header=BB4_5833 Depth=2
	s_mov_b32 s23, exec_lo
	s_mov_b32 s22, exec_lo
	v_mbcnt_lo_u32_b32 v8, s23, 0
	s_waitcnt vmcnt(0) lgkmcnt(0)
	s_waitcnt_vscnt null, 0x0
	buffer_gl1_inv
	buffer_gl0_inv
	v_cmpx_eq_u32_e32 0, v8
	s_cbranch_execz .LBB4_5860
; %bb.5859:                             ;   in Loop: Header=BB4_5833 Depth=2
	s_bcnt1_i32_b32 s23, s23
	v_mov_b32_e32 v9, v2
	v_mov_b32_e32 v8, s23
	ds_add_u64 v0, v[8:9]
	s_trap 2
.LBB4_5860:                             ;   in Loop: Header=BB4_5833 Depth=2
	s_or_b32 exec_lo, exec_lo, s22
	s_trap 2
	ds_read_b64 v[8:9], v0
	s_waitcnt lgkmcnt(0)
	buffer_gl0_inv
	v_add_co_u32 v38, vcc_lo, v38, v103
	v_add_co_ci_u32_e64 v39, null, 0, v39, vcc_lo
	s_mov_b32 s22, exec_lo
	v_cmpx_lt_u64_e64 v[8:9], v[38:39]
	s_cbranch_execz .LBB4_5869
; %bb.5861:                             ;   in Loop: Header=BB4_5833 Depth=2
	s_mov_b32 s23, 0
	s_mov_b32 s63, 0
                                        ; implicit-def: $sgpr61
                                        ; implicit-def: $sgpr62
	s_inst_prefetch 0x1
	s_branch .LBB4_5863
	.p2align	6
.LBB4_5862:                             ;   in Loop: Header=BB4_5863 Depth=3
	s_or_b32 exec_lo, exec_lo, s73
	s_and_b32 s72, exec_lo, s74
	s_or_b32 s23, s72, s23
	s_andn2_b32 s61, s61, exec_lo
	s_and_b32 s72, s62, exec_lo
	s_or_b32 s61, s61, s72
	s_andn2_b32 exec_lo, exec_lo, s23
	s_cbranch_execz .LBB4_5867
.LBB4_5863:                             ;   Parent Loop BB4_47 Depth=1
                                        ;     Parent Loop BB4_5833 Depth=2
                                        ; =>    This Inner Loop Header: Depth=3
	s_add_i32 s63, s63, 1
	s_cmpk_lg_i32 s63, 0x2710
	s_cselect_b32 s72, -1, 0
	s_and_b32 vcc_lo, exec_lo, s72
	s_cbranch_vccz .LBB4_5865
; %bb.5864:                             ;   in Loop: Header=BB4_5863 Depth=3
	s_mov_b32 s74, -1
	s_or_b32 s62, s62, exec_lo
	s_and_saveexec_b32 s73, s72
	s_cbranch_execz .LBB4_5862
	s_branch .LBB4_5866
	.p2align	6
.LBB4_5865:                             ;   in Loop: Header=BB4_5863 Depth=3
	s_trap 2
	ds_read_b64 v[8:9], v0
	s_andn2_b32 s72, s72, exec_lo
	s_mov_b32 s63, 0
	s_waitcnt lgkmcnt(0)
	flat_load_dword v8, v[8:9] glc dlc
	s_waitcnt vmcnt(0) lgkmcnt(0)
	buffer_gl1_inv
	buffer_gl0_inv
	v_cmp_eq_u32_e32 vcc_lo, 0, v8
	s_and_b32 s73, vcc_lo, exec_lo
	s_or_b32 s72, s72, s73
	s_mov_b32 s74, -1
	s_or_b32 s62, s62, exec_lo
	s_and_saveexec_b32 s73, s72
	s_cbranch_execz .LBB4_5862
.LBB4_5866:                             ;   in Loop: Header=BB4_5863 Depth=3
	s_sleep 1
	s_trap 2
	ds_read_b64 v[8:9], v0
	s_waitcnt lgkmcnt(0)
	buffer_gl0_inv
	s_andn2_b32 s62, s62, exec_lo
	v_cmp_ge_u64_e32 vcc_lo, v[8:9], v[38:39]
	s_orn2_b32 s74, vcc_lo, exec_lo
	s_branch .LBB4_5862
.LBB4_5867:                             ;   in Loop: Header=BB4_5833 Depth=2
	s_inst_prefetch 0x2
	s_or_b32 exec_lo, exec_lo, s23
	s_and_saveexec_b32 s23, s61
	s_xor_b32 s23, exec_lo, s23
	s_cbranch_execz .LBB4_5869
; %bb.5868:                             ;   in Loop: Header=BB4_5833 Depth=2
	ds_write_b32 v0, v113
	s_trap 2
.LBB4_5869:                             ;   in Loop: Header=BB4_5833 Depth=2
	s_or_b32 exec_lo, exec_lo, s22
	;;#ASMSTART
	s_wakeup
	;;#ASMEND
.LBB4_5870:                             ;   in Loop: Header=BB4_5833 Depth=2
	s_or_b32 exec_lo, exec_lo, s21
.LBB4_5871:                             ;   in Loop: Header=BB4_5833 Depth=2
	s_andn2_saveexec_b32 s19, s19
	s_cbranch_execz .LBB4_5873
; %bb.5872:                             ;   in Loop: Header=BB4_5833 Depth=2
	s_waitcnt vmcnt(0) lgkmcnt(0)
	s_waitcnt_vscnt null, 0x0
	buffer_gl1_inv
	buffer_gl0_inv
	s_barrier
.LBB4_5873:                             ;   in Loop: Header=BB4_5833 Depth=2
	s_or_b32 exec_lo, exec_lo, s19
.LBB4_5874:                             ;   in Loop: Header=BB4_5833 Depth=2
	s_or_b32 exec_lo, exec_lo, s16
	v_sub_nc_u32_e32 v8, v3, v17
	v_min_i32_e32 v16, v16, v8
	s_and_saveexec_b32 s16, s13
	s_xor_b32 s19, exec_lo, s16
	s_cbranch_execz .LBB4_5878
; %bb.5875:                             ;   in Loop: Header=BB4_5833 Depth=2
	s_trap 2
	ds_read_b32 v8, v0
	v_cmp_lt_i32_e32 vcc_lo, 0, v16
	s_waitcnt lgkmcnt(0)
	v_readfirstlane_b32 s16, v8
	v_and_b32_e32 v8, 16, v100
	s_cmp_eq_u32 s16, 0
	v_cmp_ne_u32_e64 s16, 0, v8
	s_cselect_b32 s21, -1, 0
	s_and_b32 s21, vcc_lo, s21
	s_and_b32 s21, s16, s21
	s_and_saveexec_b32 s16, s21
	s_cbranch_execz .LBB4_5877
; %bb.5876:                             ;   in Loop: Header=BB4_5833 Depth=2
	s_waitcnt vmcnt(0)
	s_waitcnt_vscnt null, 0x0
	buffer_gl1_inv
	buffer_gl0_inv
.LBB4_5877:                             ;   in Loop: Header=BB4_5833 Depth=2
	s_or_b32 exec_lo, exec_lo, s16
.LBB4_5878:                             ;   in Loop: Header=BB4_5833 Depth=2
	s_andn2_saveexec_b32 s16, s19
	s_cbranch_execz .LBB4_5897
; %bb.5879:                             ;   in Loop: Header=BB4_5833 Depth=2
	s_and_saveexec_b32 s19, s29
	s_xor_b32 s19, exec_lo, s19
	s_cbranch_execz .LBB4_5894
; %bb.5880:                             ;   in Loop: Header=BB4_5833 Depth=2
	s_and_saveexec_b32 s21, s11
	s_cbranch_execz .LBB4_5893
; %bb.5881:                             ;   in Loop: Header=BB4_5833 Depth=2
	s_mov_b32 s23, exec_lo
	s_mov_b32 s22, exec_lo
	v_mbcnt_lo_u32_b32 v8, s23, 0
	;;#ASMSTART
	s_waitcnt lgkmcnt(0) vmcnt(0)
	;;#ASMEND
	v_cmpx_eq_u32_e32 0, v8
	s_cbranch_execz .LBB4_5883
; %bb.5882:                             ;   in Loop: Header=BB4_5833 Depth=2
	s_bcnt1_i32_b32 s23, s23
	v_mov_b32_e32 v9, v2
	v_mov_b32_e32 v8, s23
	s_waitcnt vmcnt(0) lgkmcnt(0)
	s_waitcnt_vscnt null, 0x0
	ds_add_u64 v0, v[8:9]
	s_trap 2
.LBB4_5883:                             ;   in Loop: Header=BB4_5833 Depth=2
	s_or_b32 exec_lo, exec_lo, s22
	s_trap 2
	ds_read_b64 v[8:9], v0
	s_waitcnt vmcnt(0) lgkmcnt(0)
	buffer_gl0_inv
	v_add_co_u32 v38, vcc_lo, v38, v103
	v_add_co_ci_u32_e64 v39, null, 0, v39, vcc_lo
	s_mov_b32 s22, exec_lo
	v_cmpx_lt_u64_e64 v[8:9], v[38:39]
	s_cbranch_execz .LBB4_5892
; %bb.5884:                             ;   in Loop: Header=BB4_5833 Depth=2
	s_mov_b32 s23, 0
	s_mov_b32 s63, 0
                                        ; implicit-def: $sgpr61
                                        ; implicit-def: $sgpr62
	s_inst_prefetch 0x1
	s_branch .LBB4_5886
	.p2align	6
.LBB4_5885:                             ;   in Loop: Header=BB4_5886 Depth=3
	s_or_b32 exec_lo, exec_lo, s73
	s_and_b32 s72, exec_lo, s74
	s_or_b32 s23, s72, s23
	s_andn2_b32 s61, s61, exec_lo
	s_and_b32 s72, s62, exec_lo
	s_or_b32 s61, s61, s72
	s_andn2_b32 exec_lo, exec_lo, s23
	s_cbranch_execz .LBB4_5890
.LBB4_5886:                             ;   Parent Loop BB4_47 Depth=1
                                        ;     Parent Loop BB4_5833 Depth=2
                                        ; =>    This Inner Loop Header: Depth=3
	s_add_i32 s63, s63, 1
	s_cmpk_lg_i32 s63, 0x2710
	s_cselect_b32 s72, -1, 0
	s_and_b32 vcc_lo, exec_lo, s72
	s_cbranch_vccz .LBB4_5888
; %bb.5887:                             ;   in Loop: Header=BB4_5886 Depth=3
	s_mov_b32 s74, -1
	s_or_b32 s62, s62, exec_lo
	s_and_saveexec_b32 s73, s72
	s_cbranch_execz .LBB4_5885
	s_branch .LBB4_5889
	.p2align	6
.LBB4_5888:                             ;   in Loop: Header=BB4_5886 Depth=3
	s_trap 2
	ds_read_b64 v[8:9], v0
	s_andn2_b32 s72, s72, exec_lo
	s_mov_b32 s63, 0
	s_waitcnt lgkmcnt(0)
	s_waitcnt_vscnt null, 0x0
	flat_load_dword v8, v[8:9] glc dlc
	s_waitcnt vmcnt(0) lgkmcnt(0)
	buffer_gl1_inv
	buffer_gl0_inv
	v_cmp_eq_u32_e32 vcc_lo, 0, v8
	s_and_b32 s73, vcc_lo, exec_lo
	s_or_b32 s72, s72, s73
	s_mov_b32 s74, -1
	s_or_b32 s62, s62, exec_lo
	s_and_saveexec_b32 s73, s72
	s_cbranch_execz .LBB4_5885
.LBB4_5889:                             ;   in Loop: Header=BB4_5886 Depth=3
	s_sleep 1
	s_trap 2
	ds_read_b64 v[8:9], v0
	s_waitcnt lgkmcnt(0)
	buffer_gl0_inv
	s_andn2_b32 s62, s62, exec_lo
	v_cmp_ge_u64_e32 vcc_lo, v[8:9], v[38:39]
	s_orn2_b32 s74, vcc_lo, exec_lo
	s_branch .LBB4_5885
.LBB4_5890:                             ;   in Loop: Header=BB4_5833 Depth=2
	s_inst_prefetch 0x2
	s_or_b32 exec_lo, exec_lo, s23
	s_and_saveexec_b32 s23, s61
	s_xor_b32 s23, exec_lo, s23
	s_cbranch_execz .LBB4_5892
; %bb.5891:                             ;   in Loop: Header=BB4_5833 Depth=2
	ds_write_b32 v0, v113
	s_trap 2
.LBB4_5892:                             ;   in Loop: Header=BB4_5833 Depth=2
	s_or_b32 exec_lo, exec_lo, s22
	;;#ASMSTART
	s_wakeup
	;;#ASMEND
.LBB4_5893:                             ;   in Loop: Header=BB4_5833 Depth=2
	s_or_b32 exec_lo, exec_lo, s21
.LBB4_5894:                             ;   in Loop: Header=BB4_5833 Depth=2
	s_andn2_saveexec_b32 s19, s19
	s_cbranch_execz .LBB4_5896
; %bb.5895:                             ;   in Loop: Header=BB4_5833 Depth=2
	;;#ASMSTART
	s_waitcnt lgkmcnt(0) vmcnt(0)
	;;#ASMEND
	s_barrier
.LBB4_5896:                             ;   in Loop: Header=BB4_5833 Depth=2
	s_or_b32 exec_lo, exec_lo, s19
.LBB4_5897:                             ;   in Loop: Header=BB4_5833 Depth=2
	s_or_b32 exec_lo, exec_lo, s16
	v_and_b32_e32 v8, 32, v100
	s_mov_b32 s16, exec_lo
	v_cmpx_ne_u32_e32 0, v8
	s_cbranch_execz .LBB4_5832
; %bb.5898:                             ;   in Loop: Header=BB4_5833 Depth=2
	v_add_co_u32 v64, vcc_lo, v64, 2
	v_add_co_ci_u32_e64 v65, null, 0, v65, vcc_lo
	s_waitcnt vmcnt(0) lgkmcnt(0)
	s_waitcnt_vscnt null, 0x0
	flat_store_dwordx2 v[32:33], v[64:65]
	s_branch .LBB4_5832
.LBB4_5899:
	s_or_b32 exec_lo, exec_lo, s27
.LBB4_5900:
	s_or_b32 exec_lo, exec_lo, s26
	v_and_b32_e32 v0, 0x800, v100
	s_mov_b32 s5, exec_lo
	v_cmpx_eq_u32_e32 0, v0
	s_cbranch_execz .LBB4_5933
; %bb.5901:
	v_and_b32_e32 v0, 48, v100
	s_mov_b32 s4, exec_lo
	v_cmpx_ne_u32_e32 0, v0
	s_cbranch_execz .LBB4_5903
; %bb.5902:
	flat_store_dwordx2 v[28:29], v[64:65] offset:104
.LBB4_5903:
	s_or_b32 exec_lo, exec_lo, s4
	v_and_b32_e32 v0, 0x88, v100
	s_mov_b32 s6, exec_lo
	v_cmpx_eq_u32_e32 0x88, v0
	s_cbranch_execz .LBB4_5913
; %bb.5904:
	v_add_nc_u32_e32 v0, 6, v64
	s_mov_b32 s7, 0
	v_and_b32_e32 v0, 7, v0
	v_mad_u64_u32 v[2:3], null, v0, 24, v[6:7]
	v_and_b32_e32 v0, 64, v100
	v_cmp_eq_u32_e64 s4, 0, v0
	flat_load_dwordx2 v[4:5], v[2:3] offset:8 glc dlc
	s_waitcnt vmcnt(0) lgkmcnt(0)
	v_cmp_ne_u64_e32 vcc_lo, -1, v[4:5]
	s_and_b32 s4, vcc_lo, s4
	s_and_b32 exec_lo, exec_lo, s4
	s_cbranch_execz .LBB4_5913
; %bb.5905:
	s_mov_b32 s11, 0
                                        ; implicit-def: $sgpr4
                                        ; implicit-def: $sgpr10
	s_inst_prefetch 0x1
	s_branch .LBB4_5908
	.p2align	6
.LBB4_5906:                             ;   in Loop: Header=BB4_5908 Depth=1
	flat_load_dwordx2 v[4:5], v[2:3] offset:8 glc dlc
	s_waitcnt vmcnt(0)
	s_andn2_b32 s10, s10, exec_lo
	s_waitcnt lgkmcnt(0)
	v_cmp_eq_u64_e32 vcc_lo, -1, v[4:5]
	s_orn2_b32 s13, vcc_lo, exec_lo
.LBB4_5907:                             ;   in Loop: Header=BB4_5908 Depth=1
	s_or_b32 exec_lo, exec_lo, s14
	s_and_b32 s12, exec_lo, s13
	s_or_b32 s7, s12, s7
	s_andn2_b32 s4, s4, exec_lo
	s_and_b32 s12, s10, exec_lo
	s_or_b32 s4, s4, s12
	s_andn2_b32 exec_lo, exec_lo, s7
	s_cbranch_execz .LBB4_5911
.LBB4_5908:                             ; =>This Inner Loop Header: Depth=1
	s_cmpk_lt_i32 s11, 0x270f
	s_cselect_b32 s12, -1, 0
	s_and_b32 vcc_lo, exec_lo, s12
	s_cbranch_vccnz .LBB4_5910
; %bb.5909:                             ;   in Loop: Header=BB4_5908 Depth=1
	s_trap 2
	ds_read_b64 v[4:5], v0
	s_andn2_b32 s12, s12, exec_lo
	s_mov_b32 s11, 0
	s_waitcnt lgkmcnt(0)
	s_waitcnt_vscnt null, 0x0
	flat_load_dword v0, v[4:5] glc dlc
	s_waitcnt vmcnt(0) lgkmcnt(0)
	buffer_gl1_inv
	buffer_gl0_inv
	v_cmp_eq_u32_e32 vcc_lo, 0, v0
	s_and_b32 s13, vcc_lo, exec_lo
	s_or_b32 s12, s12, s13
	s_mov_b32 s13, -1
	s_or_b32 s10, s10, exec_lo
	s_and_saveexec_b32 s14, s12
	s_cbranch_execz .LBB4_5907
	s_branch .LBB4_5906
	.p2align	6
.LBB4_5910:                             ;   in Loop: Header=BB4_5908 Depth=1
	s_add_i32 s11, s11, 1
                                        ; implicit-def: $vgpr0
	s_mov_b32 s13, -1
	s_or_b32 s10, s10, exec_lo
	s_and_saveexec_b32 s14, s12
	s_cbranch_execz .LBB4_5907
	s_branch .LBB4_5906
.LBB4_5911:
	s_inst_prefetch 0x2
	s_or_b32 exec_lo, exec_lo, s7
	s_and_saveexec_b32 s7, s4
	s_xor_b32 s7, exec_lo, s7
	s_cbranch_execz .LBB4_5913
; %bb.5912:
	s_waitcnt_vscnt null, 0x0
	ds_write_b32 v0, v0
	s_trap 2
.LBB4_5913:
	s_or_b32 exec_lo, exec_lo, s6
	v_and_b32_e32 v0, 0x2000, v100
	s_mov_b32 s4, exec_lo
	v_cmpx_ne_u32_e32 0, v0
	s_cbranch_execz .LBB4_5915
; %bb.5914:
	s_trap 2
	ds_read_b64 v[2:3], v0
	s_clause 0x1
	buffer_load_dword v4, off, s[0:3], s33 offset:188
	buffer_load_dword v5, off, s[0:3], s33 offset:192
	s_waitcnt vmcnt(0) lgkmcnt(0)
	flat_store_dwordx2 v[4:5], v[2:3] offset:16
.LBB4_5915:
	s_or_b32 exec_lo, exec_lo, s4
	v_cmp_ne_u32_e32 vcc_lo, 32, v1
	s_and_b32 exec_lo, exec_lo, vcc_lo
	s_cbranch_execz .LBB4_5933
; %bb.5916:
	s_waitcnt vmcnt(0)
	v_cmp_ne_u32_sdwa s4, v1, v30 src0_sel:DWORD src1_sel:WORD_0
	s_and_saveexec_b32 s6, s4
	s_xor_b32 s4, exec_lo, s6
	s_cbranch_execz .LBB4_5931
; %bb.5917:
	v_and_b32_e32 v0, 31, v31
	s_mov_b32 s6, exec_lo
	v_cmpx_eq_u32_e32 0, v0
	s_cbranch_execz .LBB4_5930
; %bb.5918:
	s_mov_b32 s10, exec_lo
	s_mov_b32 s7, exec_lo
	v_mbcnt_lo_u32_b32 v0, s10, 0
	s_waitcnt lgkmcnt(0)
	s_waitcnt_vscnt null, 0x0
	buffer_gl1_inv
	buffer_gl0_inv
	v_cmpx_eq_u32_e32 0, v0
	s_cbranch_execz .LBB4_5920
; %bb.5919:
	s_bcnt1_i32_b32 s10, s10
	v_mov_b32_e32 v3, 0
	v_mov_b32_e32 v2, s10
	ds_add_u64 v0, v[2:3]
	s_trap 2
.LBB4_5920:
	s_or_b32 exec_lo, exec_lo, s7
	s_trap 2
	ds_read_b64 v[2:3], v0
	s_waitcnt lgkmcnt(0)
	buffer_gl0_inv
	v_lshrrev_b32_e32 v0, 5, v1
	s_mov_b32 s7, exec_lo
	v_add_co_u32 v0, vcc_lo, v38, v0
	v_add_co_ci_u32_e64 v1, null, 0, v39, vcc_lo
	v_cmpx_lt_u64_e64 v[2:3], v[0:1]
	s_cbranch_execz .LBB4_5929
; %bb.5921:
	s_mov_b32 s10, 0
	s_mov_b32 s13, 0
                                        ; implicit-def: $sgpr11
                                        ; implicit-def: $sgpr12
	s_inst_prefetch 0x1
	s_branch .LBB4_5923
	.p2align	6
.LBB4_5922:                             ;   in Loop: Header=BB4_5923 Depth=1
	s_or_b32 exec_lo, exec_lo, s15
	s_and_b32 s14, exec_lo, s16
	s_or_b32 s10, s14, s10
	s_andn2_b32 s11, s11, exec_lo
	s_and_b32 s14, s12, exec_lo
	s_or_b32 s11, s11, s14
	s_andn2_b32 exec_lo, exec_lo, s10
	s_cbranch_execz .LBB4_5927
.LBB4_5923:                             ; =>This Inner Loop Header: Depth=1
	s_add_i32 s13, s13, 1
	s_cmpk_lg_i32 s13, 0x2710
	s_cselect_b32 s14, -1, 0
	s_and_b32 vcc_lo, exec_lo, s14
	s_cbranch_vccz .LBB4_5925
; %bb.5924:                             ;   in Loop: Header=BB4_5923 Depth=1
	s_mov_b32 s16, -1
	s_or_b32 s12, s12, exec_lo
	s_and_saveexec_b32 s15, s14
	s_cbranch_execz .LBB4_5922
	s_branch .LBB4_5926
.LBB4_5925:                             ;   in Loop: Header=BB4_5923 Depth=1
	s_trap 2
	ds_read_b64 v[2:3], v0
	s_andn2_b32 s14, s14, exec_lo
	s_mov_b32 s13, 0
	s_waitcnt lgkmcnt(0)
	flat_load_dword v2, v[2:3] glc dlc
	s_waitcnt vmcnt(0) lgkmcnt(0)
	buffer_gl1_inv
	buffer_gl0_inv
	v_cmp_eq_u32_e32 vcc_lo, 0, v2
	s_and_b32 s15, vcc_lo, exec_lo
	s_or_b32 s14, s14, s15
	s_mov_b32 s16, -1
	s_or_b32 s12, s12, exec_lo
	s_and_saveexec_b32 s15, s14
	s_cbranch_execz .LBB4_5922
.LBB4_5926:                             ;   in Loop: Header=BB4_5923 Depth=1
	s_sleep 1
	s_trap 2
	ds_read_b64 v[2:3], v0
	s_waitcnt lgkmcnt(0)
	buffer_gl0_inv
	s_andn2_b32 s12, s12, exec_lo
	v_cmp_ge_u64_e32 vcc_lo, v[2:3], v[0:1]
	s_orn2_b32 s16, vcc_lo, exec_lo
	s_branch .LBB4_5922
.LBB4_5927:
	s_inst_prefetch 0x2
	s_or_b32 exec_lo, exec_lo, s10
	s_and_saveexec_b32 s10, s11
	s_xor_b32 s10, exec_lo, s10
	s_cbranch_execz .LBB4_5929
; %bb.5928:
	v_mov_b32_e32 v0, 1
	ds_write_b32 v0, v0
	s_trap 2
.LBB4_5929:
	s_or_b32 exec_lo, exec_lo, s7
	;;#ASMSTART
	s_wakeup
	;;#ASMEND
.LBB4_5930:
	s_or_b32 exec_lo, exec_lo, s6
.LBB4_5931:
	s_andn2_saveexec_b32 s4, s4
	s_cbranch_execz .LBB4_5933
; %bb.5932:
	s_waitcnt lgkmcnt(0)
	s_waitcnt_vscnt null, 0x0
	buffer_gl1_inv
	buffer_gl0_inv
	s_barrier
.LBB4_5933:
	s_or_b32 exec_lo, exec_lo, s5
.LBB4_5934:
	s_andn2_saveexec_b32 s25, s24
	s_cbranch_execz .LBB4_5936
; %bb.5935:
	s_getpc_b64 s[4:5]
	s_add_u32 s4, s4, __PRETTY_FUNCTION__._ZN10PrimitivesI12rccl_bfloat88FuncProdIS0_E12FanSymmetricILi1EELi0E11ProtoSimpleILi2ELi2ELi0ELi2ELi0ELi0EELi0ELb0ELi0ELi0ELi0EEC2EiiPKiS9_PKvPvmhhhP15ncclDevWorkCollP14ncclDevWorkP2pii@rel32@lo+4
	s_addc_u32 s5, s5, __PRETTY_FUNCTION__._ZN10PrimitivesI12rccl_bfloat88FuncProdIS0_E12FanSymmetricILi1EELi0E11ProtoSimpleILi2ELi2ELi0ELi2ELi0ELi0EELi0ELb0ELi0ELi0ELi0EEC2EiiPKiS9_PKvPvmhhhP15ncclDevWorkCollP14ncclDevWorkP2pii@rel32@hi+12
	v_mov_b32_e32 v0, s4
	v_mov_b32_e32 v1, s5
	s_getpc_b64 s[6:7]
	s_add_u32 s6, s6, __assert_fail@rel32@lo+4
	s_addc_u32 s7, s7, __assert_fail@rel32@hi+12
	s_swappc_b64 s[30:31], s[6:7]
	; divergent unreachable
.LBB4_5936:
	s_or_b32 exec_lo, exec_lo, s25
	s_clause 0x2e
	buffer_load_dword v126, off, s[0:3], s33
	buffer_load_dword v125, off, s[0:3], s33 offset:4
	buffer_load_dword v124, off, s[0:3], s33 offset:8
	;; [unrolled: 1-line block ×46, first 2 shown]
	v_readlane_b32 s30, v127, 0
	v_readlane_b32 s31, v127, 1
	s_mov_b32 s32, s33
	s_or_saveexec_b32 s4, -1
	buffer_load_dword v127, off, s[0:3], s33 offset:196 ; 4-byte Folded Reload
	s_mov_b32 exec_lo, s4
	s_mov_b32 s33, s88
	s_waitcnt vmcnt(0) lgkmcnt(0)
	s_setpc_b64 s[30:31]
.Lfunc_end4:
	.size	_ZN12_GLOBAL__N_17runRingI12rccl_bfloat88FuncProdIS1_E11ProtoSimpleILi2ELi2ELi0ELi2ELi0ELi0EELi0ELi0ELi2ELi0EEEviiP15ncclDevWorkColl, .Lfunc_end4-_ZN12_GLOBAL__N_17runRingI12rccl_bfloat88FuncProdIS1_E11ProtoSimpleILi2ELi2ELi0ELi2ELi0ELi0EELi0ELi0ELi2ELi0EEEviiP15ncclDevWorkColl
                                        ; -- End function
	.set .L_ZN12_GLOBAL__N_17runRingI12rccl_bfloat88FuncProdIS1_E11ProtoSimpleILi2ELi2ELi0ELi2ELi0ELi0EELi0ELi0ELi2ELi0EEEviiP15ncclDevWorkColl.num_vgpr, max(128, .L__assert_fail.num_vgpr)
	.set .L_ZN12_GLOBAL__N_17runRingI12rccl_bfloat88FuncProdIS1_E11ProtoSimpleILi2ELi2ELi0ELi2ELi0ELi0EELi0ELi0ELi2ELi0EEEviiP15ncclDevWorkColl.num_agpr, max(0, .L__assert_fail.num_agpr)
	.set .L_ZN12_GLOBAL__N_17runRingI12rccl_bfloat88FuncProdIS1_E11ProtoSimpleILi2ELi2ELi0ELi2ELi0ELi0EELi0ELi0ELi2ELi0EEEviiP15ncclDevWorkColl.numbered_sgpr, max(89, .L__assert_fail.numbered_sgpr)
	.set .L_ZN12_GLOBAL__N_17runRingI12rccl_bfloat88FuncProdIS1_E11ProtoSimpleILi2ELi2ELi0ELi2ELi0ELi0EELi0ELi0ELi2ELi0EEEviiP15ncclDevWorkColl.num_named_barrier, max(0, .L__assert_fail.num_named_barrier)
	.set .L_ZN12_GLOBAL__N_17runRingI12rccl_bfloat88FuncProdIS1_E11ProtoSimpleILi2ELi2ELi0ELi2ELi0ELi0EELi0ELi0ELi2ELi0EEEviiP15ncclDevWorkColl.private_seg_size, 208+max(.L__assert_fail.private_seg_size)
	.set .L_ZN12_GLOBAL__N_17runRingI12rccl_bfloat88FuncProdIS1_E11ProtoSimpleILi2ELi2ELi0ELi2ELi0ELi0EELi0ELi0ELi2ELi0EEEviiP15ncclDevWorkColl.uses_vcc, or(1, .L__assert_fail.uses_vcc)
	.set .L_ZN12_GLOBAL__N_17runRingI12rccl_bfloat88FuncProdIS1_E11ProtoSimpleILi2ELi2ELi0ELi2ELi0ELi0EELi0ELi0ELi2ELi0EEEviiP15ncclDevWorkColl.uses_flat_scratch, or(1, .L__assert_fail.uses_flat_scratch)
	.set .L_ZN12_GLOBAL__N_17runRingI12rccl_bfloat88FuncProdIS1_E11ProtoSimpleILi2ELi2ELi0ELi2ELi0ELi0EELi0ELi0ELi2ELi0EEEviiP15ncclDevWorkColl.has_dyn_sized_stack, or(0, .L__assert_fail.has_dyn_sized_stack)
	.set .L_ZN12_GLOBAL__N_17runRingI12rccl_bfloat88FuncProdIS1_E11ProtoSimpleILi2ELi2ELi0ELi2ELi0ELi0EELi0ELi0ELi2ELi0EEEviiP15ncclDevWorkColl.has_recursion, or(1, .L__assert_fail.has_recursion)
	.set .L_ZN12_GLOBAL__N_17runRingI12rccl_bfloat88FuncProdIS1_E11ProtoSimpleILi2ELi2ELi0ELi2ELi0ELi0EELi0ELi0ELi2ELi0EEEviiP15ncclDevWorkColl.has_indirect_call, or(0, .L__assert_fail.has_indirect_call)
	.section	.AMDGPU.csdata,"",@progbits
; Function info:
; codeLenInByte = 211864
; TotalNumSgprs: 91
; NumVgprs: 128
; ScratchSize: 272
; MemoryBound: 1
	.text
	.p2align	2                               ; -- Begin function _Z51ncclDevFunc_AllReduce_RING_SIMPLE_Prod_f8e5m2_0_0_2v
	.type	_Z51ncclDevFunc_AllReduce_RING_SIMPLE_Prod_f8e5m2_0_0_2v,@function
_Z51ncclDevFunc_AllReduce_RING_SIMPLE_Prod_f8e5m2_0_0_2v: ; @_Z51ncclDevFunc_AllReduce_RING_SIMPLE_Prod_f8e5m2_0_0_2v
; %bb.0:
	s_waitcnt vmcnt(0) expcnt(0) lgkmcnt(0)
	s_mov_b32 s94, s33
	s_mov_b32 s33, s32
	s_or_saveexec_b32 s4, -1
	buffer_store_dword v43, off, s[0:3], s33 offset:16 ; 4-byte Folded Spill
	s_mov_b32 exec_lo, s4
	s_addk_i32 s32, 0x400
	buffer_store_dword v40, off, s[0:3], s33 offset:12 ; 4-byte Folded Spill
	buffer_store_dword v41, off, s[0:3], s33 offset:8 ; 4-byte Folded Spill
	;; [unrolled: 1-line block ×3, first 2 shown]
	buffer_store_dword v127, off, s[0:3], s33 ; 4-byte Folded Spill
	v_writelane_b32 v43, s34, 0
	v_writelane_b32 v43, s35, 1
	v_writelane_b32 v43, s30, 2
	v_writelane_b32 v43, s31, 3
	s_trap 2
	ds_read_b32 v0, v0
	v_mov_b32_e32 v40, v31
	s_waitcnt lgkmcnt(0)
	v_cmp_gt_i32_e32 vcc_lo, 1, v0
	s_cbranch_vccnz .LBB5_8
; %bb.1:
	v_and_b32_e32 v41, 0x3ff, v40
	v_mov_b32_e32 v42, 5
	s_mov_b32 s89, s12
	s_mov_b64 s[90:91], s[8:9]
	s_mov_b32 s92, 0
	s_inst_prefetch 0x1
	s_branch .LBB5_3
	.p2align	6
.LBB5_2:                                ;   in Loop: Header=BB5_3 Depth=1
	s_or_b32 exec_lo, exec_lo, s93
	s_trap 2
	ds_read_b32 v0, v0
	s_add_i32 s92, s92, 1
	s_waitcnt lgkmcnt(0)
	v_cmp_lt_i32_e32 vcc_lo, s92, v0
	s_cbranch_vccz .LBB5_8
.LBB5_3:                                ; =>This Inner Loop Header: Depth=1
	s_trap 2
	ds_read_b32 v0, v0
	s_cmp_eq_u32 s92, 0
	s_cbranch_scc1 .LBB5_6
; %bb.4:                                ;   in Loop: Header=BB5_3 Depth=1
	s_trap 2
	s_waitcnt lgkmcnt(0)
	ds_read_b32 v1, v0
	s_waitcnt lgkmcnt(0)
	v_xor_b32_e32 v1, v1, v0
	v_and_b32_e32 v1, 0xff0000, v1
	v_cmp_eq_u32_e32 vcc_lo, 0, v1
	s_cbranch_vccnz .LBB5_6
; %bb.5:                                ;   in Loop: Header=BB5_3 Depth=1
	s_waitcnt_vscnt null, 0x0
	s_barrier
	buffer_gl0_inv
	ds_read_b32 v0, v0
.LBB5_6:                                ;   in Loop: Header=BB5_3 Depth=1
	s_waitcnt lgkmcnt(0)
	v_lshlrev_b32_sdwa v1, v42, v0 dst_sel:DWORD dst_unused:UNUSED_PAD src0_sel:DWORD src1_sel:BYTE_2
	s_mov_b32 s93, exec_lo
	v_cmpx_lt_u32_e64 v41, v1
	s_cbranch_execz .LBB5_2
; %bb.7:                                ;   in Loop: Header=BB5_3 Depth=1
	s_mov_b64 s[4:5], src_shared_base
	v_mov_b32_e32 v31, v40
	v_mov_b32_e32 v0, v41
	v_mov_b32_e32 v3, s5
	s_getpc_b64 s[6:7]
	s_add_u32 s6, s6, _ZN12_GLOBAL__N_17runRingI12rccl_bfloat88FuncProdIS1_E11ProtoSimpleILi2ELi2ELi0ELi2ELi0ELi0EELi0ELi0ELi2ELi0EEEviiP15ncclDevWorkColl@rel32@lo+4
	s_addc_u32 s7, s7, _ZN12_GLOBAL__N_17runRingI12rccl_bfloat88FuncProdIS1_E11ProtoSimpleILi2ELi2ELi0ELi2ELi0ELi0EELi0ELi0ELi2ELi0EEEviiP15ncclDevWorkColl@rel32@hi+12
	s_mov_b64 s[8:9], s[90:91]
	s_mov_b32 s12, s89
	s_swappc_b64 s[30:31], s[6:7]
	s_branch .LBB5_2
.LBB5_8:
	s_inst_prefetch 0x2
	s_clause 0x3
	buffer_load_dword v127, off, s[0:3], s33
	buffer_load_dword v42, off, s[0:3], s33 offset:4
	buffer_load_dword v41, off, s[0:3], s33 offset:8
	;; [unrolled: 1-line block ×3, first 2 shown]
	v_readlane_b32 s30, v43, 2
	v_readlane_b32 s31, v43, 3
	;; [unrolled: 1-line block ×4, first 2 shown]
	s_mov_b32 s32, s33
	s_or_saveexec_b32 s4, -1
	buffer_load_dword v43, off, s[0:3], s33 offset:16 ; 4-byte Folded Reload
	s_mov_b32 exec_lo, s4
	s_mov_b32 s33, s94
	s_waitcnt vmcnt(0)
	s_setpc_b64 s[30:31]
.Lfunc_end5:
	.size	_Z51ncclDevFunc_AllReduce_RING_SIMPLE_Prod_f8e5m2_0_0_2v, .Lfunc_end5-_Z51ncclDevFunc_AllReduce_RING_SIMPLE_Prod_f8e5m2_0_0_2v
                                        ; -- End function
	.set .L_Z51ncclDevFunc_AllReduce_RING_SIMPLE_Prod_f8e5m2_0_0_2v.num_vgpr, max(128, .L_ZN12_GLOBAL__N_17runRingI12rccl_bfloat88FuncProdIS1_E11ProtoSimpleILi2ELi2ELi0ELi2ELi0ELi0EELi0ELi0ELi2ELi0EEEviiP15ncclDevWorkColl.num_vgpr)
	.set .L_Z51ncclDevFunc_AllReduce_RING_SIMPLE_Prod_f8e5m2_0_0_2v.num_agpr, max(0, .L_ZN12_GLOBAL__N_17runRingI12rccl_bfloat88FuncProdIS1_E11ProtoSimpleILi2ELi2ELi0ELi2ELi0ELi0EELi0ELi0ELi2ELi0EEEviiP15ncclDevWorkColl.num_agpr)
	.set .L_Z51ncclDevFunc_AllReduce_RING_SIMPLE_Prod_f8e5m2_0_0_2v.numbered_sgpr, max(95, .L_ZN12_GLOBAL__N_17runRingI12rccl_bfloat88FuncProdIS1_E11ProtoSimpleILi2ELi2ELi0ELi2ELi0ELi0EELi0ELi0ELi2ELi0EEEviiP15ncclDevWorkColl.numbered_sgpr)
	.set .L_Z51ncclDevFunc_AllReduce_RING_SIMPLE_Prod_f8e5m2_0_0_2v.num_named_barrier, max(0, .L_ZN12_GLOBAL__N_17runRingI12rccl_bfloat88FuncProdIS1_E11ProtoSimpleILi2ELi2ELi0ELi2ELi0ELi0EELi0ELi0ELi2ELi0EEEviiP15ncclDevWorkColl.num_named_barrier)
	.set .L_Z51ncclDevFunc_AllReduce_RING_SIMPLE_Prod_f8e5m2_0_0_2v.private_seg_size, 32+max(.L_ZN12_GLOBAL__N_17runRingI12rccl_bfloat88FuncProdIS1_E11ProtoSimpleILi2ELi2ELi0ELi2ELi0ELi0EELi0ELi0ELi2ELi0EEEviiP15ncclDevWorkColl.private_seg_size)
	.set .L_Z51ncclDevFunc_AllReduce_RING_SIMPLE_Prod_f8e5m2_0_0_2v.uses_vcc, or(1, .L_ZN12_GLOBAL__N_17runRingI12rccl_bfloat88FuncProdIS1_E11ProtoSimpleILi2ELi2ELi0ELi2ELi0ELi0EELi0ELi0ELi2ELi0EEEviiP15ncclDevWorkColl.uses_vcc)
	.set .L_Z51ncclDevFunc_AllReduce_RING_SIMPLE_Prod_f8e5m2_0_0_2v.uses_flat_scratch, or(0, .L_ZN12_GLOBAL__N_17runRingI12rccl_bfloat88FuncProdIS1_E11ProtoSimpleILi2ELi2ELi0ELi2ELi0ELi0EELi0ELi0ELi2ELi0EEEviiP15ncclDevWorkColl.uses_flat_scratch)
	.set .L_Z51ncclDevFunc_AllReduce_RING_SIMPLE_Prod_f8e5m2_0_0_2v.has_dyn_sized_stack, or(0, .L_ZN12_GLOBAL__N_17runRingI12rccl_bfloat88FuncProdIS1_E11ProtoSimpleILi2ELi2ELi0ELi2ELi0ELi0EELi0ELi0ELi2ELi0EEEviiP15ncclDevWorkColl.has_dyn_sized_stack)
	.set .L_Z51ncclDevFunc_AllReduce_RING_SIMPLE_Prod_f8e5m2_0_0_2v.has_recursion, or(1, .L_ZN12_GLOBAL__N_17runRingI12rccl_bfloat88FuncProdIS1_E11ProtoSimpleILi2ELi2ELi0ELi2ELi0ELi0EELi0ELi0ELi2ELi0EEEviiP15ncclDevWorkColl.has_recursion)
	.set .L_Z51ncclDevFunc_AllReduce_RING_SIMPLE_Prod_f8e5m2_0_0_2v.has_indirect_call, or(0, .L_ZN12_GLOBAL__N_17runRingI12rccl_bfloat88FuncProdIS1_E11ProtoSimpleILi2ELi2ELi0ELi2ELi0ELi0EELi0ELi0ELi2ELi0EEEviiP15ncclDevWorkColl.has_indirect_call)
	.section	.AMDGPU.csdata,"",@progbits
; Function info:
; codeLenInByte = 492
; TotalNumSgprs: 97
; NumVgprs: 128
; ScratchSize: 304
; MemoryBound: 0
	.text
	.p2align	2                               ; -- Begin function _ZN12_GLOBAL__N_17runRingI12rccl_bfloat88FuncProdIS1_E11ProtoSimpleILi2ELi2ELi0ELi4ELi0ELi0EELi0ELi0ELi4ELi0EEEviiP15ncclDevWorkColl
	.type	_ZN12_GLOBAL__N_17runRingI12rccl_bfloat88FuncProdIS1_E11ProtoSimpleILi2ELi2ELi0ELi4ELi0ELi0EELi0ELi0ELi4ELi0EEEviiP15ncclDevWorkColl,@function
_ZN12_GLOBAL__N_17runRingI12rccl_bfloat88FuncProdIS1_E11ProtoSimpleILi2ELi2ELi0ELi4ELi0ELi0EELi0ELi0ELi4ELi0EEEviiP15ncclDevWorkColl: ; @_ZN12_GLOBAL__N_17runRingI12rccl_bfloat88FuncProdIS1_E11ProtoSimpleILi2ELi2ELi0ELi4ELi0ELi0EELi0ELi0ELi4ELi0EEEviiP15ncclDevWorkColl
; %bb.0:
	s_waitcnt vmcnt(0) expcnt(0) lgkmcnt(0)
	s_mov_b32 s88, s33
	s_mov_b32 s33, s32
	s_or_saveexec_b32 s4, -1
	buffer_store_dword v127, off, s[0:3], s33 offset:320 ; 4-byte Folded Spill
	s_mov_b32 exec_lo, s4
	s_addk_i32 s32, 0x2a00
	buffer_store_dword v40, off, s[0:3], s33 offset:184 ; 4-byte Folded Spill
	buffer_store_dword v41, off, s[0:3], s33 offset:180 ; 4-byte Folded Spill
	buffer_store_dword v42, off, s[0:3], s33 offset:176 ; 4-byte Folded Spill
	buffer_store_dword v43, off, s[0:3], s33 offset:172 ; 4-byte Folded Spill
	buffer_store_dword v44, off, s[0:3], s33 offset:168 ; 4-byte Folded Spill
	buffer_store_dword v45, off, s[0:3], s33 offset:164 ; 4-byte Folded Spill
	buffer_store_dword v46, off, s[0:3], s33 offset:160 ; 4-byte Folded Spill
	buffer_store_dword v47, off, s[0:3], s33 offset:156 ; 4-byte Folded Spill
	buffer_store_dword v56, off, s[0:3], s33 offset:152 ; 4-byte Folded Spill
	buffer_store_dword v57, off, s[0:3], s33 offset:148 ; 4-byte Folded Spill
	buffer_store_dword v58, off, s[0:3], s33 offset:144 ; 4-byte Folded Spill
	buffer_store_dword v59, off, s[0:3], s33 offset:140 ; 4-byte Folded Spill
	buffer_store_dword v60, off, s[0:3], s33 offset:136 ; 4-byte Folded Spill
	buffer_store_dword v61, off, s[0:3], s33 offset:132 ; 4-byte Folded Spill
	buffer_store_dword v62, off, s[0:3], s33 offset:128 ; 4-byte Folded Spill
	buffer_store_dword v63, off, s[0:3], s33 offset:124 ; 4-byte Folded Spill
	buffer_store_dword v72, off, s[0:3], s33 offset:120 ; 4-byte Folded Spill
	buffer_store_dword v73, off, s[0:3], s33 offset:116 ; 4-byte Folded Spill
	buffer_store_dword v74, off, s[0:3], s33 offset:112 ; 4-byte Folded Spill
	buffer_store_dword v75, off, s[0:3], s33 offset:108 ; 4-byte Folded Spill
	buffer_store_dword v76, off, s[0:3], s33 offset:104 ; 4-byte Folded Spill
	buffer_store_dword v77, off, s[0:3], s33 offset:100 ; 4-byte Folded Spill
	buffer_store_dword v78, off, s[0:3], s33 offset:96 ; 4-byte Folded Spill
	buffer_store_dword v79, off, s[0:3], s33 offset:92 ; 4-byte Folded Spill
	buffer_store_dword v88, off, s[0:3], s33 offset:88 ; 4-byte Folded Spill
	buffer_store_dword v89, off, s[0:3], s33 offset:84 ; 4-byte Folded Spill
	buffer_store_dword v90, off, s[0:3], s33 offset:80 ; 4-byte Folded Spill
	buffer_store_dword v91, off, s[0:3], s33 offset:76 ; 4-byte Folded Spill
	buffer_store_dword v92, off, s[0:3], s33 offset:72 ; 4-byte Folded Spill
	buffer_store_dword v93, off, s[0:3], s33 offset:68 ; 4-byte Folded Spill
	buffer_store_dword v94, off, s[0:3], s33 offset:64 ; 4-byte Folded Spill
	buffer_store_dword v95, off, s[0:3], s33 offset:60 ; 4-byte Folded Spill
	buffer_store_dword v104, off, s[0:3], s33 offset:56 ; 4-byte Folded Spill
	buffer_store_dword v105, off, s[0:3], s33 offset:52 ; 4-byte Folded Spill
	buffer_store_dword v106, off, s[0:3], s33 offset:48 ; 4-byte Folded Spill
	buffer_store_dword v107, off, s[0:3], s33 offset:44 ; 4-byte Folded Spill
	buffer_store_dword v108, off, s[0:3], s33 offset:40 ; 4-byte Folded Spill
	buffer_store_dword v109, off, s[0:3], s33 offset:36 ; 4-byte Folded Spill
	buffer_store_dword v110, off, s[0:3], s33 offset:32 ; 4-byte Folded Spill
	buffer_store_dword v111, off, s[0:3], s33 offset:28 ; 4-byte Folded Spill
	buffer_store_dword v120, off, s[0:3], s33 offset:24 ; 4-byte Folded Spill
	buffer_store_dword v121, off, s[0:3], s33 offset:20 ; 4-byte Folded Spill
	buffer_store_dword v122, off, s[0:3], s33 offset:16 ; 4-byte Folded Spill
	buffer_store_dword v123, off, s[0:3], s33 offset:12 ; 4-byte Folded Spill
	buffer_store_dword v124, off, s[0:3], s33 offset:8 ; 4-byte Folded Spill
	buffer_store_dword v125, off, s[0:3], s33 offset:4 ; 4-byte Folded Spill
	buffer_store_dword v126, off, s[0:3], s33 ; 4-byte Folded Spill
	v_writelane_b32 v127, s30, 0
	v_writelane_b32 v127, s31, 1
	s_trap 2
	flat_load_dword v4, v[2:3]
	ds_read_b32 v5, v0
	v_mov_b32_e32 v19, v1
                                        ; implicit-def: $vgpr14_vgpr15
                                        ; implicit-def: $vgpr6_vgpr7
                                        ; kill: killed $vgpr6_vgpr7
                                        ; implicit-def: $vgpr9_vgpr10
	s_waitcnt lgkmcnt(0)
	v_readfirstlane_b32 s25, v5
	s_waitcnt vmcnt(0)
	v_cmp_ne_u32_sdwa s4, v5, v4 src0_sel:DWORD src1_sel:BYTE_0
	s_and_saveexec_b32 s5, s4
	s_xor_b32 s4, exec_lo, s5
	s_cbranch_execz .LBB6_6
; %bb.1:
	v_not_b32_sdwa v1, v4 dst_sel:DWORD dst_unused:UNUSED_PAD src0_sel:BYTE_0
	v_cmp_ne_u32_sdwa s5, v5, v4 src0_sel:DWORD src1_sel:BYTE_1
                                        ; implicit-def: $vgpr14_vgpr15
                                        ; implicit-def: $vgpr6_vgpr7
                                        ; kill: killed $vgpr6_vgpr7
                                        ; implicit-def: $vgpr9_vgpr10
	s_and_saveexec_b32 s6, s5
	s_xor_b32 s5, exec_lo, s6
	s_cbranch_execz .LBB6_3
; %bb.2:
	s_clause 0x1
	flat_load_dwordx4 v[6:9], v[2:3] offset:72
	flat_load_dwordx2 v[10:11], v[2:3] offset:96
	v_add_nc_u32_e32 v1, v5, v1
	v_ashrrev_i32_e32 v4, 31, v1
	s_waitcnt vmcnt(1) lgkmcnt(1)
	v_mul_lo_u32 v4, v8, v4
	v_mad_u64_u32 v[5:6], null, v8, v1, v[6:7]
	v_mul_lo_u32 v1, v9, v1
	s_waitcnt vmcnt(0) lgkmcnt(0)
	v_lshrrev_b64 v[14:15], 12, v[10:11]
	v_mov_b32_e32 v10, v9
	v_mov_b32_e32 v9, v8
	v_add3_u32 v6, v1, v6, v4
                                        ; implicit-def: $vgpr4
                                        ; implicit-def: $vgpr1
	buffer_store_dword v5, off, s[0:3], s33 offset:260 ; 4-byte Folded Spill
	buffer_store_dword v6, off, s[0:3], s33 offset:264 ; 4-byte Folded Spill
.LBB6_3:
	s_andn2_saveexec_b32 s5, s5
	s_cbranch_execz .LBB6_5
; %bb.4:
	s_clause 0x1
	flat_load_dwordx4 v[5:8], v[2:3] offset:72
	flat_load_dwordx4 v[9:12], v[2:3] offset:88
	v_add_nc_u32_sdwa v1, v4, v1 dst_sel:DWORD dst_unused:UNUSED_PAD src0_sel:BYTE_1 src1_sel:DWORD
	v_ashrrev_i32_e32 v4, 31, v1
	s_waitcnt vmcnt(1) lgkmcnt(1)
	v_mul_lo_u32 v4, v7, v4
	v_mad_u64_u32 v[5:6], null, v7, v1, v[5:6]
	v_mul_lo_u32 v1, v8, v1
	s_waitcnt vmcnt(0) lgkmcnt(0)
	v_lshrrev_b32_e32 v14, 1, v12
	v_add3_u32 v6, v1, v6, v4
	buffer_store_dword v5, off, s[0:3], s33 offset:260 ; 4-byte Folded Spill
	buffer_store_dword v6, off, s[0:3], s33 offset:264 ; 4-byte Folded Spill
.LBB6_5:
	s_or_b32 exec_lo, exec_lo, s5
.LBB6_6:
	s_andn2_saveexec_b32 s4, s4
	s_cbranch_execz .LBB6_8
; %bb.7:
	s_clause 0x1
	flat_load_dwordx2 v[4:5], v[2:3] offset:96
	flat_load_dwordx2 v[9:10], v[2:3] offset:72
	s_waitcnt vmcnt(1) lgkmcnt(1)
	v_lshlrev_b64 v[14:15], 9, v[4:5]
	v_mov_b32_e32 v4, 0
	v_mov_b32_e32 v5, 0
	buffer_store_dword v4, off, s[0:3], s33 offset:260 ; 4-byte Folded Spill
	buffer_store_dword v5, off, s[0:3], s33 offset:264 ; 4-byte Folded Spill
.LBB6_8:
	s_or_b32 exec_lo, exec_lo, s4
	s_trap 2
	ds_read_b64 v[4:5], v0
	s_mov_b32 s5, exec_lo
	s_waitcnt lgkmcnt(0)
	v_cmp_ne_u32_e32 vcc_lo, -1, v4
	v_cndmask_b32_e64 v1, 0, 1, vcc_lo
	v_cmp_ne_u32_e32 vcc_lo, -1, v5
	v_add_co_ci_u32_e64 v4, null, 0, v1, vcc_lo
	v_lshlrev_b32_e32 v5, 1, v4
	v_cmpx_le_u32_e64 v5, v19
	s_xor_b32 s24, exec_lo, s5
	s_cbranch_execnz .LBB6_9
; %bb.9397:
	s_getpc_b64 s[34:35]
.Lpost_getpc12:
	s_add_u32 s34, s34, (.LBB6_9390-.Lpost_getpc12)&4294967295
	s_addc_u32 s35, s35, (.LBB6_9390-.Lpost_getpc12)>>32
	s_setpc_b64 s[34:35]
.LBB6_9:
	s_waitcnt vmcnt(0)
	buffer_store_dword v9, off, s[0:3], s33 offset:268 ; 4-byte Folded Spill
	buffer_store_dword v10, off, s[0:3], s33 offset:272 ; 4-byte Folded Spill
	;; [unrolled: 1-line block ×4, first 2 shown]
	s_clause 0x3
	flat_load_dwordx4 v[10:13], v[2:3] offset:16
	flat_load_dwordx2 v[15:16], v[2:3] offset:104
	flat_load_ushort v7, v[2:3] offset:8
	flat_load_dword v6, v[2:3] offset:4
	s_trap 2
	s_load_dword s4, s[8:9], 0x0
	v_mov_b32_e32 v5, 0
	v_mov_b32_e32 v44, 4
	s_waitcnt lgkmcnt(0)
	s_cmp_lt_u32 s12, s4
	s_cselect_b32 s4, 12, 18
	s_add_u32 s4, s8, s4
	s_addc_u32 s5, s9, 0
	global_load_ushort v20, v5, s[4:5]
	ds_read_b32 v5, v0
	s_mov_b32 s5, exec_lo
	s_waitcnt lgkmcnt(0)
	v_readfirstlane_b32 s12, v5
	v_cmpx_ge_i32_e64 v0, v1
	s_cbranch_execz .LBB6_19
; %bb.10:
	v_cmp_ge_u32_e64 s4, v0, v4
                                        ; implicit-def: $vgpr44
	s_and_saveexec_b32 s6, s4
	s_xor_b32 s4, exec_lo, s6
	s_cbranch_execz .LBB6_16
; %bb.11:
	v_cndmask_b32_e64 v5, 0, 1, vcc_lo
	s_mov_b32 s6, exec_lo
	v_sub_nc_u32_e32 v5, v19, v5
	v_cmpx_ge_u32_e64 v0, v5
	s_xor_b32 s6, exec_lo, s6
; %bb.12:
                                        ; implicit-def: $vgpr4
; %bb.13:
	s_or_saveexec_b32 s6, s6
	v_mov_b32_e32 v44, 16
	s_xor_b32 exec_lo, exec_lo, s6
; %bb.14:
	v_sub_nc_u32_e32 v4, v19, v4
	v_cmp_lt_i32_e32 vcc_lo, v0, v4
	v_cndmask_b32_e64 v44, 32, 0, vcc_lo
; %bb.15:
	s_or_b32 exec_lo, exec_lo, s6
.LBB6_16:
	s_andn2_saveexec_b32 s4, s4
; %bb.17:
	v_mov_b32_e32 v44, 8
; %bb.18:
	s_or_b32 exec_lo, exec_lo, s4
.LBB6_19:
	s_or_b32 exec_lo, exec_lo, s5
	v_and_b32_e32 v4, 36, v44
	v_mov_b32_e32 v8, -1
	v_cmp_ne_u32_e32 vcc_lo, 0, v4
	s_and_saveexec_b32 s4, vcc_lo
	s_cbranch_execz .LBB6_21
; %bb.20:
	s_trap 2
	ds_read_b32 v8, v0
.LBB6_21:
	s_or_b32 exec_lo, exec_lo, s4
	v_and_b32_e32 v4, 24, v44
	s_mov_b32 s5, exec_lo
	v_cmpx_ne_u32_e32 0, v4
	s_cbranch_execz .LBB6_23
; %bb.22:
	s_trap 2
	s_waitcnt lgkmcnt(0)
	ds_read_b32 v8, v0
.LBB6_23:
	s_or_b32 exec_lo, exec_lo, s5
	s_waitcnt vmcnt(1)
	v_lshrrev_b64 v[4:5], 31, v[6:7]
	v_mov_b32_e32 v21, 0
	v_mov_b32_e32 v6, 0
	;; [unrolled: 1-line block ×4, first 2 shown]
                                        ; implicit-def: $vgpr17_vgpr18
                                        ; kill: killed $vgpr17_vgpr18
                                        ; implicit-def: $vgpr45
                                        ; implicit-def: $vgpr96_vgpr97
                                        ; implicit-def: $vgpr66_vgpr67
                                        ; implicit-def: $vgpr80_vgpr81
                                        ; implicit-def: $vgpr64_vgpr65
	v_and_b32_e32 v4, 3, v4
	s_and_saveexec_b32 s4, vcc_lo
	s_cbranch_execz .LBB6_33
; %bb.24:
	s_trap 2
	ds_read_b64 v[5:6], v0
	s_waitcnt lgkmcnt(1)
	v_ashrrev_i32_e32 v9, 31, v8
	v_and_b32_e32 v7, 0xffff, v4
	v_lshlrev_b64 v[17:18], 3, v[8:9]
	s_waitcnt lgkmcnt(0)
	v_add_co_u32 v5, vcc_lo, v5, v17
	v_add_co_ci_u32_e64 v6, null, v6, v18, vcc_lo
	flat_load_dwordx2 v[5:6], v[5:6]
	s_waitcnt vmcnt(0) lgkmcnt(0)
	v_mad_u64_u32 v[17:18], null, 0xa8, v7, v[5:6]
	flat_load_dword v5, v[17:18] offset:640
	s_waitcnt vmcnt(0) lgkmcnt(0)
	v_cmp_eq_u32_e32 vcc_lo, 1, v5
                                        ; implicit-def: $vgpr5_vgpr6
                                        ; kill: killed $vgpr5_vgpr6
	s_and_saveexec_b32 s5, vcc_lo
	s_cbranch_execz .LBB6_26
; %bb.25:
	flat_load_dwordx2 v[21:22], v[17:18] offset:648
	v_or_b32_e32 v44, 0x2000, v44
	s_waitcnt vmcnt(0) lgkmcnt(0)
	flat_load_dwordx2 v[5:6], v[21:22]
	s_trap 2
	s_waitcnt vmcnt(0) lgkmcnt(0)
	ds_write_b64 v0, v[5:6]
	flat_load_dwordx2 v[5:6], v[21:22] offset:8
	s_waitcnt vmcnt(0) lgkmcnt(0)
	ds_write_b64 v0, v[5:6]
	buffer_store_dword v21, off, s[0:3], s33 offset:312 ; 4-byte Folded Spill
	buffer_store_dword v22, off, s[0:3], s33 offset:316 ; 4-byte Folded Spill
	flat_load_dwordx2 v[5:6], v[21:22] offset:16
	s_waitcnt vmcnt(0) lgkmcnt(0)
	ds_write_b64 v0, v[5:6]
.LBB6_26:
	s_or_b32 exec_lo, exec_lo, s5
	flat_load_dwordx2 v[5:6], v[17:18] offset:608
	v_and_b32_e32 v7, 32, v44
	s_mov_b32 s5, exec_lo
                                        ; implicit-def: $vgpr64_vgpr65
	s_waitcnt vmcnt(0) lgkmcnt(0)
	v_add_co_u32 v5, vcc_lo, v5, 3
	v_add_co_ci_u32_e64 v97, null, 0, v6, vcc_lo
	v_and_b32_e32 v96, -4, v5
	v_cmpx_ne_u32_e32 0, v7
	s_cbranch_execz .LBB6_28
; %bb.27:
	flat_load_dwordx2 v[64:65], v[17:18] offset:560
	s_waitcnt vmcnt(0) lgkmcnt(0)
	s_waitcnt_vscnt null, 0x0
	flat_store_dwordx2 v[64:65], v[96:97]
.LBB6_28:
	s_or_b32 exec_lo, exec_lo, s5
	v_add_co_u32 v21, vcc_lo, 0x1f8, v17
	v_mov_b32_e32 v6, 0
	v_and_b32_e32 v5, 4, v44
	v_add_co_ci_u32_e64 v22, null, 0, v18, vcc_lo
	v_mov_b32_e32 v7, 0
	s_mov_b32 s5, exec_lo
                                        ; implicit-def: $vgpr45
                                        ; implicit-def: $vgpr66_vgpr67
                                        ; implicit-def: $vgpr80_vgpr81
	v_cmpx_ne_u32_e32 0, v5
	s_cbranch_execz .LBB6_32
; %bb.29:
	v_and_b32_e32 v5, 0x800, v44
	s_mov_b32 s6, exec_lo
	v_cmpx_eq_u32_e32 0, v5
	s_cbranch_execz .LBB6_31
; %bb.30:
	s_trap 2
	ds_write_b64 v0, v[21:22]
.LBB6_31:
	s_or_b32 exec_lo, exec_lo, s6
	flat_load_dwordx2 v[64:65], v[17:18] offset:552
	v_or_b32_e32 v5, 0x100, v44
	s_waitcnt vmcnt(0) lgkmcnt(0)
	flat_load_dwordx2 v[80:81], v[64:65] glc dlc
	s_clause 0x2
	flat_load_dwordx2 v[6:7], v[17:18] offset:600
	flat_load_dword v45, v[17:18] offset:576
	flat_load_dwordx2 v[66:67], v[17:18] offset:520
	s_waitcnt vmcnt(2) lgkmcnt(2)
	v_cmp_eq_u64_e32 vcc_lo, 0, v[6:7]
	v_cndmask_b32_e32 v44, v5, v44, vcc_lo
.LBB6_32:
	s_or_b32 exec_lo, exec_lo, s5
.LBB6_33:
	s_or_b32 exec_lo, exec_lo, s4
	v_and_b32_e32 v5, 24, v44
	s_mov_b32 s4, exec_lo
                                        ; implicit-def: $vgpr68_vgpr69
	v_cmpx_ne_u32_e32 0, v5
	s_cbranch_execz .LBB6_41
; %bb.34:
	s_trap 2
	ds_read_b64 v[5:6], v0
	s_waitcnt lgkmcnt(1)
	v_ashrrev_i32_e32 v9, 31, v8
	v_and_b32_e32 v4, 0xffff, v4
	s_mov_b32 s5, exec_lo
                                        ; implicit-def: $vgpr68_vgpr69
	v_lshlrev_b64 v[7:8], 3, v[8:9]
	s_waitcnt lgkmcnt(0)
	v_add_co_u32 v5, vcc_lo, v5, v7
	v_add_co_ci_u32_e64 v6, null, v6, v8, vcc_lo
	flat_load_dwordx2 v[5:6], v[5:6]
	s_waitcnt vmcnt(0) lgkmcnt(0)
	v_mad_u64_u32 v[21:22], null, 0xa8, v4, v[5:6]
	v_or_b32_e32 v4, 0x100, v44
	flat_load_dwordx4 v[6:9], v[21:22] offset:96
	s_waitcnt vmcnt(0) lgkmcnt(0)
	v_cmp_eq_u64_e32 vcc_lo, 0, v[6:7]
	v_cndmask_b32_e32 v44, v4, v44, vcc_lo
	v_and_b32_e32 v4, 16, v44
	v_cmpx_ne_u32_e32 0, v4
	s_cbranch_execz .LBB6_36
; %bb.35:
	s_clause 0x2
	flat_load_dwordx2 v[64:65], v[21:22] offset:48
	flat_load_dwordx2 v[68:69], v[21:22] offset:120
	;; [unrolled: 1-line block ×3, first 2 shown]
.LBB6_36:
	s_or_b32 exec_lo, exec_lo, s5
	v_add_co_u32 v4, vcc_lo, v8, 3
	v_and_b32_e32 v5, 8, v44
	v_add_co_ci_u32_e64 v97, null, 0, v9, vcc_lo
	v_and_b32_e32 v96, -4, v4
	s_mov_b32 s5, exec_lo
	v_cmpx_ne_u32_e32 0, v5
	s_cbranch_execz .LBB6_40
; %bb.37:
	v_and_b32_e32 v4, 0x800, v44
	s_mov_b32 s6, exec_lo
	v_cmpx_eq_u32_e32 0, v4
	s_cbranch_execz .LBB6_39
; %bb.38:
	s_trap 2
	ds_write_b64 v0, v[21:22]
.LBB6_39:
	s_or_b32 exec_lo, exec_lo, s6
	s_waitcnt vmcnt(2) lgkmcnt(2)
	flat_load_dwordx2 v[64:65], v[21:22] offset:56
	s_waitcnt vmcnt(0) lgkmcnt(0)
	flat_load_dwordx2 v[80:81], v[64:65] glc dlc
	s_clause 0x1
	flat_load_dword v45, v[21:22] offset:72
	flat_load_dwordx2 v[66:67], v[21:22] offset:16
.LBB6_40:
	s_or_b32 exec_lo, exec_lo, s5
.LBB6_41:
	s_or_b32 exec_lo, exec_lo, s4
	v_cmp_eq_u32_e64 s4, 0, v0
	s_and_saveexec_b32 s5, s4
	s_cbranch_execz .LBB6_43
; %bb.42:
	flat_load_dwordx2 v[4:5], v[2:3] offset:32
	s_waitcnt lgkmcnt(1)
	v_mov_b32_e32 v8, v12
	v_mov_b32_e32 v9, v13
	ds_write2_b64 v0, v[8:9], v[10:11] offset1:1
	s_trap 2
	s_waitcnt vmcnt(0) lgkmcnt(1)
	ds_write_b64 v0, v[4:5]
	ds_write_b64 v0, v[15:16]
.LBB6_43:
	s_or_b32 exec_lo, exec_lo, s5
	s_waitcnt lgkmcnt(0)
	s_clause 0x3
	buffer_load_dword v8, off, s[0:3], s33 offset:268
	buffer_load_dword v9, off, s[0:3], s33 offset:272
	;; [unrolled: 1-line block ×4, first 2 shown]
	v_mov_b32_e32 v70, 0
	v_mov_b32_e32 v71, 0
	s_mov_b32 s26, exec_lo
	s_waitcnt vmcnt(2)
	v_cmpx_lt_i64_e32 0, v[8:9]
	s_cbranch_execnz .LBB6_44
; %bb.9399:
	s_getpc_b64 s[34:35]
.Lpost_getpc13:
	s_add_u32 s34, s34, (.LBB6_9356-.Lpost_getpc13)&4294967295
	s_addc_u32 s35, s35, (.LBB6_9356-.Lpost_getpc13)>>32
	s_setpc_b64 s[34:35]
.LBB6_44:
	buffer_store_dword v21, off, s[0:3], s33 offset:304 ; 4-byte Folded Spill
	buffer_store_dword v22, off, s[0:3], s33 offset:308 ; 4-byte Folded Spill
	flat_load_dword v3, v[2:3] offset:4
	v_mov_b32_e32 v2, 0
	s_waitcnt vmcnt(2)
	v_and_b32_e32 v10, 0x3ffffe00, v14
	buffer_store_dword v31, off, s[0:3], s33 offset:296 ; 4-byte Folded Spill
	buffer_store_dword v20, off, s[0:3], s33 offset:300 ; 4-byte Folded Spill
	;; [unrolled: 1-line block ×3, first 2 shown]
	s_waitcnt vmcnt(1)
	v_mov_b32_e32 v11, v2
	s_ashr_i32 s28, s25, 31
	v_and_b32_e32 v4, 31, v31
	v_ashrrev_i32_e32 v5, 31, v0
	buffer_store_dword v10, off, s[0:3], s33 offset:216 ; 4-byte Folded Spill
	buffer_store_dword v11, off, s[0:3], s33 offset:220 ; 4-byte Folded Spill
	s_add_u32 s40, s25, -1
	s_addc_u32 s41, s28, -1
	s_add_i32 s42, s25, s25
	s_not_b32 s11, s25
	s_cmp_gt_i32 s25, 0
	v_lshrrev_b32_e32 v47, 5, v19
	s_cselect_b32 s13, s11, -1
	v_cmp_eq_u32_e64 s11, 0, v4
	v_lshrrev_b32_e32 v4, 27, v5
	v_and_b32_e32 v56, 0x1fe0, v19
	v_lshlrev_b32_e32 v75, 9, v47
	s_ashr_i32 s14, s12, 31
	s_add_i32 s43, s13, s42
	v_add_nc_u32_e32 v4, v0, v4
	v_subrev_nc_u32_e32 v78, 32, v56
	s_lshr_b32 s13, s14, 25
	v_add_nc_u32_e32 v12, 0xfffffe00, v75
	s_add_i32 s12, s12, s13
	v_and_b32_e32 v5, 0xffffffe0, v4
	v_ashrrev_i32_e32 v89, 5, v4
	v_ashrrev_i32_e32 v88, 31, v78
	s_ashr_i32 s44, s43, 31
	s_ashr_i32 s45, s12, 7
	v_sub_nc_u32_e32 v14, v0, v5
	v_lshlrev_b32_e32 v4, 12, v89
	v_lshlrev_b32_e32 v5, 11, v89
	v_add_co_u32 v92, s12, v78, 32
	s_cmp_gt_i32 s25, 2
	v_lshl_add_u32 v94, v14, 4, v4
	v_add_co_ci_u32_e64 v93, null, 0, v88, s12
	v_add_co_u32 v4, s12, 0x200, v12
	s_cselect_b32 s46, -1, 0
	s_add_i32 s16, s25, 1
	v_ashrrev_i32_e32 v13, 31, v12
	v_sub_nc_u32_e32 v5, v94, v5
	v_cmp_ge_i32_e32 vcc_lo, v0, v19
	v_mov_b32_e32 v102, 0
	v_cmp_eq_u64_e64 s7, 0, v[68:69]
	v_cmp_ne_u64_e64 s10, 0, v[68:69]
	v_mov_b32_e32 v70, 0
	buffer_store_dword v4, off, s[0:3], s33 offset:188 ; 4-byte Folded Spill
	v_cmp_eq_u32_e64 s5, 32, v19
	v_cmp_ne_u32_e64 s6, 32, v19
	v_cmp_ne_u32_sdwa s29, v19, v20 src0_sel:DWORD src1_sel:WORD_0
	v_mov_b32_e32 v103, 0
	v_mov_b32_e32 v57, 1
	;; [unrolled: 1-line block ×9, first 2 shown]
	v_lshlrev_b32_e32 v74, 12, v47
	v_lshlrev_b32_e32 v76, 10, v47
	;; [unrolled: 1-line block ×3, first 2 shown]
	v_add_co_ci_u32_e64 v104, null, 0, v13, s12
	v_cmp_gt_i32_e64 s12, 1, v14
	v_cmp_lt_i32_e64 s14, v14, v1
	v_cmp_le_i32_e64 s15, v14, v1
	v_ashrrev_i32_e32 v106, 31, v94
	v_ashrrev_i32_e32 v1, 31, v5
	s_mov_b32 s27, 0
	buffer_store_dword v13, off, s[0:3], s33 offset:204 ; 4-byte Folded Spill
	buffer_store_dword v14, off, s[0:3], s33 offset:200 ; 4-byte Folded Spill
	buffer_store_dword v5, off, s[0:3], s33 offset:224 ; 4-byte Folded Spill
	buffer_store_dword v1, off, s[0:3], s33 offset:228 ; 4-byte Folded Spill
	s_trap 2
	s_waitcnt vmcnt(0) lgkmcnt(0)
	v_and_b32_e32 v3, 1, v3
	v_cmp_eq_u32_e64 s13, 1, v3
	v_mad_i64_i32 v[10:11], null, v10, s25, 0
	s_xor_b32 s47, s13, -1
	s_cmp_ge_i32 s16, s25
	s_cselect_b32 s17, s25, 0
	s_add_i32 s56, s25, -2
	s_sub_i32 s58, s16, s17
	v_mov_b32_e32 v3, v10
	v_mov_b32_e32 v4, v11
	s_xor_b32 s57, vcc_lo, -1
	s_ashr_i32 s20, s28, 31
	s_ashr_i32 s59, s58, 31
	s_sub_i32 s60, 0, s25
	buffer_store_dword v3, off, s[0:3], s33 offset:284 ; 4-byte Folded Spill
	buffer_store_dword v4, off, s[0:3], s33 offset:288 ; 4-byte Folded Spill
	s_branch .LBB6_47
.LBB6_45:                               ;   in Loop: Header=BB6_47 Depth=1
	s_or_b32 exec_lo, exec_lo, s18
.LBB6_46:                               ;   in Loop: Header=BB6_47 Depth=1
	s_or_b32 exec_lo, exec_lo, s17
	s_clause 0x5
	buffer_load_dword v3, off, s[0:3], s33 offset:284
	buffer_load_dword v4, off, s[0:3], s33 offset:288
	;; [unrolled: 1-line block ×6, first 2 shown]
	s_waitcnt vmcnt(5)
	v_add_co_u32 v102, vcc_lo, v102, v3
	s_waitcnt vmcnt(4)
	v_add_co_ci_u32_e64 v103, null, v103, v4, vcc_lo
	s_waitcnt vmcnt(2)
	v_cmp_ge_i64_e32 vcc_lo, v[102:103], v[8:9]
	s_or_b32 s27, vcc_lo, s27
	s_andn2_b32 exec_lo, exec_lo, s27
	s_cbranch_execnz .LBB6_47
; %bb.9401:
	s_getpc_b64 s[34:35]
.Lpost_getpc14:
	s_add_u32 s34, s34, (.LBB6_9355-.Lpost_getpc14)&4294967295
	s_addc_u32 s35, s35, (.LBB6_9355-.Lpost_getpc14)>>32
	s_setpc_b64 s[34:35]
.LBB6_47:                               ; =>This Loop Header: Depth=1
                                        ;     Child Loop BB6_57 Depth 2
                                        ;       Child Loop BB6_65 Depth 3
                                        ;       Child Loop BB6_89 Depth 3
	;; [unrolled: 1-line block ×9, first 2 shown]
                                        ;     Child Loop BB6_199 Depth 2
                                        ;       Child Loop BB6_205 Depth 3
                                        ;       Child Loop BB6_229 Depth 3
	;; [unrolled: 1-line block ×3, first 2 shown]
                                        ;     Child Loop BB6_271 Depth 2
                                        ;       Child Loop BB6_274 Depth 3
                                        ;         Child Loop BB6_282 Depth 4
                                        ;         Child Loop BB6_310 Depth 4
	;; [unrolled: 1-line block ×9, first 2 shown]
                                        ;       Child Loop BB6_3132 Depth 3
                                        ;         Child Loop BB6_3138 Depth 4
                                        ;         Child Loop BB6_3166 Depth 4
	;; [unrolled: 1-line block ×3, first 2 shown]
                                        ;     Child Loop BB6_3207 Depth 2
                                        ;       Child Loop BB6_3215 Depth 3
                                        ;       Child Loop BB6_3243 Depth 3
	;; [unrolled: 1-line block ×5, first 2 shown]
                                        ;         Child Loop BB6_5151 Depth 4
                                        ;       Child Loop BB6_5227 Depth 3
                                        ;       Child Loop BB6_5997 Depth 3
                                        ;         Child Loop BB6_6018 Depth 4
                                        ;       Child Loop BB6_6037 Depth 3
                                        ;       Child Loop BB6_7578 Depth 3
	;; [unrolled: 1-line block ×6, first 2 shown]
                                        ;     Child Loop BB6_8812 Depth 2
                                        ;       Child Loop BB6_8818 Depth 3
                                        ;       Child Loop BB6_8846 Depth 3
	;; [unrolled: 1-line block ×3, first 2 shown]
                                        ;     Child Loop BB6_8887 Depth 2
                                        ;       Child Loop BB6_8890 Depth 3
                                        ;         Child Loop BB6_8898 Depth 4
                                        ;         Child Loop BB6_8926 Depth 4
	;; [unrolled: 1-line block ×5, first 2 shown]
                                        ;           Child Loop BB6_8978 Depth 5
                                        ;         Child Loop BB6_8987 Depth 4
                                        ;         Child Loop BB6_8992 Depth 4
                                        ;           Child Loop BB6_8993 Depth 5
                                        ;         Child Loop BB6_9005 Depth 4
                                        ;         Child Loop BB6_9010 Depth 4
	;; [unrolled: 1-line block ×6, first 2 shown]
                                        ;       Child Loop BB6_9071 Depth 3
                                        ;         Child Loop BB6_9077 Depth 4
                                        ;         Child Loop BB6_9105 Depth 4
	;; [unrolled: 1-line block ×3, first 2 shown]
                                        ;     Child Loop BB6_9149 Depth 2
                                        ;       Child Loop BB6_9157 Depth 3
                                        ;       Child Loop BB6_9181 Depth 3
	;; [unrolled: 1-line block ×9, first 2 shown]
                                        ;     Child Loop BB6_9289 Depth 2
                                        ;       Child Loop BB6_9295 Depth 3
                                        ;       Child Loop BB6_9319 Depth 3
	;; [unrolled: 1-line block ×3, first 2 shown]
	v_sub_co_u32 v8, vcc_lo, v8, v102
	v_sub_co_ci_u32_e64 v9, null, v9, v103, vcc_lo
	s_mov_b32 s17, exec_lo
	buffer_store_dword v8, off, s[0:3], s33 offset:208 ; 4-byte Folded Spill
	buffer_store_dword v9, off, s[0:3], s33 offset:212 ; 4-byte Folded Spill
	v_cmpx_lt_i64_e64 v[8:9], v[3:4]
	s_cbranch_execz .LBB6_53
; %bb.48:                               ;   in Loop: Header=BB6_47 Depth=1
	s_clause 0x1
	buffer_load_dword v3, off, s[0:3], s33 offset:208
	buffer_load_dword v4, off, s[0:3], s33 offset:212
                                        ; implicit-def: $vgpr8_vgpr9
	s_mov_b32 s16, exec_lo
	s_waitcnt vmcnt(1)
	v_add_co_u32 v1, vcc_lo, s40, v3
	s_waitcnt vmcnt(0)
	v_add_co_ci_u32_e64 v4, null, s41, v4, vcc_lo
	v_or_b32_e32 v3, s28, v4
	v_cmpx_ne_u64_e32 0, v[2:3]
	s_xor_b32 s22, exec_lo, s16
	s_cbranch_execz .LBB6_50
; %bb.49:                               ;   in Loop: Header=BB6_47 Depth=1
	s_add_u32 s18, s25, s20
	s_mov_b32 s21, s20
	s_addc_u32 s19, s28, s20
	v_ashrrev_i32_e32 v12, 31, v4
	s_xor_b64 s[18:19], s[18:19], s[20:21]
	v_cvt_f32_u32_e32 v3, s18
	v_cvt_f32_u32_e32 v5, s19
	s_sub_u32 s16, 0, s18
	s_subb_u32 s61, 0, s19
	v_add_co_u32 v1, vcc_lo, v1, v12
	v_fmac_f32_e32 v3, 0x4f800000, v5
	v_xor_b32_e32 v1, v1, v12
	v_rcp_f32_e32 v3, v3
	v_mul_f32_e32 v3, 0x5f7ffffc, v3
	v_mul_f32_e32 v5, 0x2f800000, v3
	v_trunc_f32_e32 v5, v5
	v_fmac_f32_e32 v3, 0xcf800000, v5
	v_cvt_u32_f32_e32 v5, v5
	v_cvt_u32_f32_e32 v3, v3
	v_readfirstlane_b32 s21, v5
	v_readfirstlane_b32 s23, v3
	s_mul_i32 s62, s16, s21
	v_add_co_ci_u32_e64 v3, null, v4, v12, vcc_lo
	s_mul_hi_u32 s72, s16, s23
	s_mul_i32 s63, s61, s23
	s_add_i32 s62, s72, s62
	s_mul_i32 s73, s16, s23
	s_add_i32 s62, s62, s63
	s_mul_hi_u32 s72, s23, s73
	s_mul_i32 s75, s23, s62
	s_mul_hi_u32 s74, s21, s73
	s_mul_i32 s63, s21, s73
	s_mul_hi_u32 s73, s23, s62
	s_add_u32 s72, s72, s75
	s_addc_u32 s73, 0, s73
	s_mul_hi_u32 s76, s21, s62
	s_add_u32 s63, s72, s63
	s_mul_i32 s62, s21, s62
	s_addc_u32 s63, s73, s74
	s_addc_u32 s72, s76, 0
	s_add_u32 s62, s63, s62
	s_addc_u32 s63, 0, s72
	s_add_u32 s23, s23, s62
	s_cselect_b32 s62, -1, 0
	s_mul_hi_u32 s72, s16, s23
	s_cmp_lg_u32 s62, 0
	s_mul_i32 s62, s16, s23
	s_addc_u32 s21, s21, s63
	s_mul_i32 s61, s61, s23
	s_mul_i32 s16, s16, s21
	s_mul_hi_u32 s63, s23, s62
	s_add_i32 s16, s72, s16
	s_mul_hi_u32 s72, s21, s62
	s_add_i32 s16, s16, s61
	s_mul_i32 s61, s21, s62
	s_mul_i32 s74, s23, s16
	s_mul_hi_u32 s73, s23, s16
	s_add_u32 s63, s63, s74
	s_addc_u32 s73, 0, s73
	s_mul_hi_u32 s62, s21, s16
	s_add_u32 s61, s63, s61
	s_mul_i32 s16, s21, s16
	s_addc_u32 s61, s73, s72
	s_addc_u32 s62, s62, 0
	s_add_u32 s16, s61, s16
	s_addc_u32 s61, 0, s62
	s_add_u32 s16, s23, s16
	s_cselect_b32 s23, -1, 0
	v_xor_b32_e32 v5, v3, v12
	s_cmp_lg_u32 s23, 0
	v_mul_hi_u32 v13, v1, s16
	s_addc_u32 s21, s21, s61
	v_mad_u64_u32 v[3:4], null, v1, s21, 0
	v_mad_u64_u32 v[8:9], null, v5, s16, 0
	;; [unrolled: 1-line block ×3, first 2 shown]
	v_add_co_u32 v3, vcc_lo, v13, v3
	v_add_co_ci_u32_e64 v4, null, 0, v4, vcc_lo
	v_add_co_u32 v3, vcc_lo, v3, v8
	v_add_co_ci_u32_e32 v3, vcc_lo, v4, v9, vcc_lo
	v_add_co_ci_u32_e32 v4, vcc_lo, 0, v11, vcc_lo
	v_add_co_u32 v8, vcc_lo, v3, v10
	v_add_co_ci_u32_e64 v9, null, 0, v4, vcc_lo
	v_mul_lo_u32 v10, s19, v8
	v_mad_u64_u32 v[3:4], null, s18, v8, 0
	v_mul_lo_u32 v11, s18, v9
	v_sub_co_u32 v1, vcc_lo, v1, v3
	v_add3_u32 v4, v4, v11, v10
	v_sub_nc_u32_e32 v10, v5, v4
	v_sub_co_ci_u32_e64 v4, null, v5, v4, vcc_lo
	v_subrev_co_ci_u32_e64 v3, null, s19, v10, vcc_lo
	v_add_co_u32 v10, s16, v8, 2
	v_add_co_ci_u32_e64 v11, null, 0, v9, s16
	v_sub_co_u32 v13, s16, v1, s18
	v_subrev_co_ci_u32_e64 v3, null, 0, v3, s16
	v_cmp_le_u32_e32 vcc_lo, s18, v13
	v_cndmask_b32_e64 v5, 0, -1, vcc_lo
	v_cmp_le_u32_e32 vcc_lo, s19, v3
	v_cndmask_b32_e64 v13, 0, -1, vcc_lo
	;; [unrolled: 2-line block ×4, first 2 shown]
	v_cmp_eq_u32_e32 vcc_lo, s19, v3
	v_cndmask_b32_e32 v3, v13, v5, vcc_lo
	v_add_co_u32 v5, vcc_lo, v8, 1
	v_add_co_ci_u32_e64 v13, null, 0, v9, vcc_lo
	v_cmp_eq_u32_e32 vcc_lo, s19, v4
	v_xor_b32_e32 v4, s20, v12
	v_cndmask_b32_e32 v1, v14, v1, vcc_lo
	v_cmp_ne_u32_e32 vcc_lo, 0, v3
	v_cmp_ne_u32_e64 s16, 0, v1
	v_cndmask_b32_e32 v1, v5, v10, vcc_lo
	v_cndmask_b32_e32 v3, v13, v11, vcc_lo
	v_cndmask_b32_e64 v1, v8, v1, s16
	v_cndmask_b32_e64 v3, v9, v3, s16
	v_xor_b32_e32 v1, v1, v4
	v_xor_b32_e32 v3, v3, v4
	v_sub_co_u32 v8, vcc_lo, v1, v4
	v_sub_co_ci_u32_e64 v9, null, v3, v4, vcc_lo
                                        ; implicit-def: $vgpr1
.LBB6_50:                               ;   in Loop: Header=BB6_47 Depth=1
	s_andn2_saveexec_b32 s16, s22
	s_cbranch_execz .LBB6_52
; %bb.51:                               ;   in Loop: Header=BB6_47 Depth=1
	v_cvt_f32_u32_e32 v3, s25
	v_mov_b32_e32 v9, v2
	v_rcp_iflag_f32_e32 v3, v3
	v_mul_f32_e32 v3, 0x4f7ffffe, v3
	v_cvt_u32_f32_e32 v3, v3
	v_mul_lo_u32 v4, s60, v3
	v_mul_hi_u32 v4, v3, v4
	v_add_nc_u32_e32 v3, v3, v4
	v_mul_hi_u32 v3, v1, v3
	v_mul_lo_u32 v4, v3, s25
	v_sub_nc_u32_e32 v1, v1, v4
	v_add_nc_u32_e32 v4, 1, v3
	v_subrev_nc_u32_e32 v5, s25, v1
	v_cmp_le_u32_e32 vcc_lo, s25, v1
	v_cndmask_b32_e32 v1, v1, v5, vcc_lo
	v_cndmask_b32_e32 v3, v3, v4, vcc_lo
	v_cmp_le_u32_e32 vcc_lo, s25, v1
	v_add_nc_u32_e32 v4, 1, v3
	v_cndmask_b32_e32 v8, v3, v4, vcc_lo
.LBB6_52:                               ;   in Loop: Header=BB6_47 Depth=1
	s_or_b32 exec_lo, exec_lo, s16
	v_add_co_u32 v1, vcc_lo, v8, 15
	v_add_co_ci_u32_e64 v4, null, 0, v9, vcc_lo
	v_and_b32_e32 v3, -16, v1
	buffer_store_dword v3, off, s[0:3], s33 offset:216 ; 4-byte Folded Spill
	buffer_store_dword v4, off, s[0:3], s33 offset:220 ; 4-byte Folded Spill
.LBB6_53:                               ;   in Loop: Header=BB6_47 Depth=1
	s_or_b32 exec_lo, exec_lo, s17
	s_clause 0x1
	buffer_load_dword v8, off, s[0:3], s33 offset:216
	buffer_load_dword v9, off, s[0:3], s33 offset:220
	s_waitcnt vmcnt(1)
	v_mul_lo_u32 v3, v8, s44
	s_waitcnt vmcnt(0)
	v_mul_lo_u32 v1, v9, s43
	v_mad_u64_u32 v[10:11], null, v8, s43, 0
	v_add3_u32 v11, v11, v3, v1
	s_clause 0x1
	buffer_load_dword v3, off, s[0:3], s33 offset:208
	buffer_load_dword v4, off, s[0:3], s33 offset:212
	s_waitcnt vmcnt(1)
	v_sub_co_u32 v3, vcc_lo, v3, v10
	s_waitcnt vmcnt(0)
	v_sub_co_ci_u32_e64 v4, null, v4, v11, vcc_lo
	v_cmp_lt_i64_e32 vcc_lo, v[8:9], v[3:4]
	v_cndmask_b32_e32 v4, v3, v8, vcc_lo
	s_clause 0x1
	buffer_load_dword v8, off, s[0:3], s33 offset:260
	buffer_load_dword v9, off, s[0:3], s33 offset:264
	v_max_i32_e32 v1, 0, v4
	v_add_nc_u32_e32 v3, 31, v1
	v_lshrrev_b32_e32 v3, 1, v3
	v_and_b32_e32 v5, 0x3ffffff0, v3
	s_waitcnt vmcnt(1)
	v_add_co_u32 v3, vcc_lo, v102, v8
	v_max_i32_e32 v8, s45, v5
	buffer_store_dword v3, off, s[0:3], s33 offset:192 ; 4-byte Folded Spill
	s_waitcnt vmcnt(0)
	v_add_co_ci_u32_e64 v3, null, v103, v9, vcc_lo
	v_cmp_lt_i32_e32 vcc_lo, 0, v4
	v_mov_b32_e32 v4, 0
	buffer_store_dword v3, off, s[0:3], s33 offset:196 ; 4-byte Folded Spill
	v_mov_b32_e32 v3, 0
	s_and_b32 s16, s57, vcc_lo
	s_and_saveexec_b32 s18, s16
	s_cbranch_execz .LBB6_195
; %bb.54:                               ;   in Loop: Header=BB6_47 Depth=1
	v_mov_b32_e32 v4, 0
	s_mov_b32 s22, 1
	s_mov_b32 s21, -1
	s_mov_b32 s19, 0
	s_branch .LBB6_57
.LBB6_55:                               ;   in Loop: Header=BB6_57 Depth=2
	s_or_b32 exec_lo, exec_lo, s17
	v_add_co_u32 v96, vcc_lo, v96, 2
	v_add_co_ci_u32_e64 v97, null, 0, v97, vcc_lo
	s_waitcnt vmcnt(0) lgkmcnt(0)
	s_waitcnt_vscnt null, 0x0
	flat_store_dwordx2 v[64:65], v[96:97]
.LBB6_56:                               ;   in Loop: Header=BB6_57 Depth=2
	s_or_b32 exec_lo, exec_lo, s16
	v_add_nc_u32_e32 v4, v8, v4
	s_xor_b32 s16, s21, -1
	v_mov_b32_e32 v3, s22
	s_mov_b32 s21, 0
	s_mov_b32 s22, 2
	v_cmp_ge_i32_e32 vcc_lo, v4, v1
	s_or_b32 s16, s16, vcc_lo
	s_and_b32 s16, exec_lo, s16
	s_or_b32 s19, s16, s19
	s_andn2_b32 exec_lo, exec_lo, s19
	s_cbranch_execz .LBB6_194
.LBB6_57:                               ;   Parent Loop BB6_47 Depth=1
                                        ; =>  This Loop Header: Depth=2
                                        ;       Child Loop BB6_65 Depth 3
                                        ;       Child Loop BB6_89 Depth 3
	;; [unrolled: 1-line block ×9, first 2 shown]
	s_and_saveexec_b32 s16, s4
	s_cbranch_execz .LBB6_59
; %bb.58:                               ;   in Loop: Header=BB6_57 Depth=2
	s_trap 2
	s_clause 0x1
	buffer_load_dword v3, off, s[0:3], s33 offset:192
	buffer_load_dword v5, off, s[0:3], s33 offset:196
	ds_read_b64 v[12:13], v0
	v_ashrrev_i32_e32 v9, 31, v4
	s_waitcnt vmcnt(1) lgkmcnt(0)
	v_add_co_u32 v3, vcc_lo, v12, v3
	s_waitcnt vmcnt(0)
	v_add_co_ci_u32_e64 v5, null, v13, v5, vcc_lo
	v_add_co_u32 v3, vcc_lo, v3, v10
	v_add_co_ci_u32_e64 v5, null, v5, v11, vcc_lo
	v_add_co_u32 v12, vcc_lo, v3, v4
	v_add_co_ci_u32_e64 v13, null, v5, v9, vcc_lo
	v_mov_b32_e32 v3, v2
	ds_write_b64 v0, v[12:13]
	ds_write_b64 v0, v[2:3]
.LBB6_59:                               ;   in Loop: Header=BB6_57 Depth=2
	s_or_b32 exec_lo, exec_lo, s16
	v_sub_nc_u32_e32 v3, v1, v4
	v_and_b32_e32 v5, 8, v44
	s_mov_b32 s17, exec_lo
	v_min_i32_e32 v8, v8, v3
	v_cmpx_ne_u32_e32 0, v5
	s_cbranch_execz .LBB6_81
; %bb.60:                               ;   in Loop: Header=BB6_57 Depth=2
	s_waitcnt vmcnt(0) lgkmcnt(1)
	v_add_co_u32 v14, vcc_lo, v80, 8
	v_add_co_ci_u32_e64 v15, null, 0, v81, vcc_lo
	v_add_co_u32 v12, vcc_lo, v96, 2
	v_add_co_ci_u32_e64 v13, null, 0, v97, vcc_lo
	s_mov_b32 s23, exec_lo
	v_cmpx_lt_u64_e64 v[14:15], v[12:13]
	s_cbranch_execz .LBB6_72
; %bb.61:                               ;   in Loop: Header=BB6_57 Depth=2
	v_and_b32_e32 v3, 64, v44
	s_mov_b32 s61, 0
	s_mov_b32 s73, 0
                                        ; implicit-def: $sgpr62
                                        ; implicit-def: $sgpr63
                                        ; implicit-def: $sgpr72
	v_cmp_eq_u32_e32 vcc_lo, 0, v3
	s_branch .LBB6_65
.LBB6_62:                               ;   in Loop: Header=BB6_65 Depth=3
	s_waitcnt vmcnt(0) lgkmcnt(0)
	v_add_co_u32 v14, s16, v80, 8
	v_add_co_ci_u32_e64 v15, null, 0, v81, s16
	s_or_b32 s76, s76, exec_lo
	v_cmp_ge_u64_e64 s16, v[14:15], v[12:13]
	s_orn2_b32 s75, s16, exec_lo
.LBB6_63:                               ;   in Loop: Header=BB6_65 Depth=3
	s_or_b32 exec_lo, exec_lo, s78
	s_andn2_b32 s16, s72, exec_lo
	s_and_b32 s72, s76, exec_lo
	s_andn2_b32 s63, s63, exec_lo
	s_and_b32 s75, s75, exec_lo
	s_or_b32 s72, s16, s72
	s_or_b32 s63, s63, s75
.LBB6_64:                               ;   in Loop: Header=BB6_65 Depth=3
	s_or_b32 exec_lo, exec_lo, s74
	s_and_b32 s16, exec_lo, s63
	s_or_b32 s61, s16, s61
	s_andn2_b32 s16, s62, exec_lo
	s_and_b32 s62, s72, exec_lo
	s_or_b32 s62, s16, s62
	s_andn2_b32 exec_lo, exec_lo, s61
	s_cbranch_execz .LBB6_69
.LBB6_65:                               ;   Parent Loop BB6_47 Depth=1
                                        ;     Parent Loop BB6_57 Depth=2
                                        ; =>    This Inner Loop Header: Depth=3
	s_sleep 1
	s_waitcnt vmcnt(0) lgkmcnt(0)
	flat_load_dwordx2 v[80:81], v[64:65] glc dlc
	s_or_b32 s72, s72, exec_lo
	s_or_b32 s63, s63, exec_lo
                                        ; implicit-def: $vgpr3
	s_and_saveexec_b32 s74, vcc_lo
	s_cbranch_execz .LBB6_64
; %bb.66:                               ;   in Loop: Header=BB6_65 Depth=3
	s_cmpk_lt_i32 s73, 0x270f
	s_mov_b32 s75, -1
	s_cselect_b32 s77, -1, 0
	s_cmpk_gt_i32 s73, 0x270e
	s_cbranch_scc0 .LBB6_68
; %bb.67:                               ;   in Loop: Header=BB6_65 Depth=3
	s_trap 2
	ds_read_b64 v[14:15], v0
	s_andn2_b32 s73, s77, exec_lo
	s_mov_b32 s76, 0
	s_waitcnt vmcnt(0) lgkmcnt(0)
	s_waitcnt_vscnt null, 0x0
	flat_load_dword v3, v[14:15] glc dlc
	s_waitcnt vmcnt(0) lgkmcnt(0)
	buffer_gl1_inv
	buffer_gl0_inv
	v_cmp_eq_u32_e64 s16, 0, v3
	s_and_b32 s16, s16, exec_lo
	s_or_b32 s77, s73, s16
	s_mov_b32 s73, 0
	s_and_saveexec_b32 s78, s77
	s_cbranch_execz .LBB6_63
	s_branch .LBB6_62
.LBB6_68:                               ;   in Loop: Header=BB6_65 Depth=3
	s_add_i32 s73, s73, 1
	s_mov_b32 s76, -1
                                        ; implicit-def: $vgpr3
	s_and_saveexec_b32 s78, s77
	s_cbranch_execz .LBB6_63
	s_branch .LBB6_62
.LBB6_69:                               ;   in Loop: Header=BB6_57 Depth=2
	s_or_b32 exec_lo, exec_lo, s61
	s_xor_b32 s16, s62, -1
	s_and_saveexec_b32 s61, s16
	s_xor_b32 s16, exec_lo, s61
	s_cbranch_execz .LBB6_71
; %bb.70:                               ;   in Loop: Header=BB6_57 Depth=2
	v_or_b32_e32 v44, 64, v44
	s_waitcnt vmcnt(0) lgkmcnt(0)
	s_waitcnt_vscnt null, 0x0
	ds_write_b32 v0, v3
	s_trap 2
.LBB6_71:                               ;   in Loop: Header=BB6_57 Depth=2
	s_or_b32 exec_lo, exec_lo, s16
.LBB6_72:                               ;   in Loop: Header=BB6_57 Depth=2
	s_or_b32 exec_lo, exec_lo, s23
	v_and_b32_e32 v3, 0x100, v44
	s_mov_b32 s16, -1
	;;#ASMSTART
	s_wakeup
	;;#ASMEND
                                        ; implicit-def: $vgpr14_vgpr15
	v_cmp_ne_u32_e32 vcc_lo, 0, v3
	v_and_b32_e32 v3, 7, v96
	s_and_saveexec_b32 s23, vcc_lo
	s_cbranch_execz .LBB6_76
; %bb.73:                               ;   in Loop: Header=BB6_57 Depth=2
	v_mad_u64_u32 v[16:17], null, v3, 24, v[6:7]
	v_ashrrev_i32_e32 v9, 31, v8
	s_mov_b32 s61, exec_lo
                                        ; implicit-def: $vgpr14_vgpr15
	flat_load_dword v5, v[16:17]
	flat_store_dwordx2 v[16:17], v[8:9] offset:8
	s_waitcnt vmcnt(0) lgkmcnt(1)
	v_cmp_ne_u32_e32 vcc_lo, 1, v5
	v_cmpx_eq_u32_e32 1, v5
	s_cbranch_execz .LBB6_75
; %bb.74:                               ;   in Loop: Header=BB6_57 Depth=2
	flat_load_dword v14, v[16:17] offset:4 glc dlc
	s_waitcnt vmcnt(0) lgkmcnt(0)
	v_ashrrev_i32_e32 v15, 31, v14
.LBB6_75:                               ;   in Loop: Header=BB6_57 Depth=2
	s_or_b32 exec_lo, exec_lo, s61
	s_orn2_b32 s16, vcc_lo, exec_lo
.LBB6_76:                               ;   in Loop: Header=BB6_57 Depth=2
	s_or_b32 exec_lo, exec_lo, s23
	s_and_saveexec_b32 s23, s16
; %bb.77:                               ;   in Loop: Header=BB6_57 Depth=2
	v_mad_i64_i32 v[14:15], null, v3, v45, 0
; %bb.78:                               ;   in Loop: Header=BB6_57 Depth=2
	s_or_b32 exec_lo, exec_lo, s23
	v_add_co_u32 v14, vcc_lo, v66, v14
	v_and_b32_e32 v3, 0x2000, v44
	v_add_co_ci_u32_e64 v15, null, v67, v15, vcc_lo
	s_mov_b32 s16, exec_lo
	ds_write_b64 v0, v[14:15] offset:784
	v_cmpx_ne_u32_e32 0, v3
	s_cbranch_execz .LBB6_80
; %bb.79:                               ;   in Loop: Header=BB6_57 Depth=2
	ds_read_b64 v[14:15], v0 offset:872
	s_waitcnt lgkmcnt(0)
	v_add_co_u32 v14, vcc_lo, v14, 1
	v_add_co_ci_u32_e64 v15, null, 0, v15, vcc_lo
	ds_write_b64 v0, v[14:15] offset:872
.LBB6_80:                               ;   in Loop: Header=BB6_57 Depth=2
	s_or_b32 exec_lo, exec_lo, s16
	v_mov_b32_e32 v97, v13
	v_mov_b32_e32 v96, v12
.LBB6_81:                               ;   in Loop: Header=BB6_57 Depth=2
	s_or_b32 exec_lo, exec_lo, s17
	s_and_saveexec_b32 s16, s6
	s_cbranch_execz .LBB6_100
; %bb.82:                               ;   in Loop: Header=BB6_57 Depth=2
	s_and_saveexec_b32 s17, s29
	s_xor_b32 s17, exec_lo, s17
	s_cbranch_execz .LBB6_97
; %bb.83:                               ;   in Loop: Header=BB6_57 Depth=2
	s_and_saveexec_b32 s23, s11
	s_cbranch_execz .LBB6_96
; %bb.84:                               ;   in Loop: Header=BB6_57 Depth=2
	s_mov_b32 s62, exec_lo
	s_mov_b32 s61, exec_lo
	v_mbcnt_lo_u32_b32 v3, s62, 0
	s_waitcnt vmcnt(0) lgkmcnt(0)
	s_waitcnt_vscnt null, 0x0
	buffer_gl1_inv
	buffer_gl0_inv
	v_cmpx_eq_u32_e32 0, v3
	s_cbranch_execz .LBB6_86
; %bb.85:                               ;   in Loop: Header=BB6_57 Depth=2
	s_bcnt1_i32_b32 s62, s62
	v_mov_b32_e32 v13, v2
	v_mov_b32_e32 v12, s62
	ds_add_u64 v0, v[12:13]
	s_trap 2
.LBB6_86:                               ;   in Loop: Header=BB6_57 Depth=2
	s_or_b32 exec_lo, exec_lo, s61
	s_trap 2
	ds_read_b64 v[12:13], v0
	s_waitcnt lgkmcnt(0)
	buffer_gl0_inv
	v_add_co_u32 v70, vcc_lo, v70, v47
	v_add_co_ci_u32_e64 v71, null, 0, v71, vcc_lo
	s_mov_b32 s61, exec_lo
	v_cmpx_lt_u64_e64 v[12:13], v[70:71]
	s_cbranch_execz .LBB6_95
; %bb.87:                               ;   in Loop: Header=BB6_57 Depth=2
	s_mov_b32 s62, 0
	s_mov_b32 s73, 0
                                        ; implicit-def: $sgpr63
                                        ; implicit-def: $sgpr72
	s_inst_prefetch 0x1
	s_branch .LBB6_89
	.p2align	6
.LBB6_88:                               ;   in Loop: Header=BB6_89 Depth=3
	s_or_b32 exec_lo, exec_lo, s75
	s_and_b32 s74, exec_lo, s76
	s_or_b32 s62, s74, s62
	s_andn2_b32 s63, s63, exec_lo
	s_and_b32 s74, s72, exec_lo
	s_or_b32 s63, s63, s74
	s_andn2_b32 exec_lo, exec_lo, s62
	s_cbranch_execz .LBB6_93
.LBB6_89:                               ;   Parent Loop BB6_47 Depth=1
                                        ;     Parent Loop BB6_57 Depth=2
                                        ; =>    This Inner Loop Header: Depth=3
	s_add_i32 s73, s73, 1
	s_cmpk_lg_i32 s73, 0x2710
	s_cselect_b32 s74, -1, 0
	s_and_b32 vcc_lo, exec_lo, s74
	s_cbranch_vccz .LBB6_91
; %bb.90:                               ;   in Loop: Header=BB6_89 Depth=3
	s_mov_b32 s76, -1
	s_or_b32 s72, s72, exec_lo
	s_and_saveexec_b32 s75, s74
	s_cbranch_execz .LBB6_88
	s_branch .LBB6_92
	.p2align	6
.LBB6_91:                               ;   in Loop: Header=BB6_89 Depth=3
	s_trap 2
	ds_read_b64 v[12:13], v0
	s_andn2_b32 s74, s74, exec_lo
	s_mov_b32 s73, 0
	s_waitcnt lgkmcnt(0)
	flat_load_dword v3, v[12:13] glc dlc
	s_waitcnt vmcnt(0) lgkmcnt(0)
	buffer_gl1_inv
	buffer_gl0_inv
	v_cmp_eq_u32_e32 vcc_lo, 0, v3
	s_and_b32 s75, vcc_lo, exec_lo
	s_or_b32 s74, s74, s75
	s_mov_b32 s76, -1
	s_or_b32 s72, s72, exec_lo
	s_and_saveexec_b32 s75, s74
	s_cbranch_execz .LBB6_88
.LBB6_92:                               ;   in Loop: Header=BB6_89 Depth=3
	s_sleep 1
	s_trap 2
	ds_read_b64 v[12:13], v0
	s_waitcnt lgkmcnt(0)
	buffer_gl0_inv
	s_andn2_b32 s72, s72, exec_lo
	v_cmp_ge_u64_e32 vcc_lo, v[12:13], v[70:71]
	s_orn2_b32 s76, vcc_lo, exec_lo
	s_branch .LBB6_88
.LBB6_93:                               ;   in Loop: Header=BB6_57 Depth=2
	s_inst_prefetch 0x2
	s_or_b32 exec_lo, exec_lo, s62
	s_and_saveexec_b32 s62, s63
	s_xor_b32 s62, exec_lo, s62
	s_cbranch_execz .LBB6_95
; %bb.94:                               ;   in Loop: Header=BB6_57 Depth=2
	ds_write_b32 v0, v57
	s_trap 2
.LBB6_95:                               ;   in Loop: Header=BB6_57 Depth=2
	s_or_b32 exec_lo, exec_lo, s61
	;;#ASMSTART
	s_wakeup
	;;#ASMEND
.LBB6_96:                               ;   in Loop: Header=BB6_57 Depth=2
	s_or_b32 exec_lo, exec_lo, s23
.LBB6_97:                               ;   in Loop: Header=BB6_57 Depth=2
	s_andn2_saveexec_b32 s17, s17
	s_cbranch_execz .LBB6_99
; %bb.98:                               ;   in Loop: Header=BB6_57 Depth=2
	s_waitcnt vmcnt(0) lgkmcnt(0)
	s_waitcnt_vscnt null, 0x0
	buffer_gl1_inv
	buffer_gl0_inv
	s_barrier
.LBB6_99:                               ;   in Loop: Header=BB6_57 Depth=2
	s_or_b32 exec_lo, exec_lo, s17
.LBB6_100:                              ;   in Loop: Header=BB6_57 Depth=2
	s_or_b32 exec_lo, exec_lo, s16
	s_trap 2
	ds_read_b32 v3, v0
	v_and_b32_e32 v5, 0x4000, v44
	s_xor_b32 s16, s5, -1
	v_cmp_ne_u32_e32 vcc_lo, 0, v5
	s_and_b32 s17, s16, vcc_lo
	s_and_saveexec_b32 s16, s17
	s_cbranch_execz .LBB6_119
; %bb.101:                              ;   in Loop: Header=BB6_57 Depth=2
	s_and_saveexec_b32 s17, s29
	s_xor_b32 s17, exec_lo, s17
	s_cbranch_execz .LBB6_116
; %bb.102:                              ;   in Loop: Header=BB6_57 Depth=2
	s_and_saveexec_b32 s23, s11
	s_cbranch_execz .LBB6_115
; %bb.103:                              ;   in Loop: Header=BB6_57 Depth=2
	s_mov_b32 s62, exec_lo
	s_mov_b32 s61, exec_lo
	v_mbcnt_lo_u32_b32 v5, s62, 0
	s_waitcnt vmcnt(0) lgkmcnt(0)
	s_waitcnt_vscnt null, 0x0
	buffer_gl1_inv
	buffer_gl0_inv
	v_cmpx_eq_u32_e32 0, v5
	s_cbranch_execz .LBB6_105
; %bb.104:                              ;   in Loop: Header=BB6_57 Depth=2
	s_bcnt1_i32_b32 s62, s62
	v_mov_b32_e32 v13, v2
	v_mov_b32_e32 v12, s62
	ds_add_u64 v0, v[12:13]
	s_trap 2
.LBB6_105:                              ;   in Loop: Header=BB6_57 Depth=2
	s_or_b32 exec_lo, exec_lo, s61
	s_trap 2
	ds_read_b64 v[12:13], v0
	s_waitcnt lgkmcnt(0)
	buffer_gl0_inv
	v_add_co_u32 v70, vcc_lo, v70, v47
	v_add_co_ci_u32_e64 v71, null, 0, v71, vcc_lo
	s_mov_b32 s61, exec_lo
	v_cmpx_lt_u64_e64 v[12:13], v[70:71]
	s_cbranch_execz .LBB6_114
; %bb.106:                              ;   in Loop: Header=BB6_57 Depth=2
	s_mov_b32 s62, 0
	s_mov_b32 s73, 0
                                        ; implicit-def: $sgpr63
                                        ; implicit-def: $sgpr72
	s_inst_prefetch 0x1
	s_branch .LBB6_108
	.p2align	6
.LBB6_107:                              ;   in Loop: Header=BB6_108 Depth=3
	s_or_b32 exec_lo, exec_lo, s75
	s_and_b32 s74, exec_lo, s76
	s_or_b32 s62, s74, s62
	s_andn2_b32 s63, s63, exec_lo
	s_and_b32 s74, s72, exec_lo
	s_or_b32 s63, s63, s74
	s_andn2_b32 exec_lo, exec_lo, s62
	s_cbranch_execz .LBB6_112
.LBB6_108:                              ;   Parent Loop BB6_47 Depth=1
                                        ;     Parent Loop BB6_57 Depth=2
                                        ; =>    This Inner Loop Header: Depth=3
	s_add_i32 s73, s73, 1
	s_cmpk_lg_i32 s73, 0x2710
	s_cselect_b32 s74, -1, 0
	s_and_b32 vcc_lo, exec_lo, s74
	s_cbranch_vccz .LBB6_110
; %bb.109:                              ;   in Loop: Header=BB6_108 Depth=3
	s_mov_b32 s76, -1
	s_or_b32 s72, s72, exec_lo
	s_and_saveexec_b32 s75, s74
	s_cbranch_execz .LBB6_107
	s_branch .LBB6_111
	.p2align	6
.LBB6_110:                              ;   in Loop: Header=BB6_108 Depth=3
	s_trap 2
	ds_read_b64 v[12:13], v0
	s_andn2_b32 s74, s74, exec_lo
	s_mov_b32 s73, 0
	s_waitcnt lgkmcnt(0)
	flat_load_dword v5, v[12:13] glc dlc
	s_waitcnt vmcnt(0) lgkmcnt(0)
	buffer_gl1_inv
	buffer_gl0_inv
	v_cmp_eq_u32_e32 vcc_lo, 0, v5
	s_and_b32 s75, vcc_lo, exec_lo
	s_or_b32 s74, s74, s75
	s_mov_b32 s76, -1
	s_or_b32 s72, s72, exec_lo
	s_and_saveexec_b32 s75, s74
	s_cbranch_execz .LBB6_107
.LBB6_111:                              ;   in Loop: Header=BB6_108 Depth=3
	s_sleep 1
	s_trap 2
	ds_read_b64 v[12:13], v0
	s_waitcnt lgkmcnt(0)
	buffer_gl0_inv
	s_andn2_b32 s72, s72, exec_lo
	v_cmp_ge_u64_e32 vcc_lo, v[12:13], v[70:71]
	s_orn2_b32 s76, vcc_lo, exec_lo
	s_branch .LBB6_107
.LBB6_112:                              ;   in Loop: Header=BB6_57 Depth=2
	s_inst_prefetch 0x2
	s_or_b32 exec_lo, exec_lo, s62
	s_and_saveexec_b32 s62, s63
	s_xor_b32 s62, exec_lo, s62
	s_cbranch_execz .LBB6_114
; %bb.113:                              ;   in Loop: Header=BB6_57 Depth=2
	ds_write_b32 v0, v57
	s_trap 2
.LBB6_114:                              ;   in Loop: Header=BB6_57 Depth=2
	s_or_b32 exec_lo, exec_lo, s61
	;;#ASMSTART
	s_wakeup
	;;#ASMEND
.LBB6_115:                              ;   in Loop: Header=BB6_57 Depth=2
	s_or_b32 exec_lo, exec_lo, s23
.LBB6_116:                              ;   in Loop: Header=BB6_57 Depth=2
	s_andn2_saveexec_b32 s17, s17
	s_cbranch_execz .LBB6_118
; %bb.117:                              ;   in Loop: Header=BB6_57 Depth=2
	s_waitcnt vmcnt(0) lgkmcnt(0)
	s_waitcnt_vscnt null, 0x0
	buffer_gl1_inv
	buffer_gl0_inv
	s_barrier
.LBB6_118:                              ;   in Loop: Header=BB6_57 Depth=2
	s_or_b32 exec_lo, exec_lo, s17
.LBB6_119:                              ;   in Loop: Header=BB6_57 Depth=2
	s_or_b32 exec_lo, exec_lo, s16
	s_trap 2
	ds_read_b64 v[12:13], v0
	s_waitcnt lgkmcnt(0)
	v_cmp_eq_u64_e32 vcc_lo, 0, v[12:13]
	s_cbranch_vccnz .LBB6_127
; %bb.120:                              ;   in Loop: Header=BB6_57 Depth=2
	s_trap 2
	ds_read_b64 v[14:15], v0
	s_waitcnt lgkmcnt(0)
	v_cmp_eq_u64_e32 vcc_lo, 0, v[14:15]
	s_cbranch_vccnz .LBB6_127
; %bb.121:                              ;   in Loop: Header=BB6_57 Depth=2
	s_mov_b32 s16, -1
	s_and_saveexec_b32 s17, s12
	s_cbranch_execz .LBB6_123
; %bb.122:                              ;   in Loop: Header=BB6_57 Depth=2
	ds_read_b32 v5, v0 offset:720
	s_waitcnt lgkmcnt(0)
	v_and_b32_e32 v5, 15, v5
	v_cmp_eq_u32_e32 vcc_lo, 0, v5
	s_orn2_b32 s16, vcc_lo, exec_lo
.LBB6_123:                              ;   in Loop: Header=BB6_57 Depth=2
	s_or_b32 exec_lo, exec_lo, s17
	s_and_saveexec_b32 s17, s14
	s_cbranch_execz .LBB6_125
; %bb.124:                              ;   in Loop: Header=BB6_57 Depth=2
	ds_read_b32 v5, v0 offset:784
	s_waitcnt lgkmcnt(0)
	v_and_b32_e32 v5, 15, v5
	v_cmp_eq_u32_e32 vcc_lo, 0, v5
	s_and_b32 s23, s16, vcc_lo
	s_andn2_b32 s16, s16, exec_lo
	s_and_b32 s23, s23, exec_lo
	s_or_b32 s16, s16, s23
.LBB6_125:                              ;   in Loop: Header=BB6_57 Depth=2
	s_or_b32 exec_lo, exec_lo, s17
	v_cmp_eq_u32_e32 vcc_lo, 0, v3
	s_xor_b32 s16, s16, -1
	v_mov_b32_e32 v16, v0
	v_cndmask_b32_e64 v5, 0, 1, s16
	v_mov_b32_e32 v22, v89
	v_cndmask_b32_e32 v3, 0, v8, vcc_lo
	s_mov_b32 s16, -1
	v_cmp_ne_u32_e32 vcc_lo, 0, v5
	v_mov_b32_e32 v5, 0
	v_mov_b32_e32 v9, v3
	s_cbranch_vccz .LBB6_132
; %bb.126:                              ;   in Loop: Header=BB6_57 Depth=2
	s_and_saveexec_b32 s17, s16
	s_cbranch_execnz .LBB6_145
	s_branch .LBB6_153
.LBB6_127:                              ;   in Loop: Header=BB6_57 Depth=2
	s_mov_b32 s16, 0
	s_and_saveexec_b32 s17, s6
	s_cbranch_execnz .LBB6_154
.LBB6_128:                              ;   in Loop: Header=BB6_57 Depth=2
	s_or_b32 exec_lo, exec_lo, s17
                                        ; implicit-def: $vgpr3
	s_and_saveexec_b32 s17, s13
	s_xor_b32 s17, exec_lo, s17
	s_cbranch_execz .LBB6_172
.LBB6_129:                              ;   in Loop: Header=BB6_57 Depth=2
	v_and_b32_e32 v3, 16, v44
	v_cmp_ne_u32_e32 vcc_lo, 0, v3
	v_and_b32_e32 v3, 16, v44
	s_and_b32 s23, vcc_lo, s16
	s_and_saveexec_b32 s16, s23
	s_cbranch_execz .LBB6_131
; %bb.130:                              ;   in Loop: Header=BB6_57 Depth=2
	v_mov_b32_e32 v3, 1
	s_waitcnt vmcnt(0) lgkmcnt(0)
	s_waitcnt_vscnt null, 0x0
	buffer_gl1_inv
	buffer_gl0_inv
.LBB6_131:                              ;   in Loop: Header=BB6_57 Depth=2
	s_or_b32 exec_lo, exec_lo, s16
	s_andn2_saveexec_b32 s16, s17
	s_cbranch_execz .LBB6_191
	s_branch .LBB6_173
.LBB6_132:                              ;   in Loop: Header=BB6_57 Depth=2
	v_ashrrev_i32_e32 v5, 31, v3
	s_mov_b32 s17, exec_lo
	v_lshrrev_b32_e32 v5, 20, v5
	v_add_nc_u32_e32 v5, v3, v5
	v_ashrrev_i32_e32 v5, 12, v5
	v_sub_nc_u32_e32 v20, v5, v89
	v_cmpx_lt_i32_e32 0, v20
	s_cbranch_execz .LBB6_136
; %bb.133:                              ;   in Loop: Header=BB6_57 Depth=2
	v_mov_b32_e32 v17, v15
	v_mov_b32_e32 v19, v13
	;; [unrolled: 1-line block ×4, first 2 shown]
	s_mov_b32 s23, 0
.LBB6_134:                              ;   Parent Loop BB6_47 Depth=1
                                        ;     Parent Loop BB6_57 Depth=2
                                        ; =>    This Inner Loop Header: Depth=3
	v_add_co_u32 v33, vcc_lo, v94, v18
	v_add_co_ci_u32_e64 v34, null, v106, v19, vcc_lo
	v_sub_nc_u32_e32 v20, v20, v47
	v_add_co_u32 v37, vcc_lo, 0x800, v33
	v_add_co_ci_u32_e64 v38, null, 0, v34, vcc_lo
	s_clause 0x3
	global_load_dwordx4 v[21:24], v[33:34], off slc
	global_load_dwordx4 v[25:28], v[33:34], off offset:512 slc
	global_load_dwordx4 v[29:32], v[33:34], off offset:1024 slc
	global_load_dwordx4 v[33:36], v[33:34], off offset:1536 slc
	s_clause 0x3
	global_load_dwordx4 v[48:51], v[37:38], off slc
	global_load_dwordx4 v[52:55], v[37:38], off offset:512 slc
	global_load_dwordx4 v[82:85], v[37:38], off offset:1024 slc
	;; [unrolled: 1-line block ×3, first 2 shown]
	v_add_co_u32 v37, vcc_lo, v94, v16
	v_add_co_ci_u32_e64 v38, null, v106, v17, vcc_lo
	v_add_co_u32 v18, vcc_lo, v18, v74
	v_add_co_ci_u32_e64 v19, null, 0, v19, vcc_lo
	;; [unrolled: 2-line block ×3, first 2 shown]
	v_cmp_gt_i32_e32 vcc_lo, 1, v20
	v_add_co_u32 v86, s16, 0x800, v37
	v_add_co_ci_u32_e64 v87, null, 0, v38, s16
	s_or_b32 s23, vcc_lo, s23
	s_waitcnt vmcnt(7)
	global_store_dwordx4 v[37:38], v[21:24], off glc slc
	s_waitcnt vmcnt(6)
	global_store_dwordx4 v[37:38], v[25:28], off offset:512 glc slc
	s_waitcnt vmcnt(5)
	global_store_dwordx4 v[37:38], v[29:32], off offset:1024 glc slc
	;; [unrolled: 2-line block ×3, first 2 shown]
	s_waitcnt vmcnt(3)
	global_store_dwordx4 v[86:87], v[48:51], off glc slc
	s_waitcnt vmcnt(2)
	global_store_dwordx4 v[86:87], v[52:55], off offset:512 glc slc
	s_waitcnt vmcnt(1)
	global_store_dwordx4 v[86:87], v[82:85], off offset:1024 glc slc
	;; [unrolled: 2-line block ×3, first 2 shown]
	s_andn2_b32 exec_lo, exec_lo, s23
	s_cbranch_execnz .LBB6_134
; %bb.135:                              ;   in Loop: Header=BB6_57 Depth=2
	s_or_b32 exec_lo, exec_lo, s23
.LBB6_136:                              ;   in Loop: Header=BB6_57 Depth=2
	s_or_b32 exec_lo, exec_lo, s17
	v_lshlrev_b32_e32 v17, 12, v5
	v_mov_b32_e32 v5, 0
	s_mov_b32 s16, 0
	s_mov_b32 s23, exec_lo
                                        ; implicit-def: $vgpr9
                                        ; implicit-def: $vgpr16
                                        ; implicit-def: $vgpr22
	v_cmpx_ne_u32_e64 v3, v17
	s_cbranch_execz .LBB6_144
; %bb.137:                              ;   in Loop: Header=BB6_57 Depth=2
	buffer_load_dword v9, off, s[0:3], s33 offset:200 ; 4-byte Folded Reload
	v_lshlrev_b32_e32 v5, 5, v20
	v_sub_nc_u32_e32 v16, v3, v17
	s_mov_b32 s61, exec_lo
	v_ashrrev_i32_e32 v18, 31, v16
	v_lshrrev_b32_e32 v18, 23, v18
	v_add_nc_u32_e32 v21, v16, v18
	v_and_b32_e32 v18, 0xfffffe00, v21
	v_ashrrev_i32_e32 v21, 9, v21
	v_sub_nc_u32_e32 v20, v16, v18
	v_cmp_lt_i32_e32 vcc_lo, 15, v20
	v_add_co_ci_u32_e64 v21, null, 0, v21, vcc_lo
	s_waitcnt vmcnt(0)
	v_sub_nc_u32_e32 v5, v9, v5
	v_ashrrev_i32_e32 v9, 31, v5
	v_lshrrev_b32_e32 v9, 27, v9
	v_add_nc_u32_e32 v9, v5, v9
	v_and_b32_e32 v19, 0xffffffe0, v9
	v_ashrrev_i32_e32 v22, 5, v9
	v_sub_nc_u32_e32 v19, v5, v19
	v_sub_nc_u32_e32 v21, v21, v22
	v_lshlrev_b32_e32 v5, 4, v19
	v_lshl_add_u32 v9, v22, 9, v5
	v_sub_nc_u32_e32 v5, v16, v9
	v_cmpx_lt_i32_e32 15, v5
	s_cbranch_execz .LBB6_141
; %bb.138:                              ;   in Loop: Header=BB6_57 Depth=2
	v_add_nc_u32_e32 v9, v9, v17
	s_mov_b32 s62, 0
	v_ashrrev_i32_e32 v16, 31, v9
	.p2align	6
.LBB6_139:                              ;   Parent Loop BB6_47 Depth=1
                                        ;     Parent Loop BB6_57 Depth=2
                                        ; =>    This Inner Loop Header: Depth=3
	v_add_co_u32 v22, s16, v12, v9
	v_add_co_ci_u32_e64 v23, null, v13, v16, s16
	v_sub_nc_u32_e32 v5, v5, v75
	v_add_co_u32 v26, s16, v14, v9
	global_load_dwordx4 v[22:25], v[22:23], off slc
	v_add_co_ci_u32_e64 v27, null, v15, v16, s16
	v_cmp_gt_i32_e64 s16, 16, v5
	v_add_co_u32 v9, s17, v9, v75
	v_sub_nc_u32_e32 v21, v21, v47
	v_add_co_ci_u32_e64 v16, null, 0, v16, s17
	s_or_b32 s62, s16, s62
	s_waitcnt vmcnt(0)
	global_store_dwordx4 v[26:27], v[22:25], off glc slc
	s_andn2_b32 exec_lo, exec_lo, s62
	s_cbranch_execnz .LBB6_139
; %bb.140:                              ;   in Loop: Header=BB6_57 Depth=2
	s_or_b32 exec_lo, exec_lo, s62
.LBB6_141:                              ;   in Loop: Header=BB6_57 Depth=2
	s_or_b32 exec_lo, exec_lo, s61
	v_and_b32_e32 v23, 15, v3
	v_mov_b32_e32 v5, 0
	s_mov_b32 s17, 0
	s_mov_b32 s61, exec_lo
                                        ; implicit-def: $vgpr16
                                        ; implicit-def: $vgpr22
	v_cndmask_b32_e32 v9, v20, v23, vcc_lo
	v_cmpx_ne_u32_e32 0, v9
	s_cbranch_execz .LBB6_143
; %bb.142:                              ;   in Loop: Header=BB6_57 Depth=2
	v_cmp_lt_i32_e64 s16, 0, v21
	s_mov_b32 s17, exec_lo
	v_cndmask_b32_e64 v5, 0, v47, s16
	v_sub_nc_u32_e32 v5, v5, v21
	v_lshl_add_u32 v16, v5, 5, v19
	v_sub_nc_u32_e32 v19, v20, v23
	v_ashrrev_i32_e32 v5, 31, v16
	v_cndmask_b32_e32 v19, 0, v19, vcc_lo
	v_lshrrev_b32_e32 v5, 27, v5
	v_add_nc_u32_e32 v20, v16, v5
	v_add3_u32 v5, v18, v17, v19
	v_ashrrev_i32_e32 v22, 5, v20
.LBB6_143:                              ;   in Loop: Header=BB6_57 Depth=2
	s_or_b32 exec_lo, exec_lo, s61
	s_and_b32 s16, s17, exec_lo
.LBB6_144:                              ;   in Loop: Header=BB6_57 Depth=2
	s_or_b32 exec_lo, exec_lo, s23
	s_and_saveexec_b32 s17, s16
	s_cbranch_execz .LBB6_153
.LBB6_145:                              ;   in Loop: Header=BB6_57 Depth=2
	v_ashrrev_i32_e32 v17, 31, v9
	v_ashrrev_i32_e32 v18, 31, v16
	s_mov_b32 s16, exec_lo
	v_lshrrev_b32_e32 v17, 22, v17
	v_lshrrev_b32_e32 v18, 27, v18
	v_add_nc_u32_e32 v17, v9, v17
	v_ashrrev_i32_e32 v19, 10, v17
	v_sub_nc_u32_e32 v17, v19, v22
	v_cmpx_lt_i32_e32 0, v17
	s_cbranch_execz .LBB6_149
; %bb.146:                              ;   in Loop: Header=BB6_57 Depth=2
	v_add_nc_u32_e32 v20, v16, v18
	v_lshlrev_b32_e32 v21, 10, v22
	s_mov_b32 s23, 0
	v_and_b32_e32 v20, 0xffffffe0, v20
	v_sub_nc_u32_e32 v20, v16, v20
	v_add3_u32 v20, v5, v20, v21
	v_ashrrev_i32_e32 v21, 31, v20
.LBB6_147:                              ;   Parent Loop BB6_47 Depth=1
                                        ;     Parent Loop BB6_57 Depth=2
                                        ; =>    This Inner Loop Header: Depth=3
	v_add_co_u32 v22, vcc_lo, v20, v12
	v_add_co_ci_u32_e64 v23, null, v21, v13, vcc_lo
	v_sub_nc_u32_e32 v17, v17, v47
	s_clause 0x1f
	flat_load_ubyte v24, v[22:23] slc
	flat_load_ubyte v25, v[22:23] offset:32 slc
	flat_load_ubyte v26, v[22:23] offset:64 slc
	;; [unrolled: 1-line block ×31, first 2 shown]
	v_add_co_u32 v22, vcc_lo, v20, v14
	v_add_co_ci_u32_e64 v23, null, v21, v15, vcc_lo
	v_add_co_u32 v12, vcc_lo, v12, v76
	v_add_co_ci_u32_e64 v13, null, 0, v13, vcc_lo
	;; [unrolled: 2-line block ×3, first 2 shown]
	v_cmp_gt_i32_e32 vcc_lo, 1, v17
	s_waitcnt vmcnt(31) lgkmcnt(31)
	flat_store_byte v[22:23], v24 glc slc
	s_waitcnt vmcnt(30) lgkmcnt(31)
	flat_store_byte v[22:23], v25 offset:32 glc slc
	s_waitcnt vmcnt(29) lgkmcnt(31)
	flat_store_byte v[22:23], v26 offset:64 glc slc
	;; [unrolled: 2-line block ×31, first 2 shown]
	s_or_b32 s23, vcc_lo, s23
	s_andn2_b32 exec_lo, exec_lo, s23
	s_cbranch_execnz .LBB6_147
; %bb.148:                              ;   in Loop: Header=BB6_57 Depth=2
	s_or_b32 exec_lo, exec_lo, s23
.LBB6_149:                              ;   in Loop: Header=BB6_57 Depth=2
	s_or_b32 exec_lo, exec_lo, s16
	v_lshlrev_b32_e32 v12, 10, v19
	v_cmp_ne_u32_e32 vcc_lo, v9, v12
	s_and_b32 exec_lo, exec_lo, vcc_lo
	s_cbranch_execz .LBB6_153
; %bb.150:                              ;   in Loop: Header=BB6_57 Depth=2
	v_add_nc_u32_e32 v13, v16, v18
	v_lshlrev_b32_e32 v14, 5, v17
	v_and_b32_e32 v13, 0xffffffe0, v13
	v_sub_nc_u32_e32 v13, v16, v13
	v_sub_nc_u32_e32 v13, v13, v14
	v_add_nc_u32_e32 v14, v12, v13
	v_sub_nc_u32_e32 v9, v9, v14
	v_cmp_lt_i32_e32 vcc_lo, 0, v9
	s_and_b32 exec_lo, exec_lo, vcc_lo
	s_cbranch_execz .LBB6_153
; %bb.151:                              ;   in Loop: Header=BB6_57 Depth=2
	s_trap 2
	ds_read_b64 v[12:13], v0
	v_add_nc_u32_e32 v5, v14, v5
	s_mov_b32 s23, 0
	v_ashrrev_i32_e32 v14, 31, v5
	.p2align	6
.LBB6_152:                              ;   Parent Loop BB6_47 Depth=1
                                        ;     Parent Loop BB6_57 Depth=2
                                        ; =>    This Inner Loop Header: Depth=3
	s_waitcnt lgkmcnt(0)
	v_add_co_u32 v15, vcc_lo, v12, v5
	v_add_co_ci_u32_e64 v16, null, v13, v14, vcc_lo
	v_sub_nc_u32_e32 v9, v9, v56
	v_add_co_u32 v5, s16, v5, v56
	flat_load_ubyte v17, v[15:16] slc
	v_add_co_ci_u32_e64 v14, null, 0, v14, s16
	v_cmp_gt_i32_e32 vcc_lo, 1, v9
	s_or_b32 s23, vcc_lo, s23
	s_waitcnt vmcnt(0) lgkmcnt(0)
	flat_store_byte v[15:16], v17 glc slc
	s_andn2_b32 exec_lo, exec_lo, s23
	s_cbranch_execnz .LBB6_152
.LBB6_153:                              ;   in Loop: Header=BB6_57 Depth=2
	s_or_b32 exec_lo, exec_lo, s17
	v_cmp_lt_i32_e64 s16, 0, v3
	s_and_saveexec_b32 s17, s6
	s_cbranch_execz .LBB6_128
.LBB6_154:                              ;   in Loop: Header=BB6_57 Depth=2
	s_and_saveexec_b32 s23, s29
	s_xor_b32 s23, exec_lo, s23
	s_cbranch_execz .LBB6_169
; %bb.155:                              ;   in Loop: Header=BB6_57 Depth=2
	s_and_saveexec_b32 s61, s11
	s_cbranch_execz .LBB6_168
; %bb.156:                              ;   in Loop: Header=BB6_57 Depth=2
	s_mov_b32 s63, exec_lo
	s_mov_b32 s62, exec_lo
	v_mbcnt_lo_u32_b32 v3, s63, 0
	s_waitcnt vmcnt(0) lgkmcnt(0)
	s_waitcnt_vscnt null, 0x0
	buffer_gl1_inv
	buffer_gl0_inv
	v_cmpx_eq_u32_e32 0, v3
	s_cbranch_execz .LBB6_158
; %bb.157:                              ;   in Loop: Header=BB6_57 Depth=2
	s_bcnt1_i32_b32 s63, s63
	v_mov_b32_e32 v13, v2
	v_mov_b32_e32 v12, s63
	ds_add_u64 v0, v[12:13]
	s_trap 2
.LBB6_158:                              ;   in Loop: Header=BB6_57 Depth=2
	s_or_b32 exec_lo, exec_lo, s62
	s_trap 2
	ds_read_b64 v[12:13], v0
	s_waitcnt lgkmcnt(0)
	buffer_gl0_inv
	v_add_co_u32 v70, vcc_lo, v70, v47
	v_add_co_ci_u32_e64 v71, null, 0, v71, vcc_lo
	s_mov_b32 s62, exec_lo
	v_cmpx_lt_u64_e64 v[12:13], v[70:71]
	s_cbranch_execz .LBB6_167
; %bb.159:                              ;   in Loop: Header=BB6_57 Depth=2
	s_mov_b32 s63, 0
	s_mov_b32 s74, 0
                                        ; implicit-def: $sgpr72
                                        ; implicit-def: $sgpr73
	s_inst_prefetch 0x1
	s_branch .LBB6_161
	.p2align	6
.LBB6_160:                              ;   in Loop: Header=BB6_161 Depth=3
	s_or_b32 exec_lo, exec_lo, s76
	s_and_b32 s75, exec_lo, s77
	s_or_b32 s63, s75, s63
	s_andn2_b32 s72, s72, exec_lo
	s_and_b32 s75, s73, exec_lo
	s_or_b32 s72, s72, s75
	s_andn2_b32 exec_lo, exec_lo, s63
	s_cbranch_execz .LBB6_165
.LBB6_161:                              ;   Parent Loop BB6_47 Depth=1
                                        ;     Parent Loop BB6_57 Depth=2
                                        ; =>    This Inner Loop Header: Depth=3
	s_add_i32 s74, s74, 1
	s_cmpk_lg_i32 s74, 0x2710
	s_cselect_b32 s75, -1, 0
	s_and_b32 vcc_lo, exec_lo, s75
	s_cbranch_vccz .LBB6_163
; %bb.162:                              ;   in Loop: Header=BB6_161 Depth=3
	s_mov_b32 s77, -1
	s_or_b32 s73, s73, exec_lo
	s_and_saveexec_b32 s76, s75
	s_cbranch_execz .LBB6_160
	s_branch .LBB6_164
	.p2align	6
.LBB6_163:                              ;   in Loop: Header=BB6_161 Depth=3
	s_trap 2
	ds_read_b64 v[12:13], v0
	s_andn2_b32 s75, s75, exec_lo
	s_mov_b32 s74, 0
	s_waitcnt lgkmcnt(0)
	flat_load_dword v3, v[12:13] glc dlc
	s_waitcnt vmcnt(0) lgkmcnt(0)
	buffer_gl1_inv
	buffer_gl0_inv
	v_cmp_eq_u32_e32 vcc_lo, 0, v3
	s_and_b32 s76, vcc_lo, exec_lo
	s_or_b32 s75, s75, s76
	s_mov_b32 s77, -1
	s_or_b32 s73, s73, exec_lo
	s_and_saveexec_b32 s76, s75
	s_cbranch_execz .LBB6_160
.LBB6_164:                              ;   in Loop: Header=BB6_161 Depth=3
	s_sleep 1
	s_trap 2
	ds_read_b64 v[12:13], v0
	s_waitcnt lgkmcnt(0)
	buffer_gl0_inv
	s_andn2_b32 s73, s73, exec_lo
	v_cmp_ge_u64_e32 vcc_lo, v[12:13], v[70:71]
	s_orn2_b32 s77, vcc_lo, exec_lo
	s_branch .LBB6_160
.LBB6_165:                              ;   in Loop: Header=BB6_57 Depth=2
	s_inst_prefetch 0x2
	s_or_b32 exec_lo, exec_lo, s63
	s_and_saveexec_b32 s63, s72
	s_xor_b32 s63, exec_lo, s63
	s_cbranch_execz .LBB6_167
; %bb.166:                              ;   in Loop: Header=BB6_57 Depth=2
	ds_write_b32 v0, v57
	s_trap 2
.LBB6_167:                              ;   in Loop: Header=BB6_57 Depth=2
	s_or_b32 exec_lo, exec_lo, s62
	;;#ASMSTART
	s_wakeup
	;;#ASMEND
.LBB6_168:                              ;   in Loop: Header=BB6_57 Depth=2
	s_or_b32 exec_lo, exec_lo, s61
.LBB6_169:                              ;   in Loop: Header=BB6_57 Depth=2
	s_andn2_saveexec_b32 s23, s23
	s_cbranch_execz .LBB6_171
; %bb.170:                              ;   in Loop: Header=BB6_57 Depth=2
	s_waitcnt vmcnt(0) lgkmcnt(0)
	s_waitcnt_vscnt null, 0x0
	buffer_gl1_inv
	buffer_gl0_inv
	s_barrier
.LBB6_171:                              ;   in Loop: Header=BB6_57 Depth=2
	s_or_b32 exec_lo, exec_lo, s23
	s_or_b32 exec_lo, exec_lo, s17
                                        ; implicit-def: $vgpr3
	s_and_saveexec_b32 s17, s13
	s_xor_b32 s17, exec_lo, s17
	s_cbranch_execnz .LBB6_129
.LBB6_172:                              ;   in Loop: Header=BB6_57 Depth=2
	s_andn2_saveexec_b32 s16, s17
	s_cbranch_execz .LBB6_191
.LBB6_173:                              ;   in Loop: Header=BB6_57 Depth=2
	s_and_saveexec_b32 s17, s29
	s_xor_b32 s17, exec_lo, s17
	s_cbranch_execz .LBB6_188
; %bb.174:                              ;   in Loop: Header=BB6_57 Depth=2
	s_and_saveexec_b32 s23, s11
	s_cbranch_execz .LBB6_187
; %bb.175:                              ;   in Loop: Header=BB6_57 Depth=2
	s_mov_b32 s62, exec_lo
	s_mov_b32 s61, exec_lo
	v_mbcnt_lo_u32_b32 v3, s62, 0
	;;#ASMSTART
	s_waitcnt lgkmcnt(0) vmcnt(0)
	;;#ASMEND
	v_cmpx_eq_u32_e32 0, v3
	s_cbranch_execz .LBB6_177
; %bb.176:                              ;   in Loop: Header=BB6_57 Depth=2
	s_bcnt1_i32_b32 s62, s62
	v_mov_b32_e32 v13, v2
	v_mov_b32_e32 v12, s62
	s_waitcnt vmcnt(0) lgkmcnt(0)
	s_waitcnt_vscnt null, 0x0
	ds_add_u64 v0, v[12:13]
	s_trap 2
.LBB6_177:                              ;   in Loop: Header=BB6_57 Depth=2
	s_or_b32 exec_lo, exec_lo, s61
	s_trap 2
	ds_read_b64 v[12:13], v0
	s_waitcnt vmcnt(0) lgkmcnt(0)
	buffer_gl0_inv
	v_add_co_u32 v70, vcc_lo, v70, v47
	v_add_co_ci_u32_e64 v71, null, 0, v71, vcc_lo
	s_mov_b32 s61, exec_lo
	v_cmpx_lt_u64_e64 v[12:13], v[70:71]
	s_cbranch_execz .LBB6_186
; %bb.178:                              ;   in Loop: Header=BB6_57 Depth=2
	s_mov_b32 s62, 0
	s_mov_b32 s73, 0
                                        ; implicit-def: $sgpr63
                                        ; implicit-def: $sgpr72
	s_inst_prefetch 0x1
	s_branch .LBB6_180
	.p2align	6
.LBB6_179:                              ;   in Loop: Header=BB6_180 Depth=3
	s_or_b32 exec_lo, exec_lo, s75
	s_and_b32 s74, exec_lo, s76
	s_or_b32 s62, s74, s62
	s_andn2_b32 s63, s63, exec_lo
	s_and_b32 s74, s72, exec_lo
	s_or_b32 s63, s63, s74
	s_andn2_b32 exec_lo, exec_lo, s62
	s_cbranch_execz .LBB6_184
.LBB6_180:                              ;   Parent Loop BB6_47 Depth=1
                                        ;     Parent Loop BB6_57 Depth=2
                                        ; =>    This Inner Loop Header: Depth=3
	s_add_i32 s73, s73, 1
	s_cmpk_lg_i32 s73, 0x2710
	s_cselect_b32 s74, -1, 0
	s_and_b32 vcc_lo, exec_lo, s74
	s_cbranch_vccz .LBB6_182
; %bb.181:                              ;   in Loop: Header=BB6_180 Depth=3
	s_mov_b32 s76, -1
	s_or_b32 s72, s72, exec_lo
	s_and_saveexec_b32 s75, s74
	s_cbranch_execz .LBB6_179
	s_branch .LBB6_183
	.p2align	6
.LBB6_182:                              ;   in Loop: Header=BB6_180 Depth=3
	s_trap 2
	ds_read_b64 v[12:13], v0
	s_andn2_b32 s74, s74, exec_lo
	s_mov_b32 s73, 0
	s_waitcnt lgkmcnt(0)
	s_waitcnt_vscnt null, 0x0
	flat_load_dword v3, v[12:13] glc dlc
	s_waitcnt vmcnt(0) lgkmcnt(0)
	buffer_gl1_inv
	buffer_gl0_inv
	v_cmp_eq_u32_e32 vcc_lo, 0, v3
	s_and_b32 s75, vcc_lo, exec_lo
	s_or_b32 s74, s74, s75
	s_mov_b32 s76, -1
	s_or_b32 s72, s72, exec_lo
	s_and_saveexec_b32 s75, s74
	s_cbranch_execz .LBB6_179
.LBB6_183:                              ;   in Loop: Header=BB6_180 Depth=3
	s_sleep 1
	s_trap 2
	ds_read_b64 v[12:13], v0
	s_waitcnt lgkmcnt(0)
	buffer_gl0_inv
	s_andn2_b32 s72, s72, exec_lo
	v_cmp_ge_u64_e32 vcc_lo, v[12:13], v[70:71]
	s_orn2_b32 s76, vcc_lo, exec_lo
	s_branch .LBB6_179
.LBB6_184:                              ;   in Loop: Header=BB6_57 Depth=2
	s_inst_prefetch 0x2
	s_or_b32 exec_lo, exec_lo, s62
	s_and_saveexec_b32 s62, s63
	s_xor_b32 s62, exec_lo, s62
	s_cbranch_execz .LBB6_186
; %bb.185:                              ;   in Loop: Header=BB6_57 Depth=2
	ds_write_b32 v0, v57
	s_trap 2
.LBB6_186:                              ;   in Loop: Header=BB6_57 Depth=2
	s_or_b32 exec_lo, exec_lo, s61
	;;#ASMSTART
	s_wakeup
	;;#ASMEND
.LBB6_187:                              ;   in Loop: Header=BB6_57 Depth=2
	s_or_b32 exec_lo, exec_lo, s23
.LBB6_188:                              ;   in Loop: Header=BB6_57 Depth=2
	s_andn2_saveexec_b32 s17, s17
	s_cbranch_execz .LBB6_190
; %bb.189:                              ;   in Loop: Header=BB6_57 Depth=2
	;;#ASMSTART
	s_waitcnt lgkmcnt(0) vmcnt(0)
	;;#ASMEND
	s_barrier
.LBB6_190:                              ;   in Loop: Header=BB6_57 Depth=2
	s_or_b32 exec_lo, exec_lo, s17
	v_and_b32_e32 v3, 16, v44
.LBB6_191:                              ;   in Loop: Header=BB6_57 Depth=2
	s_or_b32 exec_lo, exec_lo, s16
	s_mov_b32 s16, exec_lo
	v_cmpx_ne_u32_e32 0, v3
	s_cbranch_execz .LBB6_56
; %bb.192:                              ;   in Loop: Header=BB6_57 Depth=2
	s_and_saveexec_b32 s17, s10
	s_cbranch_execz .LBB6_55
; %bb.193:                              ;   in Loop: Header=BB6_57 Depth=2
	s_waitcnt vmcnt(0) lgkmcnt(0)
	s_waitcnt_vscnt null, 0x0
	flat_store_dword v[68:69], v57
	s_branch .LBB6_55
.LBB6_194:                              ;   in Loop: Header=BB6_47 Depth=1
	s_or_b32 exec_lo, exec_lo, s19
.LBB6_195:                              ;   in Loop: Header=BB6_47 Depth=1
	s_or_b32 exec_lo, exec_lo, s18
	s_mov_b32 s17, exec_lo
	v_cmpx_gt_i32_e32 2, v3
	s_cbranch_execz .LBB6_267
; %bb.196:                              ;   in Loop: Header=BB6_47 Depth=1
	v_cmp_eq_u32_e64 s19, 0, v3
	s_mov_b32 s18, 0
	s_branch .LBB6_199
.LBB6_197:                              ;   in Loop: Header=BB6_199 Depth=2
	s_or_b32 exec_lo, exec_lo, s19
	v_add_co_u32 v96, vcc_lo, v96, 2
	v_add_co_ci_u32_e64 v97, null, 0, v97, vcc_lo
	s_waitcnt vmcnt(0) lgkmcnt(0)
	s_waitcnt_vscnt null, 0x0
	flat_store_dwordx2 v[64:65], v[96:97]
.LBB6_198:                              ;   in Loop: Header=BB6_199 Depth=2
	s_or_b32 exec_lo, exec_lo, s16
	v_add_nc_u32_e32 v4, v8, v4
	s_mov_b32 s19, 0
	s_andn2_b32 exec_lo, exec_lo, s18
	s_cbranch_execz .LBB6_266
.LBB6_199:                              ;   Parent Loop BB6_47 Depth=1
                                        ; =>  This Loop Header: Depth=2
                                        ;       Child Loop BB6_205 Depth 3
                                        ;       Child Loop BB6_229 Depth 3
	;; [unrolled: 1-line block ×3, first 2 shown]
	v_sub_nc_u32_e32 v3, v1, v4
	v_and_b32_e32 v5, 8, v44
	s_mov_b32 s21, exec_lo
	v_min_i32_e32 v8, v8, v3
	v_cmpx_ne_u32_e32 0, v5
	s_cbranch_execz .LBB6_221
; %bb.200:                              ;   in Loop: Header=BB6_199 Depth=2
	s_waitcnt vmcnt(0) lgkmcnt(1)
	v_add_co_u32 v12, vcc_lo, v80, 8
	v_add_co_ci_u32_e64 v13, null, 0, v81, vcc_lo
	v_add_co_u32 v10, vcc_lo, v96, 2
	v_add_co_ci_u32_e64 v11, null, 0, v97, vcc_lo
	s_mov_b32 s22, exec_lo
	v_cmpx_lt_u64_e64 v[12:13], v[10:11]
	s_cbranch_execz .LBB6_212
; %bb.201:                              ;   in Loop: Header=BB6_199 Depth=2
	v_and_b32_e32 v3, 64, v44
	s_mov_b32 s23, 0
	s_mov_b32 s72, 0
                                        ; implicit-def: $sgpr61
                                        ; implicit-def: $sgpr62
                                        ; implicit-def: $sgpr63
	v_cmp_eq_u32_e32 vcc_lo, 0, v3
	s_branch .LBB6_205
.LBB6_202:                              ;   in Loop: Header=BB6_205 Depth=3
	s_waitcnt vmcnt(0) lgkmcnt(0)
	v_add_co_u32 v12, s16, v80, 8
	v_add_co_ci_u32_e64 v13, null, 0, v81, s16
	s_or_b32 s75, s75, exec_lo
	v_cmp_ge_u64_e64 s16, v[12:13], v[10:11]
	s_orn2_b32 s74, s16, exec_lo
.LBB6_203:                              ;   in Loop: Header=BB6_205 Depth=3
	s_or_b32 exec_lo, exec_lo, s77
	s_andn2_b32 s16, s63, exec_lo
	s_and_b32 s63, s75, exec_lo
	s_andn2_b32 s62, s62, exec_lo
	s_and_b32 s74, s74, exec_lo
	s_or_b32 s63, s16, s63
	s_or_b32 s62, s62, s74
.LBB6_204:                              ;   in Loop: Header=BB6_205 Depth=3
	s_or_b32 exec_lo, exec_lo, s73
	s_and_b32 s16, exec_lo, s62
	s_or_b32 s23, s16, s23
	s_andn2_b32 s16, s61, exec_lo
	s_and_b32 s61, s63, exec_lo
	s_or_b32 s61, s16, s61
	s_andn2_b32 exec_lo, exec_lo, s23
	s_cbranch_execz .LBB6_209
.LBB6_205:                              ;   Parent Loop BB6_47 Depth=1
                                        ;     Parent Loop BB6_199 Depth=2
                                        ; =>    This Inner Loop Header: Depth=3
	s_sleep 1
	s_waitcnt vmcnt(0) lgkmcnt(0)
	flat_load_dwordx2 v[80:81], v[64:65] glc dlc
	s_or_b32 s63, s63, exec_lo
	s_or_b32 s62, s62, exec_lo
                                        ; implicit-def: $vgpr3
	s_and_saveexec_b32 s73, vcc_lo
	s_cbranch_execz .LBB6_204
; %bb.206:                              ;   in Loop: Header=BB6_205 Depth=3
	s_cmpk_lt_i32 s72, 0x270f
	s_mov_b32 s74, -1
	s_cselect_b32 s76, -1, 0
	s_cmpk_gt_i32 s72, 0x270e
	s_cbranch_scc0 .LBB6_208
; %bb.207:                              ;   in Loop: Header=BB6_205 Depth=3
	s_trap 2
	ds_read_b64 v[12:13], v0
	s_andn2_b32 s72, s76, exec_lo
	s_mov_b32 s75, 0
	s_waitcnt vmcnt(0) lgkmcnt(0)
	s_waitcnt_vscnt null, 0x0
	flat_load_dword v3, v[12:13] glc dlc
	s_waitcnt vmcnt(0) lgkmcnt(0)
	buffer_gl1_inv
	buffer_gl0_inv
	v_cmp_eq_u32_e64 s16, 0, v3
	s_and_b32 s16, s16, exec_lo
	s_or_b32 s76, s72, s16
	s_mov_b32 s72, 0
	s_and_saveexec_b32 s77, s76
	s_cbranch_execz .LBB6_203
	s_branch .LBB6_202
.LBB6_208:                              ;   in Loop: Header=BB6_205 Depth=3
	s_add_i32 s72, s72, 1
	s_mov_b32 s75, -1
                                        ; implicit-def: $vgpr3
	s_and_saveexec_b32 s77, s76
	s_cbranch_execz .LBB6_203
	s_branch .LBB6_202
.LBB6_209:                              ;   in Loop: Header=BB6_199 Depth=2
	s_or_b32 exec_lo, exec_lo, s23
	s_xor_b32 s16, s61, -1
	s_and_saveexec_b32 s23, s16
	s_xor_b32 s16, exec_lo, s23
	s_cbranch_execz .LBB6_211
; %bb.210:                              ;   in Loop: Header=BB6_199 Depth=2
	v_or_b32_e32 v44, 64, v44
	s_waitcnt vmcnt(0) lgkmcnt(0)
	s_waitcnt_vscnt null, 0x0
	ds_write_b32 v0, v3
	s_trap 2
.LBB6_211:                              ;   in Loop: Header=BB6_199 Depth=2
	s_or_b32 exec_lo, exec_lo, s16
.LBB6_212:                              ;   in Loop: Header=BB6_199 Depth=2
	s_or_b32 exec_lo, exec_lo, s22
	v_and_b32_e32 v3, 0x100, v44
	s_mov_b32 s16, -1
	;;#ASMSTART
	s_wakeup
	;;#ASMEND
                                        ; implicit-def: $vgpr12_vgpr13
	v_cmp_ne_u32_e32 vcc_lo, 0, v3
	v_and_b32_e32 v3, 7, v96
	s_and_saveexec_b32 s22, vcc_lo
	s_cbranch_execz .LBB6_216
; %bb.213:                              ;   in Loop: Header=BB6_199 Depth=2
	v_mad_u64_u32 v[14:15], null, v3, 24, v[6:7]
	v_ashrrev_i32_e32 v9, 31, v8
	s_mov_b32 s23, exec_lo
                                        ; implicit-def: $vgpr12_vgpr13
	flat_load_dword v5, v[14:15]
	flat_store_dwordx2 v[14:15], v[8:9] offset:8
	s_waitcnt vmcnt(0) lgkmcnt(1)
	v_cmp_ne_u32_e32 vcc_lo, 1, v5
	v_cmpx_eq_u32_e32 1, v5
	s_cbranch_execz .LBB6_215
; %bb.214:                              ;   in Loop: Header=BB6_199 Depth=2
	flat_load_dword v12, v[14:15] offset:4 glc dlc
	s_waitcnt vmcnt(0) lgkmcnt(0)
	v_ashrrev_i32_e32 v13, 31, v12
.LBB6_215:                              ;   in Loop: Header=BB6_199 Depth=2
	s_or_b32 exec_lo, exec_lo, s23
	s_orn2_b32 s16, vcc_lo, exec_lo
.LBB6_216:                              ;   in Loop: Header=BB6_199 Depth=2
	s_or_b32 exec_lo, exec_lo, s22
	s_and_saveexec_b32 s22, s16
; %bb.217:                              ;   in Loop: Header=BB6_199 Depth=2
	v_mad_i64_i32 v[12:13], null, v3, v45, 0
; %bb.218:                              ;   in Loop: Header=BB6_199 Depth=2
	s_or_b32 exec_lo, exec_lo, s22
	v_add_co_u32 v12, vcc_lo, v66, v12
	v_and_b32_e32 v3, 0x2000, v44
	v_add_co_ci_u32_e64 v13, null, v67, v13, vcc_lo
	s_mov_b32 s16, exec_lo
	ds_write_b64 v0, v[12:13] offset:784
	v_cmpx_ne_u32_e32 0, v3
	s_cbranch_execz .LBB6_220
; %bb.219:                              ;   in Loop: Header=BB6_199 Depth=2
	ds_read_b64 v[12:13], v0 offset:872
	s_waitcnt lgkmcnt(0)
	v_add_co_u32 v12, vcc_lo, v12, 1
	v_add_co_ci_u32_e64 v13, null, 0, v13, vcc_lo
	ds_write_b64 v0, v[12:13] offset:872
.LBB6_220:                              ;   in Loop: Header=BB6_199 Depth=2
	s_or_b32 exec_lo, exec_lo, s16
	v_mov_b32_e32 v97, v11
	v_mov_b32_e32 v96, v10
.LBB6_221:                              ;   in Loop: Header=BB6_199 Depth=2
	s_or_b32 exec_lo, exec_lo, s21
	s_xor_b32 s16, s19, -1
	s_and_b32 s16, exec_lo, s16
	s_or_b32 s18, s16, s18
	s_and_saveexec_b32 s16, s6
	s_cbranch_execz .LBB6_240
; %bb.222:                              ;   in Loop: Header=BB6_199 Depth=2
	s_and_saveexec_b32 s19, s29
	s_xor_b32 s19, exec_lo, s19
	s_cbranch_execz .LBB6_237
; %bb.223:                              ;   in Loop: Header=BB6_199 Depth=2
	s_and_saveexec_b32 s21, s11
	s_cbranch_execz .LBB6_236
; %bb.224:                              ;   in Loop: Header=BB6_199 Depth=2
	s_mov_b32 s23, exec_lo
	s_mov_b32 s22, exec_lo
	v_mbcnt_lo_u32_b32 v3, s23, 0
	s_waitcnt vmcnt(0) lgkmcnt(0)
	s_waitcnt_vscnt null, 0x0
	buffer_gl1_inv
	buffer_gl0_inv
	v_cmpx_eq_u32_e32 0, v3
	s_cbranch_execz .LBB6_226
; %bb.225:                              ;   in Loop: Header=BB6_199 Depth=2
	s_bcnt1_i32_b32 s23, s23
	v_mov_b32_e32 v10, v2
	v_mov_b32_e32 v9, s23
	ds_add_u64 v0, v[9:10]
	s_trap 2
.LBB6_226:                              ;   in Loop: Header=BB6_199 Depth=2
	s_or_b32 exec_lo, exec_lo, s22
	s_trap 2
	ds_read_b64 v[9:10], v0
	s_waitcnt lgkmcnt(0)
	buffer_gl0_inv
	v_add_co_u32 v70, vcc_lo, v70, v47
	v_add_co_ci_u32_e64 v71, null, 0, v71, vcc_lo
	s_mov_b32 s22, exec_lo
	v_cmpx_lt_u64_e64 v[9:10], v[70:71]
	s_cbranch_execz .LBB6_235
; %bb.227:                              ;   in Loop: Header=BB6_199 Depth=2
	s_mov_b32 s23, 0
	s_mov_b32 s63, 0
                                        ; implicit-def: $sgpr61
                                        ; implicit-def: $sgpr62
	s_inst_prefetch 0x1
	s_branch .LBB6_229
	.p2align	6
.LBB6_228:                              ;   in Loop: Header=BB6_229 Depth=3
	s_or_b32 exec_lo, exec_lo, s73
	s_and_b32 s72, exec_lo, s74
	s_or_b32 s23, s72, s23
	s_andn2_b32 s61, s61, exec_lo
	s_and_b32 s72, s62, exec_lo
	s_or_b32 s61, s61, s72
	s_andn2_b32 exec_lo, exec_lo, s23
	s_cbranch_execz .LBB6_233
.LBB6_229:                              ;   Parent Loop BB6_47 Depth=1
                                        ;     Parent Loop BB6_199 Depth=2
                                        ; =>    This Inner Loop Header: Depth=3
	s_add_i32 s63, s63, 1
	s_cmpk_lg_i32 s63, 0x2710
	s_cselect_b32 s72, -1, 0
	s_and_b32 vcc_lo, exec_lo, s72
	s_cbranch_vccz .LBB6_231
; %bb.230:                              ;   in Loop: Header=BB6_229 Depth=3
	s_mov_b32 s74, -1
	s_or_b32 s62, s62, exec_lo
	s_and_saveexec_b32 s73, s72
	s_cbranch_execz .LBB6_228
	s_branch .LBB6_232
	.p2align	6
.LBB6_231:                              ;   in Loop: Header=BB6_229 Depth=3
	s_trap 2
	ds_read_b64 v[9:10], v0
	s_andn2_b32 s72, s72, exec_lo
	s_mov_b32 s63, 0
	s_waitcnt lgkmcnt(0)
	flat_load_dword v3, v[9:10] glc dlc
	s_waitcnt vmcnt(0) lgkmcnt(0)
	buffer_gl1_inv
	buffer_gl0_inv
	v_cmp_eq_u32_e32 vcc_lo, 0, v3
	s_and_b32 s73, vcc_lo, exec_lo
	s_or_b32 s72, s72, s73
	s_mov_b32 s74, -1
	s_or_b32 s62, s62, exec_lo
	s_and_saveexec_b32 s73, s72
	s_cbranch_execz .LBB6_228
.LBB6_232:                              ;   in Loop: Header=BB6_229 Depth=3
	s_sleep 1
	s_trap 2
	ds_read_b64 v[9:10], v0
	s_waitcnt lgkmcnt(0)
	buffer_gl0_inv
	s_andn2_b32 s62, s62, exec_lo
	v_cmp_ge_u64_e32 vcc_lo, v[9:10], v[70:71]
	s_orn2_b32 s74, vcc_lo, exec_lo
	s_branch .LBB6_228
.LBB6_233:                              ;   in Loop: Header=BB6_199 Depth=2
	s_inst_prefetch 0x2
	s_or_b32 exec_lo, exec_lo, s23
	s_and_saveexec_b32 s23, s61
	s_xor_b32 s23, exec_lo, s23
	s_cbranch_execz .LBB6_235
; %bb.234:                              ;   in Loop: Header=BB6_199 Depth=2
	ds_write_b32 v0, v57
	s_trap 2
.LBB6_235:                              ;   in Loop: Header=BB6_199 Depth=2
	s_or_b32 exec_lo, exec_lo, s22
	;;#ASMSTART
	s_wakeup
	;;#ASMEND
.LBB6_236:                              ;   in Loop: Header=BB6_199 Depth=2
	s_or_b32 exec_lo, exec_lo, s21
.LBB6_237:                              ;   in Loop: Header=BB6_199 Depth=2
	s_andn2_saveexec_b32 s19, s19
	s_cbranch_execz .LBB6_239
; %bb.238:                              ;   in Loop: Header=BB6_199 Depth=2
	s_waitcnt vmcnt(0) lgkmcnt(0)
	s_waitcnt_vscnt null, 0x0
	buffer_gl1_inv
	buffer_gl0_inv
	s_barrier
.LBB6_239:                              ;   in Loop: Header=BB6_199 Depth=2
	s_or_b32 exec_lo, exec_lo, s19
.LBB6_240:                              ;   in Loop: Header=BB6_199 Depth=2
	s_or_b32 exec_lo, exec_lo, s16
                                        ; implicit-def: $vgpr3
	s_and_saveexec_b32 s16, s13
	s_xor_b32 s19, exec_lo, s16
	s_cbranch_execz .LBB6_244
; %bb.241:                              ;   in Loop: Header=BB6_199 Depth=2
	s_trap 2
	ds_read_b32 v3, v0
	v_cmp_lt_i32_e32 vcc_lo, 0, v8
	s_waitcnt lgkmcnt(0)
	v_readfirstlane_b32 s16, v3
	v_and_b32_e32 v3, 16, v44
	s_cmp_eq_u32 s16, 0
	v_cmp_ne_u32_e64 s16, 0, v3
	s_cselect_b32 s21, -1, 0
	v_and_b32_e32 v3, 16, v44
	s_and_b32 s21, vcc_lo, s21
	s_and_b32 s21, s16, s21
	s_and_saveexec_b32 s16, s21
	s_cbranch_execz .LBB6_243
; %bb.242:                              ;   in Loop: Header=BB6_199 Depth=2
	v_mov_b32_e32 v3, 1
	s_waitcnt vmcnt(0)
	s_waitcnt_vscnt null, 0x0
	buffer_gl1_inv
	buffer_gl0_inv
.LBB6_243:                              ;   in Loop: Header=BB6_199 Depth=2
	s_or_b32 exec_lo, exec_lo, s16
	s_andn2_saveexec_b32 s16, s19
	s_cbranch_execz .LBB6_263
	s_branch .LBB6_245
.LBB6_244:                              ;   in Loop: Header=BB6_199 Depth=2
	s_andn2_saveexec_b32 s16, s19
	s_cbranch_execz .LBB6_263
.LBB6_245:                              ;   in Loop: Header=BB6_199 Depth=2
	s_and_saveexec_b32 s19, s29
	s_xor_b32 s19, exec_lo, s19
	s_cbranch_execz .LBB6_260
; %bb.246:                              ;   in Loop: Header=BB6_199 Depth=2
	s_and_saveexec_b32 s21, s11
	s_cbranch_execz .LBB6_259
; %bb.247:                              ;   in Loop: Header=BB6_199 Depth=2
	s_mov_b32 s23, exec_lo
	s_mov_b32 s22, exec_lo
	v_mbcnt_lo_u32_b32 v3, s23, 0
	;;#ASMSTART
	s_waitcnt lgkmcnt(0) vmcnt(0)
	;;#ASMEND
	v_cmpx_eq_u32_e32 0, v3
	s_cbranch_execz .LBB6_249
; %bb.248:                              ;   in Loop: Header=BB6_199 Depth=2
	s_bcnt1_i32_b32 s23, s23
	v_mov_b32_e32 v10, v2
	v_mov_b32_e32 v9, s23
	s_waitcnt vmcnt(0) lgkmcnt(0)
	s_waitcnt_vscnt null, 0x0
	ds_add_u64 v0, v[9:10]
	s_trap 2
.LBB6_249:                              ;   in Loop: Header=BB6_199 Depth=2
	s_or_b32 exec_lo, exec_lo, s22
	s_trap 2
	ds_read_b64 v[9:10], v0
	s_waitcnt vmcnt(0) lgkmcnt(0)
	buffer_gl0_inv
	v_add_co_u32 v70, vcc_lo, v70, v47
	v_add_co_ci_u32_e64 v71, null, 0, v71, vcc_lo
	s_mov_b32 s22, exec_lo
	v_cmpx_lt_u64_e64 v[9:10], v[70:71]
	s_cbranch_execz .LBB6_258
; %bb.250:                              ;   in Loop: Header=BB6_199 Depth=2
	s_mov_b32 s23, 0
	s_mov_b32 s63, 0
                                        ; implicit-def: $sgpr61
                                        ; implicit-def: $sgpr62
	s_inst_prefetch 0x1
	s_branch .LBB6_252
	.p2align	6
.LBB6_251:                              ;   in Loop: Header=BB6_252 Depth=3
	s_or_b32 exec_lo, exec_lo, s73
	s_and_b32 s72, exec_lo, s74
	s_or_b32 s23, s72, s23
	s_andn2_b32 s61, s61, exec_lo
	s_and_b32 s72, s62, exec_lo
	s_or_b32 s61, s61, s72
	s_andn2_b32 exec_lo, exec_lo, s23
	s_cbranch_execz .LBB6_256
.LBB6_252:                              ;   Parent Loop BB6_47 Depth=1
                                        ;     Parent Loop BB6_199 Depth=2
                                        ; =>    This Inner Loop Header: Depth=3
	s_add_i32 s63, s63, 1
	s_cmpk_lg_i32 s63, 0x2710
	s_cselect_b32 s72, -1, 0
	s_and_b32 vcc_lo, exec_lo, s72
	s_cbranch_vccz .LBB6_254
; %bb.253:                              ;   in Loop: Header=BB6_252 Depth=3
	s_mov_b32 s74, -1
	s_or_b32 s62, s62, exec_lo
	s_and_saveexec_b32 s73, s72
	s_cbranch_execz .LBB6_251
	s_branch .LBB6_255
	.p2align	6
.LBB6_254:                              ;   in Loop: Header=BB6_252 Depth=3
	s_trap 2
	ds_read_b64 v[9:10], v0
	s_andn2_b32 s72, s72, exec_lo
	s_mov_b32 s63, 0
	s_waitcnt lgkmcnt(0)
	s_waitcnt_vscnt null, 0x0
	flat_load_dword v3, v[9:10] glc dlc
	s_waitcnt vmcnt(0) lgkmcnt(0)
	buffer_gl1_inv
	buffer_gl0_inv
	v_cmp_eq_u32_e32 vcc_lo, 0, v3
	s_and_b32 s73, vcc_lo, exec_lo
	s_or_b32 s72, s72, s73
	s_mov_b32 s74, -1
	s_or_b32 s62, s62, exec_lo
	s_and_saveexec_b32 s73, s72
	s_cbranch_execz .LBB6_251
.LBB6_255:                              ;   in Loop: Header=BB6_252 Depth=3
	s_sleep 1
	s_trap 2
	ds_read_b64 v[9:10], v0
	s_waitcnt lgkmcnt(0)
	buffer_gl0_inv
	s_andn2_b32 s62, s62, exec_lo
	v_cmp_ge_u64_e32 vcc_lo, v[9:10], v[70:71]
	s_orn2_b32 s74, vcc_lo, exec_lo
	s_branch .LBB6_251
.LBB6_256:                              ;   in Loop: Header=BB6_199 Depth=2
	s_inst_prefetch 0x2
	s_or_b32 exec_lo, exec_lo, s23
	s_and_saveexec_b32 s23, s61
	s_xor_b32 s23, exec_lo, s23
	s_cbranch_execz .LBB6_258
; %bb.257:                              ;   in Loop: Header=BB6_199 Depth=2
	ds_write_b32 v0, v57
	s_trap 2
.LBB6_258:                              ;   in Loop: Header=BB6_199 Depth=2
	s_or_b32 exec_lo, exec_lo, s22
	;;#ASMSTART
	s_wakeup
	;;#ASMEND
.LBB6_259:                              ;   in Loop: Header=BB6_199 Depth=2
	s_or_b32 exec_lo, exec_lo, s21
.LBB6_260:                              ;   in Loop: Header=BB6_199 Depth=2
	s_andn2_saveexec_b32 s19, s19
	s_cbranch_execz .LBB6_262
; %bb.261:                              ;   in Loop: Header=BB6_199 Depth=2
	;;#ASMSTART
	s_waitcnt lgkmcnt(0) vmcnt(0)
	;;#ASMEND
	s_barrier
.LBB6_262:                              ;   in Loop: Header=BB6_199 Depth=2
	s_or_b32 exec_lo, exec_lo, s19
	v_and_b32_e32 v3, 16, v44
.LBB6_263:                              ;   in Loop: Header=BB6_199 Depth=2
	s_or_b32 exec_lo, exec_lo, s16
	s_mov_b32 s16, exec_lo
	v_cmpx_ne_u32_e32 0, v3
	s_cbranch_execz .LBB6_198
; %bb.264:                              ;   in Loop: Header=BB6_199 Depth=2
	s_and_saveexec_b32 s19, s10
	s_cbranch_execz .LBB6_197
; %bb.265:                              ;   in Loop: Header=BB6_199 Depth=2
	s_waitcnt vmcnt(0) lgkmcnt(0)
	s_waitcnt_vscnt null, 0x0
	flat_store_dword v[68:69], v57
	s_branch .LBB6_197
.LBB6_266:                              ;   in Loop: Header=BB6_47 Depth=1
	s_or_b32 exec_lo, exec_lo, s18
.LBB6_267:                              ;   in Loop: Header=BB6_47 Depth=1
	s_or_b32 exec_lo, exec_lo, s17
	s_andn2_b32 vcc_lo, exec_lo, s46
	buffer_store_dword v102, off, s[0:3], s33 offset:248 ; 4-byte Folded Spill
	buffer_store_dword v103, off, s[0:3], s33 offset:252 ; 4-byte Folded Spill
	s_cbranch_vccnz .LBB6_3204
; %bb.268:                              ;   in Loop: Header=BB6_47 Depth=1
	s_mov_b32 s18, 2
	s_branch .LBB6_271
.LBB6_269:                              ;   in Loop: Header=BB6_271 Depth=2
	s_or_b32 exec_lo, exec_lo, s19
.LBB6_270:                              ;   in Loop: Header=BB6_271 Depth=2
	s_or_b32 exec_lo, exec_lo, s17
	s_add_i32 s18, s18, 1
	s_cmp_eq_u32 s18, s25
	s_cbranch_scc1 .LBB6_3204
.LBB6_271:                              ;   Parent Loop BB6_47 Depth=1
                                        ; =>  This Loop Header: Depth=2
                                        ;       Child Loop BB6_274 Depth 3
                                        ;         Child Loop BB6_282 Depth 4
                                        ;         Child Loop BB6_310 Depth 4
	;; [unrolled: 1-line block ×9, first 2 shown]
                                        ;       Child Loop BB6_3132 Depth 3
                                        ;         Child Loop BB6_3138 Depth 4
                                        ;         Child Loop BB6_3166 Depth 4
	;; [unrolled: 1-line block ×3, first 2 shown]
	s_clause 0x1
	buffer_load_dword v8, off, s[0:3], s33 offset:216
	buffer_load_dword v9, off, s[0:3], s33 offset:220
	s_sub_i32 s16, s42, s18
	v_mov_b32_e32 v43, 0
	s_cmp_ge_i32 s16, s25
	s_mov_b32 s21, 0
	s_cselect_b32 s17, s25, 0
	s_sub_i32 s16, s16, s17
	s_ashr_i32 s17, s16, 31
	s_waitcnt vmcnt(1)
	v_mad_u64_u32 v[102:103], null, v8, s16, 0
	s_waitcnt vmcnt(0)
	v_mul_lo_u32 v1, v9, s16
	v_mul_lo_u32 v3, v8, s17
	v_add3_u32 v103, v103, v3, v1
	s_clause 0x1
	buffer_load_dword v3, off, s[0:3], s33 offset:208
	buffer_load_dword v4, off, s[0:3], s33 offset:212
	s_waitcnt vmcnt(1)
	v_sub_co_u32 v3, vcc_lo, v3, v102
	s_waitcnt vmcnt(0)
	v_sub_co_ci_u32_e64 v4, null, v4, v103, vcc_lo
	v_cmp_lt_i64_e32 vcc_lo, v[8:9], v[3:4]
	v_cndmask_b32_e32 v3, v3, v8, vcc_lo
	v_max_i32_e32 v42, 0, v3
	v_cmp_lt_i32_e32 vcc_lo, 0, v3
	v_add_nc_u32_e32 v1, 31, v42
	s_and_b32 s16, s57, vcc_lo
	v_lshrrev_b32_e32 v1, 1, v1
	v_and_b32_e32 v4, 0x3ffffff0, v1
	v_mov_b32_e32 v1, 0
	v_max_i32_e32 v100, s45, v4
	s_and_saveexec_b32 s19, s16
	s_cbranch_execz .LBB6_3129
; %bb.272:                              ;   in Loop: Header=BB6_271 Depth=2
	v_mov_b32_e32 v43, 0
	s_mov_b32 s23, 1
	s_mov_b32 s22, -1
	s_branch .LBB6_274
.LBB6_273:                              ;   in Loop: Header=BB6_274 Depth=3
	s_or_b32 exec_lo, exec_lo, s16
	v_add_nc_u32_e32 v43, v100, v43
	s_xor_b32 s16, s22, -1
	v_mov_b32_e32 v1, s23
	s_mov_b32 s22, 0
	s_mov_b32 s23, 2
	v_cmp_ge_i32_e32 vcc_lo, v43, v42
	s_or_b32 s16, s16, vcc_lo
	s_and_b32 s16, exec_lo, s16
	s_or_b32 s21, s16, s21
	s_andn2_b32 exec_lo, exec_lo, s21
	s_cbranch_execz .LBB6_3128
.LBB6_274:                              ;   Parent Loop BB6_47 Depth=1
                                        ;     Parent Loop BB6_271 Depth=2
                                        ; =>    This Loop Header: Depth=3
                                        ;         Child Loop BB6_282 Depth 4
                                        ;         Child Loop BB6_310 Depth 4
	;; [unrolled: 1-line block ×9, first 2 shown]
	s_and_saveexec_b32 s16, s4
	s_cbranch_execz .LBB6_276
; %bb.275:                              ;   in Loop: Header=BB6_274 Depth=3
	s_trap 2
	buffer_load_dword v1, off, s[0:3], s33 offset:192 ; 4-byte Folded Reload
	ds_read_b64 v[3:4], v0
	v_ashrrev_i32_e32 v5, 31, v43
	s_waitcnt vmcnt(0) lgkmcnt(0)
	v_add_co_u32 v1, vcc_lo, v3, v1
	buffer_load_dword v3, off, s[0:3], s33 offset:196 ; 4-byte Folded Reload
	s_waitcnt vmcnt(0)
	v_add_co_ci_u32_e64 v3, null, v4, v3, vcc_lo
	v_add_co_u32 v1, vcc_lo, v1, v102
	v_add_co_ci_u32_e64 v3, null, v3, v103, vcc_lo
	v_add_co_u32 v4, vcc_lo, v1, v43
	v_add_co_ci_u32_e64 v5, null, v3, v5, vcc_lo
	v_mov_b32_e32 v3, v2
	ds_write_b64 v0, v[4:5]
	ds_write_b64 v0, v[2:3]
.LBB6_276:                              ;   in Loop: Header=BB6_274 Depth=3
	s_or_b32 exec_lo, exec_lo, s16
	v_sub_nc_u32_e32 v1, v42, v43
	v_and_b32_e32 v3, 12, v44
	s_mov_b32 s17, exec_lo
	v_min_i32_e32 v100, v100, v1
	v_cmpx_ne_u32_e32 0, v3
	s_cbranch_execz .LBB6_302
; %bb.277:                              ;   in Loop: Header=BB6_274 Depth=3
	v_and_b32_e32 v1, 8, v44
	s_mov_b32 s61, exec_lo
	s_waitcnt vmcnt(0) lgkmcnt(1)
	v_add_co_u32 v3, vcc_lo, v80, v1
	v_add_co_ci_u32_e64 v4, null, 0, v81, vcc_lo
	v_add_co_u32 v8, vcc_lo, v96, 2
	v_add_co_ci_u32_e64 v9, null, 0, v97, vcc_lo
	v_cmpx_lt_u64_e64 v[3:4], v[8:9]
	s_cbranch_execz .LBB6_289
; %bb.278:                              ;   in Loop: Header=BB6_274 Depth=3
	v_and_b32_e32 v3, 64, v44
	s_mov_b32 s62, 0
	s_mov_b32 s74, 0
                                        ; implicit-def: $sgpr63
                                        ; implicit-def: $sgpr72
                                        ; implicit-def: $sgpr73
	v_cmp_eq_u32_e32 vcc_lo, 0, v3
	s_branch .LBB6_282
.LBB6_279:                              ;   in Loop: Header=BB6_282 Depth=4
	s_waitcnt vmcnt(0) lgkmcnt(0)
	v_add_co_u32 v4, s16, v80, v1
	v_add_co_ci_u32_e64 v5, null, 0, v81, s16
	s_or_b32 s77, s77, exec_lo
	v_cmp_ge_u64_e64 s16, v[4:5], v[8:9]
	s_orn2_b32 s76, s16, exec_lo
.LBB6_280:                              ;   in Loop: Header=BB6_282 Depth=4
	s_or_b32 exec_lo, exec_lo, s79
	s_andn2_b32 s16, s73, exec_lo
	s_and_b32 s73, s77, exec_lo
	s_andn2_b32 s72, s72, exec_lo
	s_and_b32 s76, s76, exec_lo
	s_or_b32 s73, s16, s73
	s_or_b32 s72, s72, s76
.LBB6_281:                              ;   in Loop: Header=BB6_282 Depth=4
	s_or_b32 exec_lo, exec_lo, s75
	s_and_b32 s16, exec_lo, s72
	s_or_b32 s62, s16, s62
	s_andn2_b32 s16, s63, exec_lo
	s_and_b32 s63, s73, exec_lo
	s_or_b32 s63, s16, s63
	s_andn2_b32 exec_lo, exec_lo, s62
	s_cbranch_execz .LBB6_286
.LBB6_282:                              ;   Parent Loop BB6_47 Depth=1
                                        ;     Parent Loop BB6_271 Depth=2
                                        ;       Parent Loop BB6_274 Depth=3
                                        ; =>      This Inner Loop Header: Depth=4
	s_sleep 1
	s_waitcnt vmcnt(0) lgkmcnt(0)
	flat_load_dwordx2 v[80:81], v[64:65] glc dlc
	s_or_b32 s73, s73, exec_lo
	s_or_b32 s72, s72, exec_lo
                                        ; implicit-def: $vgpr3
	s_and_saveexec_b32 s75, vcc_lo
	s_cbranch_execz .LBB6_281
; %bb.283:                              ;   in Loop: Header=BB6_282 Depth=4
	s_cmpk_lt_i32 s74, 0x270f
	s_mov_b32 s76, -1
	s_cselect_b32 s78, -1, 0
	s_cmpk_gt_i32 s74, 0x270e
	s_cbranch_scc0 .LBB6_285
; %bb.284:                              ;   in Loop: Header=BB6_282 Depth=4
	s_trap 2
	ds_read_b64 v[3:4], v0
	s_andn2_b32 s74, s78, exec_lo
	s_mov_b32 s77, 0
	s_waitcnt vmcnt(0) lgkmcnt(0)
	s_waitcnt_vscnt null, 0x0
	flat_load_dword v3, v[3:4] glc dlc
	s_waitcnt vmcnt(0) lgkmcnt(0)
	buffer_gl1_inv
	buffer_gl0_inv
	v_cmp_eq_u32_e64 s16, 0, v3
	s_and_b32 s16, s16, exec_lo
	s_or_b32 s78, s74, s16
	s_mov_b32 s74, 0
	s_and_saveexec_b32 s79, s78
	s_cbranch_execz .LBB6_280
	s_branch .LBB6_279
.LBB6_285:                              ;   in Loop: Header=BB6_282 Depth=4
	s_add_i32 s74, s74, 1
	s_mov_b32 s77, -1
                                        ; implicit-def: $vgpr3
	s_and_saveexec_b32 s79, s78
	s_cbranch_execz .LBB6_280
	s_branch .LBB6_279
.LBB6_286:                              ;   in Loop: Header=BB6_274 Depth=3
	s_or_b32 exec_lo, exec_lo, s62
	s_xor_b32 s16, s63, -1
	s_and_saveexec_b32 s62, s16
	s_xor_b32 s16, exec_lo, s62
	s_cbranch_execz .LBB6_288
; %bb.287:                              ;   in Loop: Header=BB6_274 Depth=3
	v_or_b32_e32 v44, 64, v44
	s_waitcnt vmcnt(0) lgkmcnt(0)
	s_waitcnt_vscnt null, 0x0
	ds_write_b32 v0, v3
	s_trap 2
.LBB6_288:                              ;   in Loop: Header=BB6_274 Depth=3
	s_or_b32 exec_lo, exec_lo, s16
.LBB6_289:                              ;   in Loop: Header=BB6_274 Depth=3
	s_or_b32 exec_lo, exec_lo, s61
	v_and_b32_e32 v3, 0x108, v44
	s_mov_b32 s16, exec_lo
	;;#ASMSTART
	s_wakeup
	;;#ASMEND
                                        ; implicit-def: $vgpr10_vgpr11
	v_cmpx_ne_u32_e32 0x108, v3
	s_xor_b32 s16, exec_lo, s16
; %bb.290:                              ;   in Loop: Header=BB6_274 Depth=3
	v_and_b32_e32 v10, 7, v96
	v_mov_b32_e32 v11, v2
                                        ; implicit-def: $vgpr96_vgpr97
; %bb.291:                              ;   in Loop: Header=BB6_274 Depth=3
	s_andn2_saveexec_b32 s16, s16
	s_cbranch_execz .LBB6_293
; %bb.292:                              ;   in Loop: Header=BB6_274 Depth=3
	v_and_b32_e32 v10, 7, v96
	v_ashrrev_i32_e32 v101, 31, v100
	v_mov_b32_e32 v11, v2
	v_mad_u64_u32 v[3:4], null, v10, 24, v[6:7]
	flat_store_dwordx2 v[3:4], v[100:101] offset:8
.LBB6_293:                              ;   in Loop: Header=BB6_274 Depth=3
	s_or_b32 exec_lo, exec_lo, s16
	v_and_b32_e32 v3, 0x100, v44
	s_mov_b32 s16, -1
	s_mov_b32 s61, exec_lo
                                        ; implicit-def: $vgpr12_vgpr13
	v_cmpx_ne_u32_e32 0, v3
	s_cbranch_execz .LBB6_297
; %bb.294:                              ;   in Loop: Header=BB6_274 Depth=3
	v_mad_u64_u32 v[14:15], null, v10, 24, v[6:7]
	s_mov_b32 s62, exec_lo
                                        ; implicit-def: $vgpr12_vgpr13
	v_mov_b32_e32 v3, v15
	v_mad_u64_u32 v[3:4], null, v11, 24, v[3:4]
	v_mov_b32_e32 v15, v3
	flat_load_dword v3, v[14:15]
	s_waitcnt vmcnt(0) lgkmcnt(0)
	v_cmp_ne_u32_e32 vcc_lo, 1, v3
	v_cmpx_eq_u32_e32 1, v3
	s_cbranch_execz .LBB6_296
; %bb.295:                              ;   in Loop: Header=BB6_274 Depth=3
	flat_load_dword v12, v[14:15] offset:4 glc dlc
	s_waitcnt vmcnt(0) lgkmcnt(0)
	v_ashrrev_i32_e32 v13, 31, v12
.LBB6_296:                              ;   in Loop: Header=BB6_274 Depth=3
	s_or_b32 exec_lo, exec_lo, s62
	s_orn2_b32 s16, vcc_lo, exec_lo
.LBB6_297:                              ;   in Loop: Header=BB6_274 Depth=3
	s_or_b32 exec_lo, exec_lo, s61
	s_and_saveexec_b32 s61, s16
	s_cbranch_execz .LBB6_299
; %bb.298:                              ;   in Loop: Header=BB6_274 Depth=3
	v_ashrrev_i32_e32 v4, 31, v45
	v_mul_lo_u32 v3, v11, v45
	v_mad_u64_u32 v[12:13], null, v10, v45, 0
	v_mul_lo_u32 v4, v10, v4
	v_add3_u32 v13, v13, v4, v3
.LBB6_299:                              ;   in Loop: Header=BB6_274 Depth=3
	s_or_b32 exec_lo, exec_lo, s61
	v_cmp_eq_u32_e32 vcc_lo, 0, v1
	v_mov_b32_e32 v1, 0x90
	v_and_b32_e32 v5, 0x2000, v44
	s_mov_b32 s16, exec_lo
	v_cndmask_b32_e32 v1, 0xc8, v1, vcc_lo
	v_add_co_u32 v3, vcc_lo, v66, v12
	v_add_co_ci_u32_e64 v4, null, v67, v13, vcc_lo
	v_add_nc_u32_e32 v1, v0, v1
	ds_write_b64 v1, v[3:4] offset:584
	v_cmpx_ne_u32_e32 0, v5
	s_cbranch_execz .LBB6_301
; %bb.300:                              ;   in Loop: Header=BB6_274 Depth=3
	ds_read_b64 v[3:4], v0 offset:872
	s_waitcnt lgkmcnt(0)
	v_add_co_u32 v3, vcc_lo, v3, 1
	v_add_co_ci_u32_e64 v4, null, 0, v4, vcc_lo
	ds_write_b64 v0, v[3:4] offset:872
.LBB6_301:                              ;   in Loop: Header=BB6_274 Depth=3
	s_or_b32 exec_lo, exec_lo, s16
	v_mov_b32_e32 v97, v9
	v_mov_b32_e32 v96, v8
.LBB6_302:                              ;   in Loop: Header=BB6_274 Depth=3
	s_or_b32 exec_lo, exec_lo, s17
	s_and_saveexec_b32 s16, s6
	s_cbranch_execz .LBB6_321
; %bb.303:                              ;   in Loop: Header=BB6_274 Depth=3
	s_and_saveexec_b32 s17, s29
	s_xor_b32 s17, exec_lo, s17
	s_cbranch_execz .LBB6_318
; %bb.304:                              ;   in Loop: Header=BB6_274 Depth=3
	s_and_saveexec_b32 s61, s11
	s_cbranch_execz .LBB6_317
; %bb.305:                              ;   in Loop: Header=BB6_274 Depth=3
	s_mov_b32 s63, exec_lo
	s_mov_b32 s62, exec_lo
	v_mbcnt_lo_u32_b32 v1, s63, 0
	s_waitcnt vmcnt(0) lgkmcnt(0)
	s_waitcnt_vscnt null, 0x0
	buffer_gl1_inv
	buffer_gl0_inv
	v_cmpx_eq_u32_e32 0, v1
	s_cbranch_execz .LBB6_307
; %bb.306:                              ;   in Loop: Header=BB6_274 Depth=3
	s_bcnt1_i32_b32 s63, s63
	v_mov_b32_e32 v4, v2
	v_mov_b32_e32 v3, s63
	ds_add_u64 v0, v[3:4]
	s_trap 2
.LBB6_307:                              ;   in Loop: Header=BB6_274 Depth=3
	s_or_b32 exec_lo, exec_lo, s62
	s_trap 2
	ds_read_b64 v[3:4], v0
	s_waitcnt lgkmcnt(0)
	buffer_gl0_inv
	v_add_co_u32 v70, vcc_lo, v70, v47
	v_add_co_ci_u32_e64 v71, null, 0, v71, vcc_lo
	s_mov_b32 s62, exec_lo
	v_cmpx_lt_u64_e64 v[3:4], v[70:71]
	s_cbranch_execz .LBB6_316
; %bb.308:                              ;   in Loop: Header=BB6_274 Depth=3
	s_mov_b32 s63, 0
	s_mov_b32 s74, 0
                                        ; implicit-def: $sgpr72
                                        ; implicit-def: $sgpr73
	s_inst_prefetch 0x1
	s_branch .LBB6_310
	.p2align	6
.LBB6_309:                              ;   in Loop: Header=BB6_310 Depth=4
	s_or_b32 exec_lo, exec_lo, s76
	s_and_b32 s75, exec_lo, s77
	s_or_b32 s63, s75, s63
	s_andn2_b32 s72, s72, exec_lo
	s_and_b32 s75, s73, exec_lo
	s_or_b32 s72, s72, s75
	s_andn2_b32 exec_lo, exec_lo, s63
	s_cbranch_execz .LBB6_314
.LBB6_310:                              ;   Parent Loop BB6_47 Depth=1
                                        ;     Parent Loop BB6_271 Depth=2
                                        ;       Parent Loop BB6_274 Depth=3
                                        ; =>      This Inner Loop Header: Depth=4
	s_add_i32 s74, s74, 1
	s_cmpk_lg_i32 s74, 0x2710
	s_cselect_b32 s75, -1, 0
	s_and_b32 vcc_lo, exec_lo, s75
	s_cbranch_vccz .LBB6_312
; %bb.311:                              ;   in Loop: Header=BB6_310 Depth=4
	s_mov_b32 s77, -1
	s_or_b32 s73, s73, exec_lo
	s_and_saveexec_b32 s76, s75
	s_cbranch_execz .LBB6_309
	s_branch .LBB6_313
	.p2align	6
.LBB6_312:                              ;   in Loop: Header=BB6_310 Depth=4
	s_trap 2
	ds_read_b64 v[3:4], v0
	s_andn2_b32 s75, s75, exec_lo
	s_mov_b32 s74, 0
	s_waitcnt lgkmcnt(0)
	flat_load_dword v1, v[3:4] glc dlc
	s_waitcnt vmcnt(0) lgkmcnt(0)
	buffer_gl1_inv
	buffer_gl0_inv
	v_cmp_eq_u32_e32 vcc_lo, 0, v1
	s_and_b32 s76, vcc_lo, exec_lo
	s_or_b32 s75, s75, s76
	s_mov_b32 s77, -1
	s_or_b32 s73, s73, exec_lo
	s_and_saveexec_b32 s76, s75
	s_cbranch_execz .LBB6_309
.LBB6_313:                              ;   in Loop: Header=BB6_310 Depth=4
	s_sleep 1
	s_trap 2
	ds_read_b64 v[3:4], v0
	s_waitcnt lgkmcnt(0)
	buffer_gl0_inv
	s_andn2_b32 s73, s73, exec_lo
	v_cmp_ge_u64_e32 vcc_lo, v[3:4], v[70:71]
	s_orn2_b32 s77, vcc_lo, exec_lo
	s_branch .LBB6_309
.LBB6_314:                              ;   in Loop: Header=BB6_274 Depth=3
	s_inst_prefetch 0x2
	s_or_b32 exec_lo, exec_lo, s63
	s_and_saveexec_b32 s63, s72
	s_xor_b32 s63, exec_lo, s63
	s_cbranch_execz .LBB6_316
; %bb.315:                              ;   in Loop: Header=BB6_274 Depth=3
	ds_write_b32 v0, v57
	s_trap 2
.LBB6_316:                              ;   in Loop: Header=BB6_274 Depth=3
	s_or_b32 exec_lo, exec_lo, s62
	;;#ASMSTART
	s_wakeup
	;;#ASMEND
.LBB6_317:                              ;   in Loop: Header=BB6_274 Depth=3
	s_or_b32 exec_lo, exec_lo, s61
.LBB6_318:                              ;   in Loop: Header=BB6_274 Depth=3
	s_andn2_saveexec_b32 s17, s17
	s_cbranch_execz .LBB6_320
; %bb.319:                              ;   in Loop: Header=BB6_274 Depth=3
	s_waitcnt vmcnt(0) lgkmcnt(0)
	s_waitcnt_vscnt null, 0x0
	buffer_gl1_inv
	buffer_gl0_inv
	s_barrier
.LBB6_320:                              ;   in Loop: Header=BB6_274 Depth=3
	s_or_b32 exec_lo, exec_lo, s17
.LBB6_321:                              ;   in Loop: Header=BB6_274 Depth=3
	s_or_b32 exec_lo, exec_lo, s16
	s_trap 2
	ds_read_b32 v1, v0
	v_and_b32_e32 v3, 0x4000, v44
	s_xor_b32 s16, s5, -1
	v_cmp_ne_u32_e32 vcc_lo, 0, v3
	s_and_b32 s17, s16, vcc_lo
	s_and_saveexec_b32 s16, s17
	s_cbranch_execz .LBB6_340
; %bb.322:                              ;   in Loop: Header=BB6_274 Depth=3
	s_and_saveexec_b32 s17, s29
	s_xor_b32 s17, exec_lo, s17
	s_cbranch_execz .LBB6_337
; %bb.323:                              ;   in Loop: Header=BB6_274 Depth=3
	s_and_saveexec_b32 s61, s11
	s_cbranch_execz .LBB6_336
; %bb.324:                              ;   in Loop: Header=BB6_274 Depth=3
	s_mov_b32 s63, exec_lo
	s_mov_b32 s62, exec_lo
	v_mbcnt_lo_u32_b32 v3, s63, 0
	s_waitcnt vmcnt(0) lgkmcnt(0)
	s_waitcnt_vscnt null, 0x0
	buffer_gl1_inv
	buffer_gl0_inv
	v_cmpx_eq_u32_e32 0, v3
	s_cbranch_execz .LBB6_326
; %bb.325:                              ;   in Loop: Header=BB6_274 Depth=3
	s_bcnt1_i32_b32 s63, s63
	v_mov_b32_e32 v4, v2
	v_mov_b32_e32 v3, s63
	ds_add_u64 v0, v[3:4]
	s_trap 2
.LBB6_326:                              ;   in Loop: Header=BB6_274 Depth=3
	s_or_b32 exec_lo, exec_lo, s62
	s_trap 2
	ds_read_b64 v[3:4], v0
	s_waitcnt lgkmcnt(0)
	buffer_gl0_inv
	v_add_co_u32 v70, vcc_lo, v70, v47
	v_add_co_ci_u32_e64 v71, null, 0, v71, vcc_lo
	s_mov_b32 s62, exec_lo
	v_cmpx_lt_u64_e64 v[3:4], v[70:71]
	s_cbranch_execz .LBB6_335
; %bb.327:                              ;   in Loop: Header=BB6_274 Depth=3
	s_mov_b32 s63, 0
	s_mov_b32 s74, 0
                                        ; implicit-def: $sgpr72
                                        ; implicit-def: $sgpr73
	s_inst_prefetch 0x1
	s_branch .LBB6_329
	.p2align	6
.LBB6_328:                              ;   in Loop: Header=BB6_329 Depth=4
	s_or_b32 exec_lo, exec_lo, s76
	s_and_b32 s75, exec_lo, s77
	s_or_b32 s63, s75, s63
	s_andn2_b32 s72, s72, exec_lo
	s_and_b32 s75, s73, exec_lo
	s_or_b32 s72, s72, s75
	s_andn2_b32 exec_lo, exec_lo, s63
	s_cbranch_execz .LBB6_333
.LBB6_329:                              ;   Parent Loop BB6_47 Depth=1
                                        ;     Parent Loop BB6_271 Depth=2
                                        ;       Parent Loop BB6_274 Depth=3
                                        ; =>      This Inner Loop Header: Depth=4
	s_add_i32 s74, s74, 1
	s_cmpk_lg_i32 s74, 0x2710
	s_cselect_b32 s75, -1, 0
	s_and_b32 vcc_lo, exec_lo, s75
	s_cbranch_vccz .LBB6_331
; %bb.330:                              ;   in Loop: Header=BB6_329 Depth=4
	s_mov_b32 s77, -1
	s_or_b32 s73, s73, exec_lo
	s_and_saveexec_b32 s76, s75
	s_cbranch_execz .LBB6_328
	s_branch .LBB6_332
	.p2align	6
.LBB6_331:                              ;   in Loop: Header=BB6_329 Depth=4
	s_trap 2
	ds_read_b64 v[3:4], v0
	s_andn2_b32 s75, s75, exec_lo
	s_mov_b32 s74, 0
	s_waitcnt lgkmcnt(0)
	flat_load_dword v3, v[3:4] glc dlc
	s_waitcnt vmcnt(0) lgkmcnt(0)
	buffer_gl1_inv
	buffer_gl0_inv
	v_cmp_eq_u32_e32 vcc_lo, 0, v3
	s_and_b32 s76, vcc_lo, exec_lo
	s_or_b32 s75, s75, s76
	s_mov_b32 s77, -1
	s_or_b32 s73, s73, exec_lo
	s_and_saveexec_b32 s76, s75
	s_cbranch_execz .LBB6_328
.LBB6_332:                              ;   in Loop: Header=BB6_329 Depth=4
	s_sleep 1
	s_trap 2
	ds_read_b64 v[3:4], v0
	s_waitcnt lgkmcnt(0)
	buffer_gl0_inv
	s_andn2_b32 s73, s73, exec_lo
	v_cmp_ge_u64_e32 vcc_lo, v[3:4], v[70:71]
	s_orn2_b32 s77, vcc_lo, exec_lo
	s_branch .LBB6_328
.LBB6_333:                              ;   in Loop: Header=BB6_274 Depth=3
	s_inst_prefetch 0x2
	s_or_b32 exec_lo, exec_lo, s63
	s_and_saveexec_b32 s63, s72
	s_xor_b32 s63, exec_lo, s63
	s_cbranch_execz .LBB6_335
; %bb.334:                              ;   in Loop: Header=BB6_274 Depth=3
	ds_write_b32 v0, v57
	s_trap 2
.LBB6_335:                              ;   in Loop: Header=BB6_274 Depth=3
	s_or_b32 exec_lo, exec_lo, s62
	;;#ASMSTART
	s_wakeup
	;;#ASMEND
.LBB6_336:                              ;   in Loop: Header=BB6_274 Depth=3
	s_or_b32 exec_lo, exec_lo, s61
.LBB6_337:                              ;   in Loop: Header=BB6_274 Depth=3
	s_andn2_saveexec_b32 s17, s17
	s_cbranch_execz .LBB6_339
; %bb.338:                              ;   in Loop: Header=BB6_274 Depth=3
	s_waitcnt vmcnt(0) lgkmcnt(0)
	s_waitcnt_vscnt null, 0x0
	buffer_gl1_inv
	buffer_gl0_inv
	s_barrier
.LBB6_339:                              ;   in Loop: Header=BB6_274 Depth=3
	s_or_b32 exec_lo, exec_lo, s17
.LBB6_340:                              ;   in Loop: Header=BB6_274 Depth=3
	s_or_b32 exec_lo, exec_lo, s16
	s_trap 2
	ds_read_b64 v[112:113], v0
	s_waitcnt lgkmcnt(0)
	v_cmp_eq_u64_e32 vcc_lo, 0, v[112:113]
	s_cbranch_vccnz .LBB6_348
; %bb.341:                              ;   in Loop: Header=BB6_274 Depth=3
	s_trap 2
	ds_read_b64 v[114:115], v0
	s_waitcnt lgkmcnt(0)
	v_cmp_eq_u64_e32 vcc_lo, 0, v[114:115]
	s_cbranch_vccnz .LBB6_348
; %bb.342:                              ;   in Loop: Header=BB6_274 Depth=3
	s_mov_b32 s16, -1
	s_and_saveexec_b32 s17, s15
	s_cbranch_execz .LBB6_344
; %bb.343:                              ;   in Loop: Header=BB6_274 Depth=3
	ds_read_b32 v3, v0 offset:720
	s_waitcnt lgkmcnt(0)
	v_and_b32_e32 v3, 15, v3
	v_cmp_eq_u32_e32 vcc_lo, 0, v3
	s_orn2_b32 s16, vcc_lo, exec_lo
.LBB6_344:                              ;   in Loop: Header=BB6_274 Depth=3
	s_or_b32 exec_lo, exec_lo, s17
	s_and_saveexec_b32 s17, s14
	s_cbranch_execz .LBB6_346
; %bb.345:                              ;   in Loop: Header=BB6_274 Depth=3
	ds_read_b32 v3, v0 offset:784
	s_waitcnt lgkmcnt(0)
	v_and_b32_e32 v3, 15, v3
	v_cmp_eq_u32_e32 vcc_lo, 0, v3
	s_and_b32 s61, s16, vcc_lo
	s_andn2_b32 s16, s16, exec_lo
	s_and_b32 s61, s61, exec_lo
	s_or_b32 s16, s16, s61
.LBB6_346:                              ;   in Loop: Header=BB6_274 Depth=3
	s_or_b32 exec_lo, exec_lo, s17
	v_cmp_eq_u32_e32 vcc_lo, 0, v1
	s_xor_b32 s16, s16, -1
	v_mov_b32_e32 v14, v0
	v_cndmask_b32_e64 v4, 0, 1, s16
	v_mov_b32_e32 v8, v89
	v_cndmask_b32_e32 v3, 0, v100, vcc_lo
	s_mov_b32 s16, -1
	v_cmp_ne_u32_e32 vcc_lo, 0, v4
	v_mov_b32_e32 v4, 0
	v_mov_b32_e32 v5, v3
	s_cbranch_vccz .LBB6_353
; %bb.347:                              ;   in Loop: Header=BB6_274 Depth=3
	s_and_saveexec_b32 s17, s16
	s_cbranch_execnz .LBB6_2286
	s_branch .LBB6_3086
.LBB6_348:                              ;   in Loop: Header=BB6_274 Depth=3
	s_mov_b32 s16, 0
	s_and_saveexec_b32 s17, s6
	s_cbranch_execnz .LBB6_3087
.LBB6_349:                              ;   in Loop: Header=BB6_274 Depth=3
	s_or_b32 exec_lo, exec_lo, s17
                                        ; implicit-def: $vgpr1
	s_and_saveexec_b32 s17, s13
	s_xor_b32 s17, exec_lo, s17
	s_cbranch_execz .LBB6_3105
.LBB6_350:                              ;   in Loop: Header=BB6_274 Depth=3
	v_and_b32_e32 v1, 16, v44
	v_cmp_ne_u32_e32 vcc_lo, 0, v1
	v_and_b32_e32 v1, 16, v44
	s_and_b32 s61, vcc_lo, s16
	s_and_saveexec_b32 s16, s61
	s_cbranch_execz .LBB6_352
; %bb.351:                              ;   in Loop: Header=BB6_274 Depth=3
	v_mov_b32_e32 v1, 1
	s_waitcnt vmcnt(0) lgkmcnt(0)
	s_waitcnt_vscnt null, 0x0
	buffer_gl1_inv
	buffer_gl0_inv
.LBB6_352:                              ;   in Loop: Header=BB6_274 Depth=3
	s_or_b32 exec_lo, exec_lo, s16
	s_andn2_saveexec_b32 s16, s17
	s_cbranch_execz .LBB6_3124
	s_branch .LBB6_3106
.LBB6_353:                              ;   in Loop: Header=BB6_274 Depth=3
	v_ashrrev_i32_e32 v1, 31, v3
	s_mov_b32 s17, exec_lo
	v_lshrrev_b32_e32 v1, 21, v1
	v_add_nc_u32_e32 v1, v3, v1
	v_ashrrev_i32_e32 v110, 11, v1
	v_sub_nc_u32_e32 v101, v110, v89
	v_cmpx_lt_i32_e32 0, v101
	s_cbranch_execz .LBB6_1893
; %bb.354:                              ;   in Loop: Header=BB6_274 Depth=3
	s_trap 2
	s_clause 0x1
	buffer_load_dword v1, off, s[0:3], s33 offset:224
	buffer_load_dword v8, off, s[0:3], s33 offset:228
	ds_read_b64 v[4:5], v0
	s_mov_b32 s61, 0
	s_waitcnt vmcnt(1)
	v_add_co_u32 v116, vcc_lo, v112, v1
	s_waitcnt vmcnt(0)
	v_add_co_ci_u32_e64 v117, null, v113, v8, vcc_lo
	s_waitcnt lgkmcnt(0)
	v_add_co_u32 v118, vcc_lo, v4, v1
	v_add_co_ci_u32_e64 v119, null, v5, v8, vcc_lo
	v_add_co_u32 v40, vcc_lo, v114, v1
	v_add_co_ci_u32_e64 v41, null, v115, v8, vcc_lo
	s_branch .LBB6_358
.LBB6_355:                              ;   in Loop: Header=BB6_358 Depth=4
	s_or_b32 exec_lo, exec_lo, s16
	v_lshrrev_b32_e32 v15, 21, v87
	v_min_i32_e32 v86, 31, v79
	v_cmp_gt_i32_e32 vcc_lo, 32, v79
	v_and_b32_sdwa v11, v11, v60 dst_sel:DWORD dst_unused:UNUSED_PAD src0_sel:BYTE_3 src1_sel:DWORD
	v_lshlrev_b32_e32 v86, 2, v86
	v_cndmask_b32_e32 v15, 3, v15, vcc_lo
	v_and_b32_e32 v86, 0xfc, v86
	v_or_b32_e32 v87, v79, v15
	v_and_b32_e32 v15, 3, v15
	v_cmp_ne_u32_e32 vcc_lo, 0, v87
	v_or3_b32 v11, v11, v86, v15
	v_lshlrev_b32_e32 v11, 8, v11
	v_cndmask_b32_e32 v15, 0, v11, vcc_lo
.LBB6_356:                              ;   in Loop: Header=BB6_358 Depth=4
	s_or_b32 exec_lo, exec_lo, s63
.LBB6_357:                              ;   in Loop: Header=BB6_358 Depth=4
	s_or_b32 exec_lo, exec_lo, s62
	v_or_b32_sdwa v1, v16, v1 dst_sel:WORD_1 dst_unused:UNUSED_PAD src0_sel:DWORD src1_sel:DWORD
	v_or_b32_sdwa v11, v17, v124 dst_sel:WORD_1 dst_unused:UNUSED_PAD src0_sel:DWORD src1_sel:DWORD
	v_add_co_u32 v116, vcc_lo, v116, v77
	v_sub_nc_u32_e32 v101, v101, v47
	v_or3_b32 v16, v31, v35, v1
	v_or_b32_sdwa v1, v18, v91 dst_sel:WORD_1 dst_unused:UNUSED_PAD src0_sel:DWORD src1_sel:DWORD
	v_or3_b32 v17, v123, v20, v11
	v_add_co_ci_u32_e64 v117, null, 0, v117, vcc_lo
	v_add_co_u32 v118, vcc_lo, v118, v77
	v_or3_b32 v18, v125, v21, v1
	v_or_b32_sdwa v1, v19, v126 dst_sel:WORD_1 dst_unused:UNUSED_PAD src0_sel:DWORD src1_sel:DWORD
	v_add_co_ci_u32_e64 v119, null, 0, v119, vcc_lo
	v_or3_b32 v19, v107, v22, v1
	v_or_b32_sdwa v1, v25, v85 dst_sel:WORD_1 dst_unused:UNUSED_PAD src0_sel:DWORD src1_sel:DWORD
	v_or3_b32 v25, v84, v32, v1
	v_or_b32_sdwa v1, v24, v29 dst_sel:WORD_1 dst_unused:UNUSED_PAD src0_sel:DWORD src1_sel:DWORD
	;; [unrolled: 2-line block ×12, first 2 shown]
	v_or3_b32 v11, v108, v14, v1
	global_store_dwordx4 v[40:41], v[28:31], off glc slc
	global_store_dwordx4 v[40:41], v[24:27], off offset:512 glc slc
	global_store_dwordx4 v[40:41], v[16:19], off offset:1024 glc slc
	;; [unrolled: 1-line block ×3, first 2 shown]
	v_add_co_u32 v40, vcc_lo, v40, v77
	v_add_co_ci_u32_e64 v41, null, 0, v41, vcc_lo
	v_cmp_gt_i32_e32 vcc_lo, 1, v101
	s_or_b32 s61, vcc_lo, s61
	s_andn2_b32 exec_lo, exec_lo, s61
	s_cbranch_execz .LBB6_1892
.LBB6_358:                              ;   Parent Loop BB6_47 Depth=1
                                        ;     Parent Loop BB6_271 Depth=2
                                        ;       Parent Loop BB6_274 Depth=3
                                        ; =>      This Inner Loop Header: Depth=4
	s_clause 0x3
	global_load_dwordx4 v[48:51], v[116:117], off slc
	global_load_dwordx4 v[32:35], v[116:117], off offset:512 slc
	global_load_dwordx4 v[20:23], v[116:117], off offset:1024 slc
	;; [unrolled: 1-line block ×3, first 2 shown]
	s_clause 0x3
	global_load_dwordx4 v[36:39], v[118:119], off slc
	global_load_dwordx4 v[24:27], v[118:119], off offset:512 slc
	global_load_dwordx4 v[16:19], v[118:119], off offset:1024 slc
	;; [unrolled: 1-line block ×3, first 2 shown]
	s_mov_b32 s16, 0
	s_waitcnt vmcnt(7)
	v_cmp_gt_i16_sdwa s62, v48, v59 src0_sel:BYTE_0 src1_sel:DWORD
	s_and_saveexec_b32 s63, s62
	s_xor_b32 s62, exec_lo, s63
	s_cbranch_execz .LBB6_1636
; %bb.359:                              ;   in Loop: Header=BB6_358 Depth=4
	v_cmp_eq_u16_sdwa s72, v48, v60 src0_sel:BYTE_0 src1_sel:DWORD
	s_mov_b32 s16, -1
	s_and_saveexec_b32 s63, s72
; %bb.360:                              ;   in Loop: Header=BB6_358 Depth=4
	s_xor_b32 s16, exec_lo, -1
; %bb.361:                              ;   in Loop: Header=BB6_358 Depth=4
	s_or_b32 exec_lo, exec_lo, s63
	s_and_b32 s16, s16, exec_lo
	s_or_saveexec_b32 s62, s62
	v_mov_b32_e32 v1, 0x7f800001
	s_xor_b32 exec_lo, exec_lo, s62
	s_cbranch_execnz .LBB6_1637
.LBB6_362:                              ;   in Loop: Header=BB6_358 Depth=4
	s_or_b32 exec_lo, exec_lo, s62
	s_and_saveexec_b32 s62, s16
	s_cbranch_execz .LBB6_364
.LBB6_363:                              ;   in Loop: Header=BB6_358 Depth=4
	v_and_b32_e32 v1, 3, v48
	v_bfe_u32 v28, v48, 2, 5
	v_lshlrev_b32_e32 v29, 24, v48
	v_ffbh_u32_e32 v4, v1
	v_cmp_eq_u32_e32 vcc_lo, 0, v28
	v_min_u32_e32 v4, 32, v4
	v_subrev_nc_u32_e32 v5, 29, v4
	v_sub_nc_u32_e32 v4, 30, v4
	v_lshlrev_b32_e32 v5, v5, v48
	v_cndmask_b32_e32 v4, v28, v4, vcc_lo
	v_and_b32_e32 v5, 3, v5
	v_lshl_add_u32 v4, v4, 23, 0x37800000
	v_cndmask_b32_e32 v1, v1, v5, vcc_lo
	v_and_b32_e32 v5, 0x80000000, v29
	v_lshlrev_b32_e32 v1, 21, v1
	v_or3_b32 v1, v5, v4, v1
.LBB6_364:                              ;   in Loop: Header=BB6_358 Depth=4
	s_or_b32 exec_lo, exec_lo, s62
	s_waitcnt vmcnt(3)
	v_cmp_gt_i16_sdwa s62, v36, v59 src0_sel:BYTE_0 src1_sel:DWORD
	s_mov_b32 s16, 0
	s_and_saveexec_b32 s63, s62
	s_xor_b32 s62, exec_lo, s63
	s_cbranch_execz .LBB6_1638
; %bb.365:                              ;   in Loop: Header=BB6_358 Depth=4
	v_cmp_eq_u16_sdwa s72, v36, v60 src0_sel:BYTE_0 src1_sel:DWORD
	s_mov_b32 s16, -1
	s_and_saveexec_b32 s63, s72
; %bb.366:                              ;   in Loop: Header=BB6_358 Depth=4
	s_xor_b32 s16, exec_lo, -1
; %bb.367:                              ;   in Loop: Header=BB6_358 Depth=4
	s_or_b32 exec_lo, exec_lo, s63
	s_and_b32 s16, s16, exec_lo
	s_or_saveexec_b32 s62, s62
	v_mov_b32_e32 v4, 0x7f800001
	s_xor_b32 exec_lo, exec_lo, s62
	s_cbranch_execnz .LBB6_1639
.LBB6_368:                              ;   in Loop: Header=BB6_358 Depth=4
	s_or_b32 exec_lo, exec_lo, s62
	s_and_saveexec_b32 s62, s16
	s_cbranch_execz .LBB6_370
.LBB6_369:                              ;   in Loop: Header=BB6_358 Depth=4
	v_and_b32_e32 v4, 3, v36
	v_bfe_u32 v29, v36, 2, 5
	v_lshlrev_b32_e32 v30, 24, v36
	v_ffbh_u32_e32 v5, v4
	v_cmp_eq_u32_e32 vcc_lo, 0, v29
	v_min_u32_e32 v5, 32, v5
	v_subrev_nc_u32_e32 v28, 29, v5
	v_sub_nc_u32_e32 v5, 30, v5
	v_lshlrev_b32_e32 v28, v28, v36
	v_cndmask_b32_e32 v5, v29, v5, vcc_lo
	v_and_b32_e32 v28, 3, v28
	v_lshl_add_u32 v5, v5, 23, 0x37800000
	v_cndmask_b32_e32 v4, v4, v28, vcc_lo
	v_and_b32_e32 v28, 0x80000000, v30
	v_lshlrev_b32_e32 v4, 21, v4
	v_or3_b32 v4, v28, v5, v4
.LBB6_370:                              ;   in Loop: Header=BB6_358 Depth=4
	s_or_b32 exec_lo, exec_lo, s62
	v_mul_f32_e32 v1, v1, v4
	v_mov_b32_e32 v111, 0x80
	s_mov_b32 s62, exec_lo
	v_and_b32_e32 v4, 0x7f800000, v1
	v_cmpx_ne_u32_e32 0x7f800000, v4
	s_cbranch_execz .LBB6_378
; %bb.371:                              ;   in Loop: Header=BB6_358 Depth=4
	v_mov_b32_e32 v111, 0
	s_mov_b32 s63, exec_lo
	v_cmpx_ne_u32_e32 0, v1
	s_cbranch_execz .LBB6_377
; %bb.372:                              ;   in Loop: Header=BB6_358 Depth=4
	v_bfe_u32 v5, v1, 23, 8
	v_and_b32_e32 v4, 0x7fffff, v1
	v_cmp_gt_u32_e64 s16, 0x71, v5
	v_sub_nc_u32_e32 v28, 0x70, v5
	v_cmp_eq_u32_e32 vcc_lo, 0, v5
	v_or_b32_e32 v29, 0x800000, v4
	v_cndmask_b32_e64 v28, 0, v28, s16
	v_cndmask_b32_e32 v4, v29, v4, vcc_lo
	v_cndmask_b32_e64 v28, v28, 0x6f, vcc_lo
	v_lshl_add_u32 v29, 0x200000, v28, -1
	v_lshlrev_b32_e64 v30, v28, 0x100000
	v_and_b32_e32 v29, v29, v4
	v_cmp_eq_u32_e64 s16, v29, v30
	v_lshrrev_b32_e32 v29, v28, v4
	v_add_nc_u32_e32 v4, 0xffffff91, v5
	v_lshrrev_b32_e32 v5, 23, v29
	v_cndmask_b32_e64 v4, v4, 0xffffff92, vcc_lo
	v_xor_b32_e32 v5, 1, v5
	v_add_nc_u32_e32 v4, v28, v4
	v_bfe_u32 v28, v29, 21, 1
	v_add_nc_u32_e32 v28, -1, v28
	v_cndmask_b32_e64 v28, 0, v28, s16
	s_mov_b32 s16, exec_lo
	v_add_nc_u32_e32 v28, v28, v29
	v_and_b32_e32 v28, 0x1fffff, v28
	v_add_nc_u32_e32 v29, v28, v29
                                        ; implicit-def: $vgpr28
	v_cmpx_ne_u32_e64 v4, v5
	s_xor_b32 s16, exec_lo, s16
; %bb.373:                              ;   in Loop: Header=BB6_358 Depth=4
	v_cmp_lt_u32_e32 vcc_lo, 0xffffff, v29
	v_sub_nc_u32_e32 v4, v4, v5
	v_cndmask_b32_e64 v5, 0, 1, vcc_lo
	v_add_co_ci_u32_e64 v28, null, 0, v4, vcc_lo
	v_lshrrev_b32_e32 v29, v5, v29
; %bb.374:                              ;   in Loop: Header=BB6_358 Depth=4
	s_andn2_saveexec_b32 s16, s16
; %bb.375:                              ;   in Loop: Header=BB6_358 Depth=4
	v_bfe_u32 v28, v29, 23, 1
; %bb.376:                              ;   in Loop: Header=BB6_358 Depth=4
	s_or_b32 exec_lo, exec_lo, s16
	v_lshrrev_b32_e32 v4, 21, v29
	v_min_i32_e32 v5, 31, v28
	v_cmp_gt_i32_e32 vcc_lo, 32, v28
	v_and_b32_sdwa v1, v1, v60 dst_sel:DWORD dst_unused:UNUSED_PAD src0_sel:BYTE_3 src1_sel:DWORD
	v_lshlrev_b32_e32 v5, 2, v5
	v_cndmask_b32_e32 v4, 3, v4, vcc_lo
	v_and_b32_e32 v5, 0xfc, v5
	v_and_b32_e32 v29, 3, v4
	v_or_b32_e32 v4, v28, v4
	v_or3_b32 v1, v5, v1, v29
	v_cmp_ne_u32_e32 vcc_lo, 0, v4
	v_cndmask_b32_e32 v111, 0, v1, vcc_lo
.LBB6_377:                              ;   in Loop: Header=BB6_358 Depth=4
	s_or_b32 exec_lo, exec_lo, s63
.LBB6_378:                              ;   in Loop: Header=BB6_358 Depth=4
	s_or_b32 exec_lo, exec_lo, s62
	v_cmp_gt_i16_sdwa s62, v48, v59 src0_sel:BYTE_1 src1_sel:DWORD
	s_mov_b32 s16, 0
	s_and_saveexec_b32 s63, s62
	s_xor_b32 s62, exec_lo, s63
	s_cbranch_execz .LBB6_1640
; %bb.379:                              ;   in Loop: Header=BB6_358 Depth=4
	v_cmp_eq_u16_sdwa s72, v48, v60 src0_sel:BYTE_1 src1_sel:DWORD
	s_mov_b32 s16, -1
	s_and_saveexec_b32 s63, s72
; %bb.380:                              ;   in Loop: Header=BB6_358 Depth=4
	s_xor_b32 s16, exec_lo, -1
; %bb.381:                              ;   in Loop: Header=BB6_358 Depth=4
	s_or_b32 exec_lo, exec_lo, s63
	s_and_b32 s16, s16, exec_lo
	s_or_saveexec_b32 s62, s62
	v_mov_b32_e32 v1, 0x7f800001
	s_xor_b32 exec_lo, exec_lo, s62
	s_cbranch_execnz .LBB6_1641
.LBB6_382:                              ;   in Loop: Header=BB6_358 Depth=4
	s_or_b32 exec_lo, exec_lo, s62
	s_and_saveexec_b32 s62, s16
	s_cbranch_execz .LBB6_384
.LBB6_383:                              ;   in Loop: Header=BB6_358 Depth=4
	v_and_b32_sdwa v1, v61, v48 dst_sel:DWORD dst_unused:UNUSED_PAD src0_sel:DWORD src1_sel:BYTE_1
	v_and_b32_e32 v4, 3, v1
	v_bfe_u32 v29, v1, 2, 5
	v_ffbh_u32_e32 v5, v4
	v_cmp_eq_u32_e32 vcc_lo, 0, v29
	v_min_u32_e32 v5, 32, v5
	v_subrev_nc_u32_e32 v28, 29, v5
	v_sub_nc_u32_e32 v5, 30, v5
	v_lshlrev_b32_e32 v1, v28, v1
	v_lshlrev_b32_sdwa v28, v62, v48 dst_sel:DWORD dst_unused:UNUSED_PAD src0_sel:DWORD src1_sel:BYTE_1
	v_cndmask_b32_e32 v5, v29, v5, vcc_lo
	v_and_b32_e32 v1, 3, v1
	v_lshl_add_u32 v5, v5, 23, 0x37800000
	v_cndmask_b32_e32 v1, v4, v1, vcc_lo
	v_and_b32_e32 v4, 0x80000000, v28
	v_lshlrev_b32_e32 v1, 21, v1
	v_or3_b32 v1, v4, v5, v1
.LBB6_384:                              ;   in Loop: Header=BB6_358 Depth=4
	s_or_b32 exec_lo, exec_lo, s62
	v_cmp_gt_i16_sdwa s62, v36, v59 src0_sel:BYTE_1 src1_sel:DWORD
	s_mov_b32 s16, 0
	s_and_saveexec_b32 s63, s62
	s_xor_b32 s62, exec_lo, s63
	s_cbranch_execz .LBB6_1642
; %bb.385:                              ;   in Loop: Header=BB6_358 Depth=4
	v_cmp_eq_u16_sdwa s72, v36, v60 src0_sel:BYTE_1 src1_sel:DWORD
	s_mov_b32 s16, -1
	s_and_saveexec_b32 s63, s72
; %bb.386:                              ;   in Loop: Header=BB6_358 Depth=4
	s_xor_b32 s16, exec_lo, -1
; %bb.387:                              ;   in Loop: Header=BB6_358 Depth=4
	s_or_b32 exec_lo, exec_lo, s63
	s_and_b32 s16, s16, exec_lo
	s_or_saveexec_b32 s62, s62
	v_mov_b32_e32 v4, 0x7f800001
	s_xor_b32 exec_lo, exec_lo, s62
	s_cbranch_execnz .LBB6_1643
.LBB6_388:                              ;   in Loop: Header=BB6_358 Depth=4
	s_or_b32 exec_lo, exec_lo, s62
	s_and_saveexec_b32 s62, s16
	s_cbranch_execz .LBB6_390
.LBB6_389:                              ;   in Loop: Header=BB6_358 Depth=4
	v_and_b32_sdwa v4, v61, v36 dst_sel:DWORD dst_unused:UNUSED_PAD src0_sel:DWORD src1_sel:BYTE_1
	v_and_b32_e32 v5, 3, v4
	v_bfe_u32 v30, v4, 2, 5
	v_ffbh_u32_e32 v28, v5
	v_cmp_eq_u32_e32 vcc_lo, 0, v30
	v_min_u32_e32 v28, 32, v28
	v_subrev_nc_u32_e32 v29, 29, v28
	v_sub_nc_u32_e32 v28, 30, v28
	v_lshlrev_b32_e32 v4, v29, v4
	v_lshlrev_b32_sdwa v29, v62, v36 dst_sel:DWORD dst_unused:UNUSED_PAD src0_sel:DWORD src1_sel:BYTE_1
	v_cndmask_b32_e32 v28, v30, v28, vcc_lo
	v_and_b32_e32 v4, 3, v4
	v_lshl_add_u32 v28, v28, 23, 0x37800000
	v_cndmask_b32_e32 v4, v5, v4, vcc_lo
	v_and_b32_e32 v5, 0x80000000, v29
	v_lshlrev_b32_e32 v4, 21, v4
	v_or3_b32 v4, v5, v28, v4
.LBB6_390:                              ;   in Loop: Header=BB6_358 Depth=4
	s_or_b32 exec_lo, exec_lo, s62
	v_mul_f32_e32 v1, v1, v4
	v_mov_b32_e32 v120, 0x8000
	s_mov_b32 s62, exec_lo
	v_and_b32_e32 v4, 0x7f800000, v1
	v_cmpx_ne_u32_e32 0x7f800000, v4
	s_cbranch_execz .LBB6_398
; %bb.391:                              ;   in Loop: Header=BB6_358 Depth=4
	v_mov_b32_e32 v120, 0
	s_mov_b32 s63, exec_lo
	v_cmpx_ne_u32_e32 0, v1
	s_cbranch_execz .LBB6_397
; %bb.392:                              ;   in Loop: Header=BB6_358 Depth=4
	v_bfe_u32 v5, v1, 23, 8
	v_and_b32_e32 v4, 0x7fffff, v1
	v_cmp_gt_u32_e64 s16, 0x71, v5
	v_sub_nc_u32_e32 v28, 0x70, v5
	v_cmp_eq_u32_e32 vcc_lo, 0, v5
	v_or_b32_e32 v29, 0x800000, v4
	v_cndmask_b32_e64 v28, 0, v28, s16
	v_cndmask_b32_e32 v4, v29, v4, vcc_lo
	v_cndmask_b32_e64 v28, v28, 0x6f, vcc_lo
	v_lshl_add_u32 v29, 0x200000, v28, -1
	v_lshlrev_b32_e64 v30, v28, 0x100000
	v_and_b32_e32 v29, v29, v4
	v_cmp_eq_u32_e64 s16, v29, v30
	v_lshrrev_b32_e32 v29, v28, v4
	v_add_nc_u32_e32 v4, 0xffffff91, v5
	v_lshrrev_b32_e32 v5, 23, v29
	v_cndmask_b32_e64 v4, v4, 0xffffff92, vcc_lo
	v_xor_b32_e32 v5, 1, v5
	v_add_nc_u32_e32 v4, v28, v4
	v_bfe_u32 v28, v29, 21, 1
	v_add_nc_u32_e32 v28, -1, v28
	v_cndmask_b32_e64 v28, 0, v28, s16
	s_mov_b32 s16, exec_lo
	v_add_nc_u32_e32 v28, v28, v29
	v_and_b32_e32 v28, 0x1fffff, v28
	v_add_nc_u32_e32 v29, v28, v29
                                        ; implicit-def: $vgpr28
	v_cmpx_ne_u32_e64 v4, v5
	s_xor_b32 s16, exec_lo, s16
; %bb.393:                              ;   in Loop: Header=BB6_358 Depth=4
	v_cmp_lt_u32_e32 vcc_lo, 0xffffff, v29
	v_sub_nc_u32_e32 v4, v4, v5
	v_cndmask_b32_e64 v5, 0, 1, vcc_lo
	v_add_co_ci_u32_e64 v28, null, 0, v4, vcc_lo
	v_lshrrev_b32_e32 v29, v5, v29
; %bb.394:                              ;   in Loop: Header=BB6_358 Depth=4
	s_andn2_saveexec_b32 s16, s16
; %bb.395:                              ;   in Loop: Header=BB6_358 Depth=4
	v_bfe_u32 v28, v29, 23, 1
; %bb.396:                              ;   in Loop: Header=BB6_358 Depth=4
	s_or_b32 exec_lo, exec_lo, s16
	v_lshrrev_b32_e32 v4, 21, v29
	v_min_i32_e32 v5, 31, v28
	v_cmp_gt_i32_e32 vcc_lo, 32, v28
	v_and_b32_sdwa v1, v1, v60 dst_sel:DWORD dst_unused:UNUSED_PAD src0_sel:BYTE_3 src1_sel:DWORD
	v_lshlrev_b32_e32 v5, 2, v5
	v_cndmask_b32_e32 v4, 3, v4, vcc_lo
	v_and_b32_e32 v5, 0xfc, v5
	v_and_b32_e32 v29, 3, v4
	v_or_b32_e32 v4, v28, v4
	v_or3_b32 v1, v1, v5, v29
	v_cmp_ne_u32_e32 vcc_lo, 0, v4
	v_lshlrev_b32_e32 v1, 8, v1
	v_cndmask_b32_e32 v120, 0, v1, vcc_lo
.LBB6_397:                              ;   in Loop: Header=BB6_358 Depth=4
	s_or_b32 exec_lo, exec_lo, s63
.LBB6_398:                              ;   in Loop: Header=BB6_358 Depth=4
	s_or_b32 exec_lo, exec_lo, s62
	v_and_b32_sdwa v4, v48, v63 dst_sel:DWORD dst_unused:UNUSED_PAD src0_sel:WORD_1 src1_sel:DWORD
	s_mov_b32 s16, 0
	s_mov_b32 s62, exec_lo
	v_cmpx_lt_i16_e32 0x7f, v4
	s_xor_b32 s62, exec_lo, s62
	s_cbranch_execz .LBB6_1644
; %bb.399:                              ;   in Loop: Header=BB6_358 Depth=4
	s_mov_b32 s16, -1
	s_mov_b32 s63, exec_lo
	v_cmpx_eq_u16_e32 0x80, v4
; %bb.400:                              ;   in Loop: Header=BB6_358 Depth=4
	s_xor_b32 s16, exec_lo, -1
; %bb.401:                              ;   in Loop: Header=BB6_358 Depth=4
	s_or_b32 exec_lo, exec_lo, s63
	s_and_b32 s16, s16, exec_lo
                                        ; implicit-def: $vgpr4
	s_or_saveexec_b32 s62, s62
	v_mov_b32_e32 v1, 0x7f800001
	s_xor_b32 exec_lo, exec_lo, s62
	s_cbranch_execnz .LBB6_1645
.LBB6_402:                              ;   in Loop: Header=BB6_358 Depth=4
	s_or_b32 exec_lo, exec_lo, s62
	s_and_saveexec_b32 s62, s16
	s_cbranch_execz .LBB6_404
.LBB6_403:                              ;   in Loop: Header=BB6_358 Depth=4
	v_bfe_u32 v1, v48, 16, 2
	v_bfe_u32 v28, v48, 18, 5
	v_lshlrev_b32_e32 v29, 8, v48
	v_ffbh_u32_e32 v4, v1
	v_cmp_eq_u32_e32 vcc_lo, 0, v28
	v_min_u32_e32 v4, 32, v4
	v_subrev_nc_u32_e32 v5, 29, v4
	v_sub_nc_u32_e32 v4, 30, v4
	v_lshlrev_b32_sdwa v5, v5, v48 dst_sel:DWORD dst_unused:UNUSED_PAD src0_sel:DWORD src1_sel:WORD_1
	v_cndmask_b32_e32 v4, v28, v4, vcc_lo
	v_and_b32_e32 v5, 3, v5
	v_lshl_add_u32 v4, v4, 23, 0x37800000
	v_cndmask_b32_e32 v1, v1, v5, vcc_lo
	v_and_b32_e32 v5, 0x80000000, v29
	v_lshlrev_b32_e32 v1, 21, v1
	v_or3_b32 v1, v5, v4, v1
.LBB6_404:                              ;   in Loop: Header=BB6_358 Depth=4
	s_or_b32 exec_lo, exec_lo, s62
	v_and_b32_sdwa v5, v36, v63 dst_sel:DWORD dst_unused:UNUSED_PAD src0_sel:WORD_1 src1_sel:DWORD
	s_mov_b32 s62, 0
	s_mov_b32 s16, exec_lo
	v_cmpx_lt_i16_e32 0x7f, v5
	s_xor_b32 s16, exec_lo, s16
	s_cbranch_execz .LBB6_1646
; %bb.405:                              ;   in Loop: Header=BB6_358 Depth=4
	s_mov_b32 s62, -1
	s_mov_b32 s63, exec_lo
	v_cmpx_eq_u16_e32 0x80, v5
; %bb.406:                              ;   in Loop: Header=BB6_358 Depth=4
	s_xor_b32 s62, exec_lo, -1
; %bb.407:                              ;   in Loop: Header=BB6_358 Depth=4
	s_or_b32 exec_lo, exec_lo, s63
	s_and_b32 s62, s62, exec_lo
                                        ; implicit-def: $vgpr5
	s_or_saveexec_b32 s16, s16
	v_mov_b32_e32 v4, 0x7f800001
	s_xor_b32 exec_lo, exec_lo, s16
	s_cbranch_execnz .LBB6_1647
.LBB6_408:                              ;   in Loop: Header=BB6_358 Depth=4
	s_or_b32 exec_lo, exec_lo, s16
	s_and_saveexec_b32 s16, s62
	s_cbranch_execz .LBB6_410
.LBB6_409:                              ;   in Loop: Header=BB6_358 Depth=4
	v_bfe_u32 v4, v36, 16, 2
	v_bfe_u32 v5, v36, 18, 5
	v_ffbh_u32_e32 v28, v4
	v_cmp_eq_u32_e32 vcc_lo, 0, v5
	v_min_u32_e32 v28, 32, v28
	v_subrev_nc_u32_e32 v29, 29, v28
	v_sub_nc_u32_e32 v28, 30, v28
	v_lshlrev_b32_sdwa v29, v29, v36 dst_sel:DWORD dst_unused:UNUSED_PAD src0_sel:DWORD src1_sel:WORD_1
	v_cndmask_b32_e32 v5, v5, v28, vcc_lo
	v_lshlrev_b32_e32 v28, 8, v36
	v_and_b32_e32 v29, 3, v29
	v_lshl_add_u32 v5, v5, 23, 0x37800000
	v_and_b32_e32 v28, 0x80000000, v28
	v_cndmask_b32_e32 v4, v4, v29, vcc_lo
	v_lshlrev_b32_e32 v4, 21, v4
	v_or3_b32 v4, v28, v5, v4
.LBB6_410:                              ;   in Loop: Header=BB6_358 Depth=4
	s_or_b32 exec_lo, exec_lo, s16
	v_mul_f32_e32 v1, v1, v4
	v_mov_b32_e32 v121, 0x80
	s_mov_b32 s62, exec_lo
	v_and_b32_e32 v4, 0x7f800000, v1
	v_cmpx_ne_u32_e32 0x7f800000, v4
	s_cbranch_execz .LBB6_418
; %bb.411:                              ;   in Loop: Header=BB6_358 Depth=4
	v_mov_b32_e32 v121, 0
	s_mov_b32 s63, exec_lo
	v_cmpx_ne_u32_e32 0, v1
	s_cbranch_execz .LBB6_417
; %bb.412:                              ;   in Loop: Header=BB6_358 Depth=4
	v_bfe_u32 v5, v1, 23, 8
	v_and_b32_e32 v4, 0x7fffff, v1
	v_cmp_gt_u32_e64 s16, 0x71, v5
	v_sub_nc_u32_e32 v28, 0x70, v5
	v_cmp_eq_u32_e32 vcc_lo, 0, v5
	v_or_b32_e32 v29, 0x800000, v4
	v_cndmask_b32_e64 v28, 0, v28, s16
	v_cndmask_b32_e32 v4, v29, v4, vcc_lo
	v_cndmask_b32_e64 v28, v28, 0x6f, vcc_lo
	v_lshl_add_u32 v29, 0x200000, v28, -1
	v_lshlrev_b32_e64 v30, v28, 0x100000
	v_and_b32_e32 v29, v29, v4
	v_cmp_eq_u32_e64 s16, v29, v30
	v_lshrrev_b32_e32 v29, v28, v4
	v_add_nc_u32_e32 v4, 0xffffff91, v5
	v_lshrrev_b32_e32 v5, 23, v29
	v_cndmask_b32_e64 v4, v4, 0xffffff92, vcc_lo
	v_xor_b32_e32 v5, 1, v5
	v_add_nc_u32_e32 v4, v28, v4
	v_bfe_u32 v28, v29, 21, 1
	v_add_nc_u32_e32 v28, -1, v28
	v_cndmask_b32_e64 v28, 0, v28, s16
	s_mov_b32 s16, exec_lo
	v_add_nc_u32_e32 v28, v28, v29
	v_and_b32_e32 v28, 0x1fffff, v28
	v_add_nc_u32_e32 v29, v28, v29
                                        ; implicit-def: $vgpr28
	v_cmpx_ne_u32_e64 v4, v5
	s_xor_b32 s16, exec_lo, s16
; %bb.413:                              ;   in Loop: Header=BB6_358 Depth=4
	v_cmp_lt_u32_e32 vcc_lo, 0xffffff, v29
	v_sub_nc_u32_e32 v4, v4, v5
	v_cndmask_b32_e64 v5, 0, 1, vcc_lo
	v_add_co_ci_u32_e64 v28, null, 0, v4, vcc_lo
	v_lshrrev_b32_e32 v29, v5, v29
; %bb.414:                              ;   in Loop: Header=BB6_358 Depth=4
	s_andn2_saveexec_b32 s16, s16
; %bb.415:                              ;   in Loop: Header=BB6_358 Depth=4
	v_bfe_u32 v28, v29, 23, 1
; %bb.416:                              ;   in Loop: Header=BB6_358 Depth=4
	s_or_b32 exec_lo, exec_lo, s16
	v_lshrrev_b32_e32 v4, 21, v29
	v_min_i32_e32 v5, 31, v28
	v_cmp_gt_i32_e32 vcc_lo, 32, v28
	v_and_b32_sdwa v1, v1, v60 dst_sel:DWORD dst_unused:UNUSED_PAD src0_sel:BYTE_3 src1_sel:DWORD
	v_lshlrev_b32_e32 v5, 2, v5
	v_cndmask_b32_e32 v4, 3, v4, vcc_lo
	v_and_b32_e32 v5, 0xfc, v5
	v_and_b32_e32 v29, 3, v4
	v_or_b32_e32 v4, v28, v4
	v_or3_b32 v1, v5, v1, v29
	v_cmp_ne_u32_e32 vcc_lo, 0, v4
	v_cndmask_b32_e32 v121, 0, v1, vcc_lo
.LBB6_417:                              ;   in Loop: Header=BB6_358 Depth=4
	s_or_b32 exec_lo, exec_lo, s63
.LBB6_418:                              ;   in Loop: Header=BB6_358 Depth=4
	s_or_b32 exec_lo, exec_lo, s62
	v_cmp_gt_i16_sdwa s62, v48, v59 src0_sel:BYTE_3 src1_sel:DWORD
	s_mov_b32 s16, 0
	s_and_saveexec_b32 s63, s62
	s_xor_b32 s62, exec_lo, s63
	s_cbranch_execz .LBB6_1648
; %bb.419:                              ;   in Loop: Header=BB6_358 Depth=4
	v_cmp_eq_u16_sdwa s72, v48, v60 src0_sel:BYTE_3 src1_sel:DWORD
	s_mov_b32 s16, -1
	s_and_saveexec_b32 s63, s72
; %bb.420:                              ;   in Loop: Header=BB6_358 Depth=4
	s_xor_b32 s16, exec_lo, -1
; %bb.421:                              ;   in Loop: Header=BB6_358 Depth=4
	s_or_b32 exec_lo, exec_lo, s63
	s_and_b32 s16, s16, exec_lo
	s_or_saveexec_b32 s62, s62
	v_mov_b32_e32 v1, 0x7f800001
	s_xor_b32 exec_lo, exec_lo, s62
	s_cbranch_execnz .LBB6_1649
.LBB6_422:                              ;   in Loop: Header=BB6_358 Depth=4
	s_or_b32 exec_lo, exec_lo, s62
	s_and_saveexec_b32 s62, s16
	s_cbranch_execz .LBB6_424
.LBB6_423:                              ;   in Loop: Header=BB6_358 Depth=4
	v_bfe_u32 v1, v48, 24, 2
	v_bfe_u32 v28, v48, 26, 5
	v_ffbh_u32_e32 v4, v1
	v_cmp_eq_u32_e32 vcc_lo, 0, v28
	v_min_u32_e32 v4, 32, v4
	v_subrev_nc_u32_e32 v5, 29, v4
	v_sub_nc_u32_e32 v4, 30, v4
	v_lshlrev_b32_sdwa v5, v5, v48 dst_sel:DWORD dst_unused:UNUSED_PAD src0_sel:DWORD src1_sel:BYTE_3
	v_cndmask_b32_e32 v4, v28, v4, vcc_lo
	v_and_b32_e32 v5, 3, v5
	v_lshl_add_u32 v4, v4, 23, 0x37800000
	v_cndmask_b32_e32 v1, v1, v5, vcc_lo
	v_and_b32_e32 v5, 0x80000000, v48
	v_lshlrev_b32_e32 v1, 21, v1
	v_or3_b32 v1, v5, v4, v1
.LBB6_424:                              ;   in Loop: Header=BB6_358 Depth=4
	s_or_b32 exec_lo, exec_lo, s62
	v_cmp_gt_i16_sdwa s62, v36, v59 src0_sel:BYTE_3 src1_sel:DWORD
	s_mov_b32 s16, 0
	s_and_saveexec_b32 s63, s62
	s_xor_b32 s62, exec_lo, s63
	s_cbranch_execz .LBB6_1650
; %bb.425:                              ;   in Loop: Header=BB6_358 Depth=4
	v_cmp_eq_u16_sdwa s72, v36, v60 src0_sel:BYTE_3 src1_sel:DWORD
	s_mov_b32 s16, -1
	s_and_saveexec_b32 s63, s72
; %bb.426:                              ;   in Loop: Header=BB6_358 Depth=4
	s_xor_b32 s16, exec_lo, -1
; %bb.427:                              ;   in Loop: Header=BB6_358 Depth=4
	s_or_b32 exec_lo, exec_lo, s63
	s_and_b32 s16, s16, exec_lo
	s_or_saveexec_b32 s62, s62
	v_mov_b32_e32 v4, 0x7f800001
	s_xor_b32 exec_lo, exec_lo, s62
	s_cbranch_execnz .LBB6_1651
.LBB6_428:                              ;   in Loop: Header=BB6_358 Depth=4
	s_or_b32 exec_lo, exec_lo, s62
	s_and_saveexec_b32 s62, s16
	s_cbranch_execz .LBB6_430
.LBB6_429:                              ;   in Loop: Header=BB6_358 Depth=4
	v_bfe_u32 v4, v36, 24, 2
	v_bfe_u32 v29, v36, 26, 5
	v_ffbh_u32_e32 v5, v4
	v_cmp_eq_u32_e32 vcc_lo, 0, v29
	v_min_u32_e32 v5, 32, v5
	v_subrev_nc_u32_e32 v28, 29, v5
	v_sub_nc_u32_e32 v5, 30, v5
	v_lshlrev_b32_sdwa v28, v28, v36 dst_sel:DWORD dst_unused:UNUSED_PAD src0_sel:DWORD src1_sel:BYTE_3
	v_cndmask_b32_e32 v5, v29, v5, vcc_lo
	v_and_b32_e32 v28, 3, v28
	v_lshl_add_u32 v5, v5, 23, 0x37800000
	v_cndmask_b32_e32 v4, v4, v28, vcc_lo
	v_and_b32_e32 v28, 0x80000000, v36
	v_lshlrev_b32_e32 v4, 21, v4
	v_or3_b32 v4, v28, v5, v4
.LBB6_430:                              ;   in Loop: Header=BB6_358 Depth=4
	s_or_b32 exec_lo, exec_lo, s62
	v_mul_f32_e32 v1, v1, v4
	v_mov_b32_e32 v36, 0x8000
	s_mov_b32 s62, exec_lo
	v_and_b32_e32 v4, 0x7f800000, v1
	v_cmpx_ne_u32_e32 0x7f800000, v4
	s_cbranch_execz .LBB6_438
; %bb.431:                              ;   in Loop: Header=BB6_358 Depth=4
	v_mov_b32_e32 v36, 0
	s_mov_b32 s63, exec_lo
	v_cmpx_ne_u32_e32 0, v1
	s_cbranch_execz .LBB6_437
; %bb.432:                              ;   in Loop: Header=BB6_358 Depth=4
	v_bfe_u32 v5, v1, 23, 8
	v_and_b32_e32 v4, 0x7fffff, v1
	v_cmp_gt_u32_e64 s16, 0x71, v5
	v_sub_nc_u32_e32 v28, 0x70, v5
	v_cmp_eq_u32_e32 vcc_lo, 0, v5
	v_or_b32_e32 v29, 0x800000, v4
	v_cndmask_b32_e64 v28, 0, v28, s16
	v_cndmask_b32_e32 v4, v29, v4, vcc_lo
	v_cndmask_b32_e64 v28, v28, 0x6f, vcc_lo
	v_lshl_add_u32 v29, 0x200000, v28, -1
	v_lshlrev_b32_e64 v30, v28, 0x100000
	v_and_b32_e32 v29, v29, v4
	v_cmp_eq_u32_e64 s16, v29, v30
	v_lshrrev_b32_e32 v29, v28, v4
	v_add_nc_u32_e32 v4, 0xffffff91, v5
	v_lshrrev_b32_e32 v5, 23, v29
	v_cndmask_b32_e64 v4, v4, 0xffffff92, vcc_lo
	v_xor_b32_e32 v5, 1, v5
	v_add_nc_u32_e32 v4, v28, v4
	v_bfe_u32 v28, v29, 21, 1
	v_add_nc_u32_e32 v28, -1, v28
	v_cndmask_b32_e64 v28, 0, v28, s16
	s_mov_b32 s16, exec_lo
	v_add_nc_u32_e32 v28, v28, v29
	v_and_b32_e32 v28, 0x1fffff, v28
	v_add_nc_u32_e32 v29, v28, v29
                                        ; implicit-def: $vgpr28
	v_cmpx_ne_u32_e64 v4, v5
	s_xor_b32 s16, exec_lo, s16
; %bb.433:                              ;   in Loop: Header=BB6_358 Depth=4
	v_cmp_lt_u32_e32 vcc_lo, 0xffffff, v29
	v_sub_nc_u32_e32 v4, v4, v5
	v_cndmask_b32_e64 v5, 0, 1, vcc_lo
	v_add_co_ci_u32_e64 v28, null, 0, v4, vcc_lo
	v_lshrrev_b32_e32 v29, v5, v29
; %bb.434:                              ;   in Loop: Header=BB6_358 Depth=4
	s_andn2_saveexec_b32 s16, s16
; %bb.435:                              ;   in Loop: Header=BB6_358 Depth=4
	v_bfe_u32 v28, v29, 23, 1
; %bb.436:                              ;   in Loop: Header=BB6_358 Depth=4
	s_or_b32 exec_lo, exec_lo, s16
	v_lshrrev_b32_e32 v4, 21, v29
	v_min_i32_e32 v5, 31, v28
	v_cmp_gt_i32_e32 vcc_lo, 32, v28
	v_and_b32_sdwa v1, v1, v60 dst_sel:DWORD dst_unused:UNUSED_PAD src0_sel:BYTE_3 src1_sel:DWORD
	v_lshlrev_b32_e32 v5, 2, v5
	v_cndmask_b32_e32 v4, 3, v4, vcc_lo
	v_and_b32_e32 v5, 0xfc, v5
	v_and_b32_e32 v29, 3, v4
	v_or_b32_e32 v4, v28, v4
	v_or3_b32 v1, v1, v5, v29
	v_cmp_ne_u32_e32 vcc_lo, 0, v4
	v_lshlrev_b32_e32 v1, 8, v1
	v_cndmask_b32_e32 v36, 0, v1, vcc_lo
.LBB6_437:                              ;   in Loop: Header=BB6_358 Depth=4
	s_or_b32 exec_lo, exec_lo, s63
.LBB6_438:                              ;   in Loop: Header=BB6_358 Depth=4
	s_or_b32 exec_lo, exec_lo, s62
	v_cmp_gt_i16_sdwa s62, v49, v59 src0_sel:BYTE_0 src1_sel:DWORD
	s_mov_b32 s16, 0
	s_and_saveexec_b32 s63, s62
	s_xor_b32 s62, exec_lo, s63
	s_cbranch_execz .LBB6_1652
; %bb.439:                              ;   in Loop: Header=BB6_358 Depth=4
	v_cmp_eq_u16_sdwa s72, v49, v60 src0_sel:BYTE_0 src1_sel:DWORD
	s_mov_b32 s16, -1
	s_and_saveexec_b32 s63, s72
; %bb.440:                              ;   in Loop: Header=BB6_358 Depth=4
	s_xor_b32 s16, exec_lo, -1
; %bb.441:                              ;   in Loop: Header=BB6_358 Depth=4
	s_or_b32 exec_lo, exec_lo, s63
	s_and_b32 s16, s16, exec_lo
	s_or_saveexec_b32 s62, s62
	v_mov_b32_e32 v1, 0x7f800001
	s_xor_b32 exec_lo, exec_lo, s62
	s_cbranch_execnz .LBB6_1653
.LBB6_442:                              ;   in Loop: Header=BB6_358 Depth=4
	s_or_b32 exec_lo, exec_lo, s62
	s_and_saveexec_b32 s62, s16
	s_cbranch_execz .LBB6_444
.LBB6_443:                              ;   in Loop: Header=BB6_358 Depth=4
	v_and_b32_e32 v1, 3, v49
	v_bfe_u32 v28, v49, 2, 5
	v_lshlrev_b32_e32 v29, 24, v49
	v_ffbh_u32_e32 v4, v1
	v_cmp_eq_u32_e32 vcc_lo, 0, v28
	v_min_u32_e32 v4, 32, v4
	v_subrev_nc_u32_e32 v5, 29, v4
	v_sub_nc_u32_e32 v4, 30, v4
	v_lshlrev_b32_e32 v5, v5, v49
	v_cndmask_b32_e32 v4, v28, v4, vcc_lo
	v_and_b32_e32 v5, 3, v5
	v_lshl_add_u32 v4, v4, 23, 0x37800000
	v_cndmask_b32_e32 v1, v1, v5, vcc_lo
	v_and_b32_e32 v5, 0x80000000, v29
	v_lshlrev_b32_e32 v1, 21, v1
	v_or3_b32 v1, v5, v4, v1
.LBB6_444:                              ;   in Loop: Header=BB6_358 Depth=4
	s_or_b32 exec_lo, exec_lo, s62
	v_cmp_gt_i16_sdwa s16, v37, v59 src0_sel:BYTE_0 src1_sel:DWORD
	s_mov_b32 s62, 0
	s_and_saveexec_b32 s63, s16
	s_xor_b32 s16, exec_lo, s63
	s_cbranch_execz .LBB6_1654
; %bb.445:                              ;   in Loop: Header=BB6_358 Depth=4
	v_cmp_eq_u16_sdwa s72, v37, v60 src0_sel:BYTE_0 src1_sel:DWORD
	s_mov_b32 s62, -1
	s_and_saveexec_b32 s63, s72
; %bb.446:                              ;   in Loop: Header=BB6_358 Depth=4
	s_xor_b32 s62, exec_lo, -1
; %bb.447:                              ;   in Loop: Header=BB6_358 Depth=4
	s_or_b32 exec_lo, exec_lo, s63
	s_and_b32 s62, s62, exec_lo
	s_or_saveexec_b32 s16, s16
	v_mov_b32_e32 v4, 0x7f800001
	s_xor_b32 exec_lo, exec_lo, s16
	s_cbranch_execnz .LBB6_1655
.LBB6_448:                              ;   in Loop: Header=BB6_358 Depth=4
	s_or_b32 exec_lo, exec_lo, s16
	s_and_saveexec_b32 s16, s62
	s_cbranch_execz .LBB6_450
.LBB6_449:                              ;   in Loop: Header=BB6_358 Depth=4
	v_and_b32_e32 v4, 3, v37
	v_bfe_u32 v5, v37, 2, 5
	v_ffbh_u32_e32 v28, v4
	v_cmp_eq_u32_e32 vcc_lo, 0, v5
	v_min_u32_e32 v28, 32, v28
	v_subrev_nc_u32_e32 v29, 29, v28
	v_sub_nc_u32_e32 v28, 30, v28
	v_lshlrev_b32_e32 v29, v29, v37
	v_cndmask_b32_e32 v5, v5, v28, vcc_lo
	v_lshlrev_b32_e32 v28, 24, v37
	v_and_b32_e32 v29, 3, v29
	v_lshl_add_u32 v5, v5, 23, 0x37800000
	v_and_b32_e32 v28, 0x80000000, v28
	v_cndmask_b32_e32 v4, v4, v29, vcc_lo
	v_lshlrev_b32_e32 v4, 21, v4
	v_or3_b32 v4, v28, v5, v4
.LBB6_450:                              ;   in Loop: Header=BB6_358 Depth=4
	s_or_b32 exec_lo, exec_lo, s16
	v_mul_f32_e32 v1, v1, v4
	v_mov_b32_e32 v48, 0x80
	s_mov_b32 s62, exec_lo
	v_and_b32_e32 v4, 0x7f800000, v1
	v_cmpx_ne_u32_e32 0x7f800000, v4
	s_cbranch_execz .LBB6_458
; %bb.451:                              ;   in Loop: Header=BB6_358 Depth=4
	v_mov_b32_e32 v48, 0
	s_mov_b32 s63, exec_lo
	v_cmpx_ne_u32_e32 0, v1
	s_cbranch_execz .LBB6_457
; %bb.452:                              ;   in Loop: Header=BB6_358 Depth=4
	v_bfe_u32 v5, v1, 23, 8
	v_and_b32_e32 v4, 0x7fffff, v1
	v_cmp_gt_u32_e64 s16, 0x71, v5
	v_sub_nc_u32_e32 v28, 0x70, v5
	v_cmp_eq_u32_e32 vcc_lo, 0, v5
	v_or_b32_e32 v29, 0x800000, v4
	v_cndmask_b32_e64 v28, 0, v28, s16
	v_cndmask_b32_e32 v4, v29, v4, vcc_lo
	v_cndmask_b32_e64 v28, v28, 0x6f, vcc_lo
	v_lshl_add_u32 v29, 0x200000, v28, -1
	v_lshlrev_b32_e64 v30, v28, 0x100000
	v_and_b32_e32 v29, v29, v4
	v_cmp_eq_u32_e64 s16, v29, v30
	v_lshrrev_b32_e32 v29, v28, v4
	v_add_nc_u32_e32 v4, 0xffffff91, v5
	v_lshrrev_b32_e32 v5, 23, v29
	v_cndmask_b32_e64 v4, v4, 0xffffff92, vcc_lo
	v_xor_b32_e32 v5, 1, v5
	v_add_nc_u32_e32 v4, v28, v4
	v_bfe_u32 v28, v29, 21, 1
	v_add_nc_u32_e32 v28, -1, v28
	v_cndmask_b32_e64 v28, 0, v28, s16
	s_mov_b32 s16, exec_lo
	v_add_nc_u32_e32 v28, v28, v29
	v_and_b32_e32 v28, 0x1fffff, v28
	v_add_nc_u32_e32 v29, v28, v29
                                        ; implicit-def: $vgpr28
	v_cmpx_ne_u32_e64 v4, v5
	s_xor_b32 s16, exec_lo, s16
; %bb.453:                              ;   in Loop: Header=BB6_358 Depth=4
	v_cmp_lt_u32_e32 vcc_lo, 0xffffff, v29
	v_sub_nc_u32_e32 v4, v4, v5
	v_cndmask_b32_e64 v5, 0, 1, vcc_lo
	v_add_co_ci_u32_e64 v28, null, 0, v4, vcc_lo
	v_lshrrev_b32_e32 v29, v5, v29
; %bb.454:                              ;   in Loop: Header=BB6_358 Depth=4
	s_andn2_saveexec_b32 s16, s16
; %bb.455:                              ;   in Loop: Header=BB6_358 Depth=4
	v_bfe_u32 v28, v29, 23, 1
; %bb.456:                              ;   in Loop: Header=BB6_358 Depth=4
	s_or_b32 exec_lo, exec_lo, s16
	v_lshrrev_b32_e32 v4, 21, v29
	v_min_i32_e32 v5, 31, v28
	v_cmp_gt_i32_e32 vcc_lo, 32, v28
	v_and_b32_sdwa v1, v1, v60 dst_sel:DWORD dst_unused:UNUSED_PAD src0_sel:BYTE_3 src1_sel:DWORD
	v_lshlrev_b32_e32 v5, 2, v5
	v_cndmask_b32_e32 v4, 3, v4, vcc_lo
	v_and_b32_e32 v5, 0xfc, v5
	v_and_b32_e32 v29, 3, v4
	v_or_b32_e32 v4, v28, v4
	v_or3_b32 v1, v5, v1, v29
	v_cmp_ne_u32_e32 vcc_lo, 0, v4
	v_cndmask_b32_e32 v48, 0, v1, vcc_lo
.LBB6_457:                              ;   in Loop: Header=BB6_358 Depth=4
	s_or_b32 exec_lo, exec_lo, s63
.LBB6_458:                              ;   in Loop: Header=BB6_358 Depth=4
	s_or_b32 exec_lo, exec_lo, s62
	v_cmp_gt_i16_sdwa s16, v49, v59 src0_sel:BYTE_1 src1_sel:DWORD
	s_mov_b32 s62, 0
	s_and_saveexec_b32 s63, s16
	s_xor_b32 s16, exec_lo, s63
	s_cbranch_execz .LBB6_1656
; %bb.459:                              ;   in Loop: Header=BB6_358 Depth=4
	v_cmp_eq_u16_sdwa s72, v49, v60 src0_sel:BYTE_1 src1_sel:DWORD
	s_mov_b32 s62, -1
	s_and_saveexec_b32 s63, s72
; %bb.460:                              ;   in Loop: Header=BB6_358 Depth=4
	s_xor_b32 s62, exec_lo, -1
; %bb.461:                              ;   in Loop: Header=BB6_358 Depth=4
	s_or_b32 exec_lo, exec_lo, s63
	s_and_b32 s62, s62, exec_lo
	s_or_saveexec_b32 s16, s16
	v_mov_b32_e32 v1, 0x7f800001
	s_xor_b32 exec_lo, exec_lo, s16
	s_cbranch_execnz .LBB6_1657
.LBB6_462:                              ;   in Loop: Header=BB6_358 Depth=4
	s_or_b32 exec_lo, exec_lo, s16
	s_and_saveexec_b32 s16, s62
	s_cbranch_execz .LBB6_464
.LBB6_463:                              ;   in Loop: Header=BB6_358 Depth=4
	v_and_b32_sdwa v1, v61, v49 dst_sel:DWORD dst_unused:UNUSED_PAD src0_sel:DWORD src1_sel:BYTE_1
	v_and_b32_e32 v4, 3, v1
	v_bfe_u32 v29, v1, 2, 5
	v_ffbh_u32_e32 v5, v4
	v_cmp_eq_u32_e32 vcc_lo, 0, v29
	v_min_u32_e32 v5, 32, v5
	v_subrev_nc_u32_e32 v28, 29, v5
	v_sub_nc_u32_e32 v5, 30, v5
	v_lshlrev_b32_e32 v1, v28, v1
	v_lshlrev_b32_sdwa v28, v62, v49 dst_sel:DWORD dst_unused:UNUSED_PAD src0_sel:DWORD src1_sel:BYTE_1
	v_cndmask_b32_e32 v5, v29, v5, vcc_lo
	v_and_b32_e32 v1, 3, v1
	v_lshl_add_u32 v5, v5, 23, 0x37800000
	v_cndmask_b32_e32 v1, v4, v1, vcc_lo
	v_and_b32_e32 v4, 0x80000000, v28
	v_lshlrev_b32_e32 v1, 21, v1
	v_or3_b32 v1, v4, v5, v1
.LBB6_464:                              ;   in Loop: Header=BB6_358 Depth=4
	s_or_b32 exec_lo, exec_lo, s16
	v_cmp_gt_i16_sdwa s16, v37, v59 src0_sel:BYTE_1 src1_sel:DWORD
	s_mov_b32 s62, 0
	s_and_saveexec_b32 s63, s16
	s_xor_b32 s16, exec_lo, s63
	s_cbranch_execz .LBB6_1658
; %bb.465:                              ;   in Loop: Header=BB6_358 Depth=4
	v_cmp_eq_u16_sdwa s72, v37, v60 src0_sel:BYTE_1 src1_sel:DWORD
	s_mov_b32 s62, -1
	s_and_saveexec_b32 s63, s72
; %bb.466:                              ;   in Loop: Header=BB6_358 Depth=4
	s_xor_b32 s62, exec_lo, -1
; %bb.467:                              ;   in Loop: Header=BB6_358 Depth=4
	s_or_b32 exec_lo, exec_lo, s63
	s_and_b32 s62, s62, exec_lo
	s_or_saveexec_b32 s16, s16
	v_mov_b32_e32 v4, 0x7f800001
	s_xor_b32 exec_lo, exec_lo, s16
	s_cbranch_execnz .LBB6_1659
.LBB6_468:                              ;   in Loop: Header=BB6_358 Depth=4
	s_or_b32 exec_lo, exec_lo, s16
	s_and_saveexec_b32 s16, s62
	s_cbranch_execz .LBB6_470
.LBB6_469:                              ;   in Loop: Header=BB6_358 Depth=4
	v_and_b32_sdwa v4, v61, v37 dst_sel:DWORD dst_unused:UNUSED_PAD src0_sel:DWORD src1_sel:BYTE_1
	v_and_b32_e32 v5, 3, v4
	v_bfe_u32 v30, v4, 2, 5
	v_ffbh_u32_e32 v28, v5
	v_cmp_eq_u32_e32 vcc_lo, 0, v30
	v_min_u32_e32 v28, 32, v28
	v_subrev_nc_u32_e32 v29, 29, v28
	v_sub_nc_u32_e32 v28, 30, v28
	v_lshlrev_b32_e32 v4, v29, v4
	v_lshlrev_b32_sdwa v29, v62, v37 dst_sel:DWORD dst_unused:UNUSED_PAD src0_sel:DWORD src1_sel:BYTE_1
	v_cndmask_b32_e32 v28, v30, v28, vcc_lo
	v_and_b32_e32 v4, 3, v4
	v_lshl_add_u32 v28, v28, 23, 0x37800000
	v_cndmask_b32_e32 v4, v5, v4, vcc_lo
	v_and_b32_e32 v5, 0x80000000, v29
	v_lshlrev_b32_e32 v4, 21, v4
	v_or3_b32 v4, v5, v28, v4
.LBB6_470:                              ;   in Loop: Header=BB6_358 Depth=4
	s_or_b32 exec_lo, exec_lo, s16
	v_mul_f32_e32 v1, v1, v4
	v_mov_b32_e32 v122, 0x8000
	s_mov_b32 s62, exec_lo
	v_and_b32_e32 v4, 0x7f800000, v1
	v_cmpx_ne_u32_e32 0x7f800000, v4
	s_cbranch_execz .LBB6_478
; %bb.471:                              ;   in Loop: Header=BB6_358 Depth=4
	v_mov_b32_e32 v122, 0
	s_mov_b32 s63, exec_lo
	v_cmpx_ne_u32_e32 0, v1
	s_cbranch_execz .LBB6_477
; %bb.472:                              ;   in Loop: Header=BB6_358 Depth=4
	v_bfe_u32 v5, v1, 23, 8
	v_and_b32_e32 v4, 0x7fffff, v1
	v_cmp_gt_u32_e64 s16, 0x71, v5
	v_sub_nc_u32_e32 v28, 0x70, v5
	v_cmp_eq_u32_e32 vcc_lo, 0, v5
	v_or_b32_e32 v29, 0x800000, v4
	v_cndmask_b32_e64 v28, 0, v28, s16
	v_cndmask_b32_e32 v4, v29, v4, vcc_lo
	v_cndmask_b32_e64 v28, v28, 0x6f, vcc_lo
	v_lshl_add_u32 v29, 0x200000, v28, -1
	v_lshlrev_b32_e64 v30, v28, 0x100000
	v_and_b32_e32 v29, v29, v4
	v_cmp_eq_u32_e64 s16, v29, v30
	v_lshrrev_b32_e32 v29, v28, v4
	v_add_nc_u32_e32 v4, 0xffffff91, v5
	v_lshrrev_b32_e32 v5, 23, v29
	v_cndmask_b32_e64 v4, v4, 0xffffff92, vcc_lo
	v_xor_b32_e32 v5, 1, v5
	v_add_nc_u32_e32 v4, v28, v4
	v_bfe_u32 v28, v29, 21, 1
	v_add_nc_u32_e32 v28, -1, v28
	v_cndmask_b32_e64 v28, 0, v28, s16
	s_mov_b32 s16, exec_lo
	v_add_nc_u32_e32 v28, v28, v29
	v_and_b32_e32 v28, 0x1fffff, v28
	v_add_nc_u32_e32 v28, v28, v29
                                        ; implicit-def: $vgpr29
	v_cmpx_ne_u32_e64 v4, v5
	s_xor_b32 s16, exec_lo, s16
; %bb.473:                              ;   in Loop: Header=BB6_358 Depth=4
	v_cmp_lt_u32_e32 vcc_lo, 0xffffff, v28
	v_sub_nc_u32_e32 v4, v4, v5
	v_cndmask_b32_e64 v5, 0, 1, vcc_lo
	v_add_co_ci_u32_e64 v29, null, 0, v4, vcc_lo
	v_lshrrev_b32_e32 v28, v5, v28
; %bb.474:                              ;   in Loop: Header=BB6_358 Depth=4
	s_andn2_saveexec_b32 s16, s16
; %bb.475:                              ;   in Loop: Header=BB6_358 Depth=4
	v_bfe_u32 v29, v28, 23, 1
; %bb.476:                              ;   in Loop: Header=BB6_358 Depth=4
	s_or_b32 exec_lo, exec_lo, s16
	v_lshrrev_b32_e32 v4, 21, v28
	v_min_i32_e32 v5, 31, v29
	v_cmp_gt_i32_e32 vcc_lo, 32, v29
	v_and_b32_sdwa v1, v1, v60 dst_sel:DWORD dst_unused:UNUSED_PAD src0_sel:BYTE_3 src1_sel:DWORD
	v_lshlrev_b32_e32 v5, 2, v5
	v_cndmask_b32_e32 v4, 3, v4, vcc_lo
	v_and_b32_e32 v5, 0xfc, v5
	v_or_b32_e32 v28, v29, v4
	v_and_b32_e32 v4, 3, v4
	v_cmp_ne_u32_e32 vcc_lo, 0, v28
	v_or3_b32 v1, v1, v5, v4
	v_lshlrev_b32_e32 v1, 8, v1
	v_cndmask_b32_e32 v122, 0, v1, vcc_lo
.LBB6_477:                              ;   in Loop: Header=BB6_358 Depth=4
	s_or_b32 exec_lo, exec_lo, s63
.LBB6_478:                              ;   in Loop: Header=BB6_358 Depth=4
	s_or_b32 exec_lo, exec_lo, s62
	v_and_b32_sdwa v4, v49, v63 dst_sel:DWORD dst_unused:UNUSED_PAD src0_sel:WORD_1 src1_sel:DWORD
	s_mov_b32 s62, 0
	s_mov_b32 s16, exec_lo
	v_cmpx_lt_i16_e32 0x7f, v4
	s_xor_b32 s16, exec_lo, s16
	s_cbranch_execz .LBB6_1660
; %bb.479:                              ;   in Loop: Header=BB6_358 Depth=4
	s_mov_b32 s62, -1
	s_mov_b32 s63, exec_lo
	v_cmpx_eq_u16_e32 0x80, v4
; %bb.480:                              ;   in Loop: Header=BB6_358 Depth=4
	s_xor_b32 s62, exec_lo, -1
; %bb.481:                              ;   in Loop: Header=BB6_358 Depth=4
	s_or_b32 exec_lo, exec_lo, s63
	s_and_b32 s62, s62, exec_lo
                                        ; implicit-def: $vgpr4
	s_or_saveexec_b32 s16, s16
	v_mov_b32_e32 v1, 0x7f800001
	s_xor_b32 exec_lo, exec_lo, s16
	s_cbranch_execnz .LBB6_1661
.LBB6_482:                              ;   in Loop: Header=BB6_358 Depth=4
	s_or_b32 exec_lo, exec_lo, s16
	s_and_saveexec_b32 s16, s62
	s_cbranch_execz .LBB6_484
.LBB6_483:                              ;   in Loop: Header=BB6_358 Depth=4
	v_bfe_u32 v1, v49, 16, 2
	v_bfe_u32 v4, v49, 18, 5
	v_ffbh_u32_e32 v5, v1
	v_cmp_eq_u32_e32 vcc_lo, 0, v4
	v_min_u32_e32 v5, 32, v5
	v_subrev_nc_u32_e32 v28, 29, v5
	v_sub_nc_u32_e32 v5, 30, v5
	v_lshlrev_b32_sdwa v28, v28, v49 dst_sel:DWORD dst_unused:UNUSED_PAD src0_sel:DWORD src1_sel:WORD_1
	v_cndmask_b32_e32 v4, v4, v5, vcc_lo
	v_lshlrev_b32_e32 v5, 8, v49
	v_and_b32_e32 v28, 3, v28
	v_lshl_add_u32 v4, v4, 23, 0x37800000
	v_and_b32_e32 v5, 0x80000000, v5
	v_cndmask_b32_e32 v1, v1, v28, vcc_lo
	v_lshlrev_b32_e32 v1, 21, v1
	v_or3_b32 v1, v5, v4, v1
.LBB6_484:                              ;   in Loop: Header=BB6_358 Depth=4
	s_or_b32 exec_lo, exec_lo, s16
	v_and_b32_sdwa v5, v37, v63 dst_sel:DWORD dst_unused:UNUSED_PAD src0_sel:WORD_1 src1_sel:DWORD
	s_mov_b32 s62, 0
	s_mov_b32 s16, exec_lo
	v_cmpx_lt_i16_e32 0x7f, v5
	s_xor_b32 s16, exec_lo, s16
	s_cbranch_execz .LBB6_1662
; %bb.485:                              ;   in Loop: Header=BB6_358 Depth=4
	s_mov_b32 s62, -1
	s_mov_b32 s63, exec_lo
	v_cmpx_eq_u16_e32 0x80, v5
; %bb.486:                              ;   in Loop: Header=BB6_358 Depth=4
	s_xor_b32 s62, exec_lo, -1
; %bb.487:                              ;   in Loop: Header=BB6_358 Depth=4
	s_or_b32 exec_lo, exec_lo, s63
	s_and_b32 s62, s62, exec_lo
                                        ; implicit-def: $vgpr5
	s_or_saveexec_b32 s16, s16
	v_mov_b32_e32 v4, 0x7f800001
	s_xor_b32 exec_lo, exec_lo, s16
	s_cbranch_execnz .LBB6_1663
.LBB6_488:                              ;   in Loop: Header=BB6_358 Depth=4
	s_or_b32 exec_lo, exec_lo, s16
	s_and_saveexec_b32 s16, s62
	s_cbranch_execz .LBB6_490
.LBB6_489:                              ;   in Loop: Header=BB6_358 Depth=4
	v_bfe_u32 v4, v37, 16, 2
	v_bfe_u32 v5, v37, 18, 5
	v_ffbh_u32_e32 v28, v4
	v_cmp_eq_u32_e32 vcc_lo, 0, v5
	v_min_u32_e32 v28, 32, v28
	v_subrev_nc_u32_e32 v29, 29, v28
	v_sub_nc_u32_e32 v28, 30, v28
	v_lshlrev_b32_sdwa v29, v29, v37 dst_sel:DWORD dst_unused:UNUSED_PAD src0_sel:DWORD src1_sel:WORD_1
	v_cndmask_b32_e32 v5, v5, v28, vcc_lo
	v_lshlrev_b32_e32 v28, 8, v37
	v_and_b32_e32 v29, 3, v29
	v_lshl_add_u32 v5, v5, 23, 0x37800000
	v_and_b32_e32 v28, 0x80000000, v28
	v_cndmask_b32_e32 v4, v4, v29, vcc_lo
	v_lshlrev_b32_e32 v4, 21, v4
	v_or3_b32 v4, v28, v5, v4
.LBB6_490:                              ;   in Loop: Header=BB6_358 Depth=4
	s_or_b32 exec_lo, exec_lo, s16
	v_mul_f32_e32 v1, v1, v4
	v_mov_b32_e32 v52, 0x80
	s_mov_b32 s62, exec_lo
	v_and_b32_e32 v4, 0x7f800000, v1
	v_cmpx_ne_u32_e32 0x7f800000, v4
	s_cbranch_execz .LBB6_498
; %bb.491:                              ;   in Loop: Header=BB6_358 Depth=4
	v_mov_b32_e32 v52, 0
	s_mov_b32 s63, exec_lo
	v_cmpx_ne_u32_e32 0, v1
	s_cbranch_execz .LBB6_497
; %bb.492:                              ;   in Loop: Header=BB6_358 Depth=4
	v_bfe_u32 v5, v1, 23, 8
	v_and_b32_e32 v4, 0x7fffff, v1
	v_cmp_gt_u32_e64 s16, 0x71, v5
	v_sub_nc_u32_e32 v28, 0x70, v5
	v_cmp_eq_u32_e32 vcc_lo, 0, v5
	v_or_b32_e32 v29, 0x800000, v4
	v_cndmask_b32_e64 v28, 0, v28, s16
	v_cndmask_b32_e32 v4, v29, v4, vcc_lo
	v_cndmask_b32_e64 v28, v28, 0x6f, vcc_lo
	v_lshl_add_u32 v29, 0x200000, v28, -1
	v_lshlrev_b32_e64 v30, v28, 0x100000
	v_and_b32_e32 v29, v29, v4
	v_cmp_eq_u32_e64 s16, v29, v30
	v_lshrrev_b32_e32 v29, v28, v4
	v_add_nc_u32_e32 v4, 0xffffff91, v5
	v_lshrrev_b32_e32 v5, 23, v29
	v_cndmask_b32_e64 v4, v4, 0xffffff92, vcc_lo
	v_xor_b32_e32 v5, 1, v5
	v_add_nc_u32_e32 v4, v28, v4
	v_bfe_u32 v28, v29, 21, 1
	v_add_nc_u32_e32 v28, -1, v28
	v_cndmask_b32_e64 v28, 0, v28, s16
	s_mov_b32 s16, exec_lo
	v_add_nc_u32_e32 v28, v28, v29
	v_and_b32_e32 v28, 0x1fffff, v28
	v_add_nc_u32_e32 v28, v28, v29
                                        ; implicit-def: $vgpr29
	v_cmpx_ne_u32_e64 v4, v5
	s_xor_b32 s16, exec_lo, s16
; %bb.493:                              ;   in Loop: Header=BB6_358 Depth=4
	v_cmp_lt_u32_e32 vcc_lo, 0xffffff, v28
	v_sub_nc_u32_e32 v4, v4, v5
	v_cndmask_b32_e64 v5, 0, 1, vcc_lo
	v_add_co_ci_u32_e64 v29, null, 0, v4, vcc_lo
	v_lshrrev_b32_e32 v28, v5, v28
; %bb.494:                              ;   in Loop: Header=BB6_358 Depth=4
	s_andn2_saveexec_b32 s16, s16
; %bb.495:                              ;   in Loop: Header=BB6_358 Depth=4
	v_bfe_u32 v29, v28, 23, 1
; %bb.496:                              ;   in Loop: Header=BB6_358 Depth=4
	s_or_b32 exec_lo, exec_lo, s16
	v_lshrrev_b32_e32 v4, 21, v28
	v_min_i32_e32 v5, 31, v29
	v_cmp_gt_i32_e32 vcc_lo, 32, v29
	v_and_b32_sdwa v1, v1, v60 dst_sel:DWORD dst_unused:UNUSED_PAD src0_sel:BYTE_3 src1_sel:DWORD
	v_lshlrev_b32_e32 v5, 2, v5
	v_cndmask_b32_e32 v4, 3, v4, vcc_lo
	v_and_b32_e32 v5, 0xfc, v5
	v_or_b32_e32 v28, v29, v4
	v_and_b32_e32 v4, 3, v4
	v_cmp_ne_u32_e32 vcc_lo, 0, v28
	v_or3_b32 v1, v5, v1, v4
	v_cndmask_b32_e32 v52, 0, v1, vcc_lo
.LBB6_497:                              ;   in Loop: Header=BB6_358 Depth=4
	s_or_b32 exec_lo, exec_lo, s63
.LBB6_498:                              ;   in Loop: Header=BB6_358 Depth=4
	s_or_b32 exec_lo, exec_lo, s62
	v_cmp_gt_i16_sdwa s16, v49, v59 src0_sel:BYTE_3 src1_sel:DWORD
	s_mov_b32 s62, 0
	s_and_saveexec_b32 s63, s16
	s_xor_b32 s16, exec_lo, s63
	s_cbranch_execz .LBB6_1664
; %bb.499:                              ;   in Loop: Header=BB6_358 Depth=4
	v_cmp_eq_u16_sdwa s72, v49, v60 src0_sel:BYTE_3 src1_sel:DWORD
	s_mov_b32 s62, -1
	s_and_saveexec_b32 s63, s72
; %bb.500:                              ;   in Loop: Header=BB6_358 Depth=4
	s_xor_b32 s62, exec_lo, -1
; %bb.501:                              ;   in Loop: Header=BB6_358 Depth=4
	s_or_b32 exec_lo, exec_lo, s63
	s_and_b32 s62, s62, exec_lo
	s_or_saveexec_b32 s16, s16
	v_mov_b32_e32 v1, 0x7f800001
	s_xor_b32 exec_lo, exec_lo, s16
	s_cbranch_execnz .LBB6_1665
.LBB6_502:                              ;   in Loop: Header=BB6_358 Depth=4
	s_or_b32 exec_lo, exec_lo, s16
	s_and_saveexec_b32 s16, s62
	s_cbranch_execz .LBB6_504
.LBB6_503:                              ;   in Loop: Header=BB6_358 Depth=4
	v_bfe_u32 v1, v49, 24, 2
	v_bfe_u32 v28, v49, 26, 5
	v_ffbh_u32_e32 v4, v1
	v_cmp_eq_u32_e32 vcc_lo, 0, v28
	v_min_u32_e32 v4, 32, v4
	v_subrev_nc_u32_e32 v5, 29, v4
	v_sub_nc_u32_e32 v4, 30, v4
	v_lshlrev_b32_sdwa v5, v5, v49 dst_sel:DWORD dst_unused:UNUSED_PAD src0_sel:DWORD src1_sel:BYTE_3
	v_cndmask_b32_e32 v4, v28, v4, vcc_lo
	v_and_b32_e32 v5, 3, v5
	v_lshl_add_u32 v4, v4, 23, 0x37800000
	v_cndmask_b32_e32 v1, v1, v5, vcc_lo
	v_and_b32_e32 v5, 0x80000000, v49
	v_lshlrev_b32_e32 v1, 21, v1
	v_or3_b32 v1, v5, v4, v1
.LBB6_504:                              ;   in Loop: Header=BB6_358 Depth=4
	s_or_b32 exec_lo, exec_lo, s16
	v_cmp_gt_i16_sdwa s16, v37, v59 src0_sel:BYTE_3 src1_sel:DWORD
	s_mov_b32 s62, 0
	s_and_saveexec_b32 s63, s16
	s_xor_b32 s16, exec_lo, s63
	s_cbranch_execz .LBB6_1666
; %bb.505:                              ;   in Loop: Header=BB6_358 Depth=4
	v_cmp_eq_u16_sdwa s72, v37, v60 src0_sel:BYTE_3 src1_sel:DWORD
	s_mov_b32 s62, -1
	s_and_saveexec_b32 s63, s72
; %bb.506:                              ;   in Loop: Header=BB6_358 Depth=4
	s_xor_b32 s62, exec_lo, -1
; %bb.507:                              ;   in Loop: Header=BB6_358 Depth=4
	s_or_b32 exec_lo, exec_lo, s63
	s_and_b32 s62, s62, exec_lo
	s_or_saveexec_b32 s16, s16
	v_mov_b32_e32 v4, 0x7f800001
	s_xor_b32 exec_lo, exec_lo, s16
	s_cbranch_execnz .LBB6_1667
.LBB6_508:                              ;   in Loop: Header=BB6_358 Depth=4
	s_or_b32 exec_lo, exec_lo, s16
	s_and_saveexec_b32 s16, s62
	s_cbranch_execz .LBB6_510
.LBB6_509:                              ;   in Loop: Header=BB6_358 Depth=4
	v_bfe_u32 v4, v37, 24, 2
	v_bfe_u32 v29, v37, 26, 5
	v_ffbh_u32_e32 v5, v4
	v_cmp_eq_u32_e32 vcc_lo, 0, v29
	v_min_u32_e32 v5, 32, v5
	v_subrev_nc_u32_e32 v28, 29, v5
	v_sub_nc_u32_e32 v5, 30, v5
	v_lshlrev_b32_sdwa v28, v28, v37 dst_sel:DWORD dst_unused:UNUSED_PAD src0_sel:DWORD src1_sel:BYTE_3
	v_cndmask_b32_e32 v5, v29, v5, vcc_lo
	v_and_b32_e32 v28, 3, v28
	v_lshl_add_u32 v5, v5, 23, 0x37800000
	v_cndmask_b32_e32 v4, v4, v28, vcc_lo
	v_and_b32_e32 v28, 0x80000000, v37
	v_lshlrev_b32_e32 v4, 21, v4
	v_or3_b32 v4, v28, v5, v4
.LBB6_510:                              ;   in Loop: Header=BB6_358 Depth=4
	s_or_b32 exec_lo, exec_lo, s16
	v_mul_f32_e32 v1, v1, v4
	v_mov_b32_e32 v37, 0x8000
	s_mov_b32 s62, exec_lo
	v_and_b32_e32 v4, 0x7f800000, v1
	v_cmpx_ne_u32_e32 0x7f800000, v4
	s_cbranch_execz .LBB6_518
; %bb.511:                              ;   in Loop: Header=BB6_358 Depth=4
	v_mov_b32_e32 v37, 0
	s_mov_b32 s63, exec_lo
	v_cmpx_ne_u32_e32 0, v1
	s_cbranch_execz .LBB6_517
; %bb.512:                              ;   in Loop: Header=BB6_358 Depth=4
	v_bfe_u32 v5, v1, 23, 8
	v_and_b32_e32 v4, 0x7fffff, v1
	v_cmp_gt_u32_e64 s16, 0x71, v5
	v_sub_nc_u32_e32 v28, 0x70, v5
	v_cmp_eq_u32_e32 vcc_lo, 0, v5
	v_or_b32_e32 v29, 0x800000, v4
	v_cndmask_b32_e64 v28, 0, v28, s16
	v_cndmask_b32_e32 v4, v29, v4, vcc_lo
	v_cndmask_b32_e64 v28, v28, 0x6f, vcc_lo
	v_lshl_add_u32 v29, 0x200000, v28, -1
	v_lshlrev_b32_e64 v30, v28, 0x100000
	v_and_b32_e32 v29, v29, v4
	v_cmp_eq_u32_e64 s16, v29, v30
	v_lshrrev_b32_e32 v29, v28, v4
	v_add_nc_u32_e32 v4, 0xffffff91, v5
	v_lshrrev_b32_e32 v5, 23, v29
	v_cndmask_b32_e64 v4, v4, 0xffffff92, vcc_lo
	v_xor_b32_e32 v5, 1, v5
	v_add_nc_u32_e32 v4, v28, v4
	v_bfe_u32 v28, v29, 21, 1
	v_add_nc_u32_e32 v28, -1, v28
	v_cndmask_b32_e64 v28, 0, v28, s16
	s_mov_b32 s16, exec_lo
	v_add_nc_u32_e32 v28, v28, v29
	v_and_b32_e32 v28, 0x1fffff, v28
	v_add_nc_u32_e32 v28, v28, v29
                                        ; implicit-def: $vgpr29
	v_cmpx_ne_u32_e64 v4, v5
	s_xor_b32 s16, exec_lo, s16
; %bb.513:                              ;   in Loop: Header=BB6_358 Depth=4
	v_cmp_lt_u32_e32 vcc_lo, 0xffffff, v28
	v_sub_nc_u32_e32 v4, v4, v5
	v_cndmask_b32_e64 v5, 0, 1, vcc_lo
	v_add_co_ci_u32_e64 v29, null, 0, v4, vcc_lo
	v_lshrrev_b32_e32 v28, v5, v28
; %bb.514:                              ;   in Loop: Header=BB6_358 Depth=4
	s_andn2_saveexec_b32 s16, s16
; %bb.515:                              ;   in Loop: Header=BB6_358 Depth=4
	v_bfe_u32 v29, v28, 23, 1
; %bb.516:                              ;   in Loop: Header=BB6_358 Depth=4
	s_or_b32 exec_lo, exec_lo, s16
	v_lshrrev_b32_e32 v4, 21, v28
	v_min_i32_e32 v5, 31, v29
	v_cmp_gt_i32_e32 vcc_lo, 32, v29
	v_and_b32_sdwa v1, v1, v60 dst_sel:DWORD dst_unused:UNUSED_PAD src0_sel:BYTE_3 src1_sel:DWORD
	v_lshlrev_b32_e32 v5, 2, v5
	v_cndmask_b32_e32 v4, 3, v4, vcc_lo
	v_and_b32_e32 v5, 0xfc, v5
	v_or_b32_e32 v28, v29, v4
	v_and_b32_e32 v4, 3, v4
	v_cmp_ne_u32_e32 vcc_lo, 0, v28
	v_or3_b32 v1, v1, v5, v4
	v_lshlrev_b32_e32 v1, 8, v1
	v_cndmask_b32_e32 v37, 0, v1, vcc_lo
.LBB6_517:                              ;   in Loop: Header=BB6_358 Depth=4
	s_or_b32 exec_lo, exec_lo, s63
.LBB6_518:                              ;   in Loop: Header=BB6_358 Depth=4
	s_or_b32 exec_lo, exec_lo, s62
	v_cmp_gt_i16_sdwa s16, v50, v59 src0_sel:BYTE_0 src1_sel:DWORD
	s_mov_b32 s62, 0
	s_and_saveexec_b32 s63, s16
	s_xor_b32 s16, exec_lo, s63
	s_cbranch_execz .LBB6_1668
; %bb.519:                              ;   in Loop: Header=BB6_358 Depth=4
	v_cmp_eq_u16_sdwa s72, v50, v60 src0_sel:BYTE_0 src1_sel:DWORD
	s_mov_b32 s62, -1
	s_and_saveexec_b32 s63, s72
; %bb.520:                              ;   in Loop: Header=BB6_358 Depth=4
	s_xor_b32 s62, exec_lo, -1
; %bb.521:                              ;   in Loop: Header=BB6_358 Depth=4
	s_or_b32 exec_lo, exec_lo, s63
	s_and_b32 s62, s62, exec_lo
	s_or_saveexec_b32 s16, s16
	v_mov_b32_e32 v1, 0x7f800001
	s_xor_b32 exec_lo, exec_lo, s16
	s_cbranch_execnz .LBB6_1669
.LBB6_522:                              ;   in Loop: Header=BB6_358 Depth=4
	s_or_b32 exec_lo, exec_lo, s16
	s_and_saveexec_b32 s16, s62
	s_cbranch_execz .LBB6_524
.LBB6_523:                              ;   in Loop: Header=BB6_358 Depth=4
	v_and_b32_e32 v1, 3, v50
	v_bfe_u32 v4, v50, 2, 5
	v_ffbh_u32_e32 v5, v1
	v_cmp_eq_u32_e32 vcc_lo, 0, v4
	v_min_u32_e32 v5, 32, v5
	v_subrev_nc_u32_e32 v28, 29, v5
	v_sub_nc_u32_e32 v5, 30, v5
	v_lshlrev_b32_e32 v28, v28, v50
	v_cndmask_b32_e32 v4, v4, v5, vcc_lo
	v_lshlrev_b32_e32 v5, 24, v50
	v_and_b32_e32 v28, 3, v28
	v_lshl_add_u32 v4, v4, 23, 0x37800000
	v_and_b32_e32 v5, 0x80000000, v5
	v_cndmask_b32_e32 v1, v1, v28, vcc_lo
	v_lshlrev_b32_e32 v1, 21, v1
	v_or3_b32 v1, v5, v4, v1
.LBB6_524:                              ;   in Loop: Header=BB6_358 Depth=4
	s_or_b32 exec_lo, exec_lo, s16
	v_cmp_gt_i16_sdwa s16, v38, v59 src0_sel:BYTE_0 src1_sel:DWORD
	s_mov_b32 s62, 0
	s_and_saveexec_b32 s63, s16
	s_xor_b32 s16, exec_lo, s63
	s_cbranch_execz .LBB6_1670
; %bb.525:                              ;   in Loop: Header=BB6_358 Depth=4
	v_cmp_eq_u16_sdwa s72, v38, v60 src0_sel:BYTE_0 src1_sel:DWORD
	s_mov_b32 s62, -1
	s_and_saveexec_b32 s63, s72
; %bb.526:                              ;   in Loop: Header=BB6_358 Depth=4
	s_xor_b32 s62, exec_lo, -1
; %bb.527:                              ;   in Loop: Header=BB6_358 Depth=4
	s_or_b32 exec_lo, exec_lo, s63
	s_and_b32 s62, s62, exec_lo
	s_or_saveexec_b32 s16, s16
	v_mov_b32_e32 v4, 0x7f800001
	s_xor_b32 exec_lo, exec_lo, s16
	s_cbranch_execnz .LBB6_1671
.LBB6_528:                              ;   in Loop: Header=BB6_358 Depth=4
	s_or_b32 exec_lo, exec_lo, s16
	s_and_saveexec_b32 s16, s62
	s_cbranch_execz .LBB6_530
.LBB6_529:                              ;   in Loop: Header=BB6_358 Depth=4
	v_and_b32_e32 v4, 3, v38
	v_bfe_u32 v5, v38, 2, 5
	v_ffbh_u32_e32 v28, v4
	v_cmp_eq_u32_e32 vcc_lo, 0, v5
	v_min_u32_e32 v28, 32, v28
	v_subrev_nc_u32_e32 v29, 29, v28
	v_sub_nc_u32_e32 v28, 30, v28
	v_lshlrev_b32_e32 v29, v29, v38
	v_cndmask_b32_e32 v5, v5, v28, vcc_lo
	v_lshlrev_b32_e32 v28, 24, v38
	v_and_b32_e32 v29, 3, v29
	v_lshl_add_u32 v5, v5, 23, 0x37800000
	v_and_b32_e32 v28, 0x80000000, v28
	v_cndmask_b32_e32 v4, v4, v29, vcc_lo
	v_lshlrev_b32_e32 v4, 21, v4
	v_or3_b32 v4, v28, v5, v4
.LBB6_530:                              ;   in Loop: Header=BB6_358 Depth=4
	s_or_b32 exec_lo, exec_lo, s16
	v_mul_f32_e32 v1, v1, v4
	v_mov_b32_e32 v49, 0x80
	s_mov_b32 s62, exec_lo
	v_and_b32_e32 v4, 0x7f800000, v1
	v_cmpx_ne_u32_e32 0x7f800000, v4
	s_cbranch_execz .LBB6_538
; %bb.531:                              ;   in Loop: Header=BB6_358 Depth=4
	v_mov_b32_e32 v49, 0
	s_mov_b32 s63, exec_lo
	v_cmpx_ne_u32_e32 0, v1
	s_cbranch_execz .LBB6_537
; %bb.532:                              ;   in Loop: Header=BB6_358 Depth=4
	v_bfe_u32 v5, v1, 23, 8
	v_and_b32_e32 v4, 0x7fffff, v1
	v_cmp_gt_u32_e64 s16, 0x71, v5
	v_sub_nc_u32_e32 v28, 0x70, v5
	v_cmp_eq_u32_e32 vcc_lo, 0, v5
	v_or_b32_e32 v29, 0x800000, v4
	v_cndmask_b32_e64 v28, 0, v28, s16
	v_cndmask_b32_e32 v4, v29, v4, vcc_lo
	v_cndmask_b32_e64 v28, v28, 0x6f, vcc_lo
	v_lshl_add_u32 v29, 0x200000, v28, -1
	v_lshlrev_b32_e64 v30, v28, 0x100000
	v_and_b32_e32 v29, v29, v4
	v_cmp_eq_u32_e64 s16, v29, v30
	v_lshrrev_b32_e32 v29, v28, v4
	v_add_nc_u32_e32 v4, 0xffffff91, v5
	v_lshrrev_b32_e32 v5, 23, v29
	v_cndmask_b32_e64 v4, v4, 0xffffff92, vcc_lo
	v_xor_b32_e32 v5, 1, v5
	v_add_nc_u32_e32 v4, v28, v4
	v_bfe_u32 v28, v29, 21, 1
	v_add_nc_u32_e32 v28, -1, v28
	v_cndmask_b32_e64 v28, 0, v28, s16
	s_mov_b32 s16, exec_lo
	v_add_nc_u32_e32 v28, v28, v29
	v_and_b32_e32 v28, 0x1fffff, v28
	v_add_nc_u32_e32 v28, v28, v29
                                        ; implicit-def: $vgpr29
	v_cmpx_ne_u32_e64 v4, v5
	s_xor_b32 s16, exec_lo, s16
; %bb.533:                              ;   in Loop: Header=BB6_358 Depth=4
	v_cmp_lt_u32_e32 vcc_lo, 0xffffff, v28
	v_sub_nc_u32_e32 v4, v4, v5
	v_cndmask_b32_e64 v5, 0, 1, vcc_lo
	v_add_co_ci_u32_e64 v29, null, 0, v4, vcc_lo
	v_lshrrev_b32_e32 v28, v5, v28
; %bb.534:                              ;   in Loop: Header=BB6_358 Depth=4
	s_andn2_saveexec_b32 s16, s16
; %bb.535:                              ;   in Loop: Header=BB6_358 Depth=4
	v_bfe_u32 v29, v28, 23, 1
; %bb.536:                              ;   in Loop: Header=BB6_358 Depth=4
	s_or_b32 exec_lo, exec_lo, s16
	v_lshrrev_b32_e32 v4, 21, v28
	v_min_i32_e32 v5, 31, v29
	v_cmp_gt_i32_e32 vcc_lo, 32, v29
	v_and_b32_sdwa v1, v1, v60 dst_sel:DWORD dst_unused:UNUSED_PAD src0_sel:BYTE_3 src1_sel:DWORD
	v_lshlrev_b32_e32 v5, 2, v5
	v_cndmask_b32_e32 v4, 3, v4, vcc_lo
	v_and_b32_e32 v5, 0xfc, v5
	v_or_b32_e32 v28, v29, v4
	v_and_b32_e32 v4, 3, v4
	v_cmp_ne_u32_e32 vcc_lo, 0, v28
	v_or3_b32 v1, v5, v1, v4
	v_cndmask_b32_e32 v49, 0, v1, vcc_lo
.LBB6_537:                              ;   in Loop: Header=BB6_358 Depth=4
	s_or_b32 exec_lo, exec_lo, s63
.LBB6_538:                              ;   in Loop: Header=BB6_358 Depth=4
	s_or_b32 exec_lo, exec_lo, s62
	v_cmp_gt_i16_sdwa s16, v50, v59 src0_sel:BYTE_1 src1_sel:DWORD
	s_mov_b32 s62, 0
	s_and_saveexec_b32 s63, s16
	s_xor_b32 s16, exec_lo, s63
	s_cbranch_execz .LBB6_1672
; %bb.539:                              ;   in Loop: Header=BB6_358 Depth=4
	v_cmp_eq_u16_sdwa s72, v50, v60 src0_sel:BYTE_1 src1_sel:DWORD
	s_mov_b32 s62, -1
	s_and_saveexec_b32 s63, s72
; %bb.540:                              ;   in Loop: Header=BB6_358 Depth=4
	s_xor_b32 s62, exec_lo, -1
; %bb.541:                              ;   in Loop: Header=BB6_358 Depth=4
	s_or_b32 exec_lo, exec_lo, s63
	s_and_b32 s62, s62, exec_lo
	s_or_saveexec_b32 s16, s16
	v_mov_b32_e32 v1, 0x7f800001
	s_xor_b32 exec_lo, exec_lo, s16
	s_cbranch_execnz .LBB6_1673
.LBB6_542:                              ;   in Loop: Header=BB6_358 Depth=4
	s_or_b32 exec_lo, exec_lo, s16
	s_and_saveexec_b32 s16, s62
	s_cbranch_execz .LBB6_544
.LBB6_543:                              ;   in Loop: Header=BB6_358 Depth=4
	v_and_b32_sdwa v1, v61, v50 dst_sel:DWORD dst_unused:UNUSED_PAD src0_sel:DWORD src1_sel:BYTE_1
	v_and_b32_e32 v4, 3, v1
	v_bfe_u32 v29, v1, 2, 5
	v_ffbh_u32_e32 v5, v4
	v_cmp_eq_u32_e32 vcc_lo, 0, v29
	v_min_u32_e32 v5, 32, v5
	v_subrev_nc_u32_e32 v28, 29, v5
	v_sub_nc_u32_e32 v5, 30, v5
	v_lshlrev_b32_e32 v1, v28, v1
	v_lshlrev_b32_sdwa v28, v62, v50 dst_sel:DWORD dst_unused:UNUSED_PAD src0_sel:DWORD src1_sel:BYTE_1
	v_cndmask_b32_e32 v5, v29, v5, vcc_lo
	v_and_b32_e32 v1, 3, v1
	v_lshl_add_u32 v5, v5, 23, 0x37800000
	v_cndmask_b32_e32 v1, v4, v1, vcc_lo
	v_and_b32_e32 v4, 0x80000000, v28
	v_lshlrev_b32_e32 v1, 21, v1
	v_or3_b32 v1, v4, v5, v1
.LBB6_544:                              ;   in Loop: Header=BB6_358 Depth=4
	s_or_b32 exec_lo, exec_lo, s16
	v_cmp_gt_i16_sdwa s16, v38, v59 src0_sel:BYTE_1 src1_sel:DWORD
	s_mov_b32 s62, 0
	s_and_saveexec_b32 s63, s16
	s_xor_b32 s16, exec_lo, s63
	s_cbranch_execz .LBB6_1674
; %bb.545:                              ;   in Loop: Header=BB6_358 Depth=4
	v_cmp_eq_u16_sdwa s72, v38, v60 src0_sel:BYTE_1 src1_sel:DWORD
	s_mov_b32 s62, -1
	s_and_saveexec_b32 s63, s72
; %bb.546:                              ;   in Loop: Header=BB6_358 Depth=4
	s_xor_b32 s62, exec_lo, -1
; %bb.547:                              ;   in Loop: Header=BB6_358 Depth=4
	s_or_b32 exec_lo, exec_lo, s63
	s_and_b32 s62, s62, exec_lo
	s_or_saveexec_b32 s16, s16
	v_mov_b32_e32 v4, 0x7f800001
	s_xor_b32 exec_lo, exec_lo, s16
	s_cbranch_execnz .LBB6_1675
.LBB6_548:                              ;   in Loop: Header=BB6_358 Depth=4
	s_or_b32 exec_lo, exec_lo, s16
	s_and_saveexec_b32 s16, s62
	s_cbranch_execz .LBB6_550
.LBB6_549:                              ;   in Loop: Header=BB6_358 Depth=4
	v_and_b32_sdwa v4, v61, v38 dst_sel:DWORD dst_unused:UNUSED_PAD src0_sel:DWORD src1_sel:BYTE_1
	v_and_b32_e32 v5, 3, v4
	v_bfe_u32 v30, v4, 2, 5
	v_ffbh_u32_e32 v28, v5
	v_cmp_eq_u32_e32 vcc_lo, 0, v30
	v_min_u32_e32 v28, 32, v28
	v_subrev_nc_u32_e32 v29, 29, v28
	v_sub_nc_u32_e32 v28, 30, v28
	v_lshlrev_b32_e32 v4, v29, v4
	v_lshlrev_b32_sdwa v29, v62, v38 dst_sel:DWORD dst_unused:UNUSED_PAD src0_sel:DWORD src1_sel:BYTE_1
	v_cndmask_b32_e32 v28, v30, v28, vcc_lo
	v_and_b32_e32 v4, 3, v4
	v_lshl_add_u32 v28, v28, 23, 0x37800000
	v_cndmask_b32_e32 v4, v5, v4, vcc_lo
	v_and_b32_e32 v5, 0x80000000, v29
	v_lshlrev_b32_e32 v4, 21, v4
	v_or3_b32 v4, v5, v28, v4
.LBB6_550:                              ;   in Loop: Header=BB6_358 Depth=4
	s_or_b32 exec_lo, exec_lo, s16
	v_mul_f32_e32 v1, v1, v4
	v_mov_b32_e32 v53, 0x8000
	s_mov_b32 s62, exec_lo
	v_and_b32_e32 v4, 0x7f800000, v1
	v_cmpx_ne_u32_e32 0x7f800000, v4
	s_cbranch_execz .LBB6_558
; %bb.551:                              ;   in Loop: Header=BB6_358 Depth=4
	v_mov_b32_e32 v53, 0
	s_mov_b32 s63, exec_lo
	v_cmpx_ne_u32_e32 0, v1
	s_cbranch_execz .LBB6_557
; %bb.552:                              ;   in Loop: Header=BB6_358 Depth=4
	v_bfe_u32 v5, v1, 23, 8
	v_and_b32_e32 v4, 0x7fffff, v1
	v_cmp_gt_u32_e64 s16, 0x71, v5
	v_sub_nc_u32_e32 v28, 0x70, v5
	v_cmp_eq_u32_e32 vcc_lo, 0, v5
	v_or_b32_e32 v29, 0x800000, v4
	v_cndmask_b32_e64 v28, 0, v28, s16
	v_cndmask_b32_e32 v4, v29, v4, vcc_lo
	v_cndmask_b32_e64 v28, v28, 0x6f, vcc_lo
	v_lshl_add_u32 v29, 0x200000, v28, -1
	v_lshlrev_b32_e64 v30, v28, 0x100000
	v_and_b32_e32 v29, v29, v4
	v_cmp_eq_u32_e64 s16, v29, v30
	v_lshrrev_b32_e32 v29, v28, v4
	v_add_nc_u32_e32 v4, 0xffffff91, v5
	v_lshrrev_b32_e32 v5, 23, v29
	v_cndmask_b32_e64 v4, v4, 0xffffff92, vcc_lo
	v_xor_b32_e32 v5, 1, v5
	v_add_nc_u32_e32 v4, v28, v4
	v_bfe_u32 v28, v29, 21, 1
	v_add_nc_u32_e32 v28, -1, v28
	v_cndmask_b32_e64 v28, 0, v28, s16
	s_mov_b32 s16, exec_lo
	v_add_nc_u32_e32 v28, v28, v29
	v_and_b32_e32 v28, 0x1fffff, v28
	v_add_nc_u32_e32 v28, v28, v29
                                        ; implicit-def: $vgpr29
	v_cmpx_ne_u32_e64 v4, v5
	s_xor_b32 s16, exec_lo, s16
; %bb.553:                              ;   in Loop: Header=BB6_358 Depth=4
	v_cmp_lt_u32_e32 vcc_lo, 0xffffff, v28
	v_sub_nc_u32_e32 v4, v4, v5
	v_cndmask_b32_e64 v5, 0, 1, vcc_lo
	v_add_co_ci_u32_e64 v29, null, 0, v4, vcc_lo
	v_lshrrev_b32_e32 v28, v5, v28
; %bb.554:                              ;   in Loop: Header=BB6_358 Depth=4
	s_andn2_saveexec_b32 s16, s16
; %bb.555:                              ;   in Loop: Header=BB6_358 Depth=4
	v_bfe_u32 v29, v28, 23, 1
; %bb.556:                              ;   in Loop: Header=BB6_358 Depth=4
	s_or_b32 exec_lo, exec_lo, s16
	v_lshrrev_b32_e32 v4, 21, v28
	v_min_i32_e32 v5, 31, v29
	v_cmp_gt_i32_e32 vcc_lo, 32, v29
	v_and_b32_sdwa v1, v1, v60 dst_sel:DWORD dst_unused:UNUSED_PAD src0_sel:BYTE_3 src1_sel:DWORD
	v_lshlrev_b32_e32 v5, 2, v5
	v_cndmask_b32_e32 v4, 3, v4, vcc_lo
	v_and_b32_e32 v5, 0xfc, v5
	v_or_b32_e32 v28, v29, v4
	v_and_b32_e32 v4, 3, v4
	v_cmp_ne_u32_e32 vcc_lo, 0, v28
	v_or3_b32 v1, v1, v5, v4
	v_lshlrev_b32_e32 v1, 8, v1
	v_cndmask_b32_e32 v53, 0, v1, vcc_lo
.LBB6_557:                              ;   in Loop: Header=BB6_358 Depth=4
	s_or_b32 exec_lo, exec_lo, s63
.LBB6_558:                              ;   in Loop: Header=BB6_358 Depth=4
	s_or_b32 exec_lo, exec_lo, s62
	v_and_b32_sdwa v4, v50, v63 dst_sel:DWORD dst_unused:UNUSED_PAD src0_sel:WORD_1 src1_sel:DWORD
	s_mov_b32 s62, 0
	s_mov_b32 s16, exec_lo
	v_cmpx_lt_i16_e32 0x7f, v4
	s_xor_b32 s16, exec_lo, s16
	s_cbranch_execz .LBB6_1676
; %bb.559:                              ;   in Loop: Header=BB6_358 Depth=4
	s_mov_b32 s62, -1
	s_mov_b32 s63, exec_lo
	v_cmpx_eq_u16_e32 0x80, v4
; %bb.560:                              ;   in Loop: Header=BB6_358 Depth=4
	s_xor_b32 s62, exec_lo, -1
; %bb.561:                              ;   in Loop: Header=BB6_358 Depth=4
	s_or_b32 exec_lo, exec_lo, s63
	s_and_b32 s62, s62, exec_lo
                                        ; implicit-def: $vgpr4
	s_or_saveexec_b32 s16, s16
	v_mov_b32_e32 v1, 0x7f800001
	s_xor_b32 exec_lo, exec_lo, s16
	s_cbranch_execnz .LBB6_1677
.LBB6_562:                              ;   in Loop: Header=BB6_358 Depth=4
	s_or_b32 exec_lo, exec_lo, s16
	s_and_saveexec_b32 s16, s62
	s_cbranch_execz .LBB6_564
.LBB6_563:                              ;   in Loop: Header=BB6_358 Depth=4
	v_bfe_u32 v1, v50, 16, 2
	v_bfe_u32 v4, v50, 18, 5
	v_ffbh_u32_e32 v5, v1
	v_cmp_eq_u32_e32 vcc_lo, 0, v4
	v_min_u32_e32 v5, 32, v5
	v_subrev_nc_u32_e32 v28, 29, v5
	v_sub_nc_u32_e32 v5, 30, v5
	v_lshlrev_b32_sdwa v28, v28, v50 dst_sel:DWORD dst_unused:UNUSED_PAD src0_sel:DWORD src1_sel:WORD_1
	v_cndmask_b32_e32 v4, v4, v5, vcc_lo
	v_lshlrev_b32_e32 v5, 8, v50
	v_and_b32_e32 v28, 3, v28
	v_lshl_add_u32 v4, v4, 23, 0x37800000
	v_and_b32_e32 v5, 0x80000000, v5
	v_cndmask_b32_e32 v1, v1, v28, vcc_lo
	v_lshlrev_b32_e32 v1, 21, v1
	v_or3_b32 v1, v5, v4, v1
.LBB6_564:                              ;   in Loop: Header=BB6_358 Depth=4
	s_or_b32 exec_lo, exec_lo, s16
	v_and_b32_sdwa v5, v38, v63 dst_sel:DWORD dst_unused:UNUSED_PAD src0_sel:WORD_1 src1_sel:DWORD
	s_mov_b32 s62, 0
	s_mov_b32 s16, exec_lo
	v_cmpx_lt_i16_e32 0x7f, v5
	s_xor_b32 s16, exec_lo, s16
	s_cbranch_execz .LBB6_1678
; %bb.565:                              ;   in Loop: Header=BB6_358 Depth=4
	s_mov_b32 s62, -1
	s_mov_b32 s63, exec_lo
	v_cmpx_eq_u16_e32 0x80, v5
; %bb.566:                              ;   in Loop: Header=BB6_358 Depth=4
	s_xor_b32 s62, exec_lo, -1
; %bb.567:                              ;   in Loop: Header=BB6_358 Depth=4
	s_or_b32 exec_lo, exec_lo, s63
	s_and_b32 s62, s62, exec_lo
                                        ; implicit-def: $vgpr5
	s_or_saveexec_b32 s16, s16
	v_mov_b32_e32 v4, 0x7f800001
	s_xor_b32 exec_lo, exec_lo, s16
	s_cbranch_execnz .LBB6_1679
.LBB6_568:                              ;   in Loop: Header=BB6_358 Depth=4
	s_or_b32 exec_lo, exec_lo, s16
	s_and_saveexec_b32 s16, s62
	s_cbranch_execz .LBB6_570
.LBB6_569:                              ;   in Loop: Header=BB6_358 Depth=4
	v_bfe_u32 v4, v38, 16, 2
	v_bfe_u32 v5, v38, 18, 5
	v_ffbh_u32_e32 v28, v4
	v_cmp_eq_u32_e32 vcc_lo, 0, v5
	v_min_u32_e32 v28, 32, v28
	v_subrev_nc_u32_e32 v29, 29, v28
	v_sub_nc_u32_e32 v28, 30, v28
	v_lshlrev_b32_sdwa v29, v29, v38 dst_sel:DWORD dst_unused:UNUSED_PAD src0_sel:DWORD src1_sel:WORD_1
	v_cndmask_b32_e32 v5, v5, v28, vcc_lo
	v_lshlrev_b32_e32 v28, 8, v38
	v_and_b32_e32 v29, 3, v29
	v_lshl_add_u32 v5, v5, 23, 0x37800000
	v_and_b32_e32 v28, 0x80000000, v28
	v_cndmask_b32_e32 v4, v4, v29, vcc_lo
	v_lshlrev_b32_e32 v4, 21, v4
	v_or3_b32 v4, v28, v5, v4
.LBB6_570:                              ;   in Loop: Header=BB6_358 Depth=4
	s_or_b32 exec_lo, exec_lo, s16
	v_mul_f32_e32 v1, v1, v4
	v_mov_b32_e32 v30, 0x80
	s_mov_b32 s62, exec_lo
	v_and_b32_e32 v4, 0x7f800000, v1
	v_cmpx_ne_u32_e32 0x7f800000, v4
	s_cbranch_execz .LBB6_578
; %bb.571:                              ;   in Loop: Header=BB6_358 Depth=4
	v_mov_b32_e32 v30, 0
	s_mov_b32 s63, exec_lo
	v_cmpx_ne_u32_e32 0, v1
	s_cbranch_execz .LBB6_577
; %bb.572:                              ;   in Loop: Header=BB6_358 Depth=4
	v_bfe_u32 v5, v1, 23, 8
	v_and_b32_e32 v4, 0x7fffff, v1
	v_cmp_gt_u32_e64 s16, 0x71, v5
	v_sub_nc_u32_e32 v28, 0x70, v5
	v_cmp_eq_u32_e32 vcc_lo, 0, v5
	v_or_b32_e32 v29, 0x800000, v4
	v_cndmask_b32_e64 v28, 0, v28, s16
	v_cndmask_b32_e32 v4, v29, v4, vcc_lo
	v_cndmask_b32_e64 v28, v28, 0x6f, vcc_lo
	v_lshl_add_u32 v29, 0x200000, v28, -1
	v_lshlrev_b32_e64 v30, v28, 0x100000
	v_and_b32_e32 v29, v29, v4
	v_cmp_eq_u32_e64 s16, v29, v30
	v_lshrrev_b32_e32 v29, v28, v4
	v_add_nc_u32_e32 v4, 0xffffff91, v5
	v_lshrrev_b32_e32 v5, 23, v29
	v_cndmask_b32_e64 v4, v4, 0xffffff92, vcc_lo
	v_xor_b32_e32 v5, 1, v5
	v_add_nc_u32_e32 v4, v28, v4
	v_bfe_u32 v28, v29, 21, 1
	v_add_nc_u32_e32 v28, -1, v28
	v_cndmask_b32_e64 v28, 0, v28, s16
	s_mov_b32 s16, exec_lo
	v_add_nc_u32_e32 v28, v28, v29
	v_and_b32_e32 v28, 0x1fffff, v28
	v_add_nc_u32_e32 v28, v28, v29
                                        ; implicit-def: $vgpr29
	v_cmpx_ne_u32_e64 v4, v5
	s_xor_b32 s16, exec_lo, s16
; %bb.573:                              ;   in Loop: Header=BB6_358 Depth=4
	v_cmp_lt_u32_e32 vcc_lo, 0xffffff, v28
	v_sub_nc_u32_e32 v4, v4, v5
	v_cndmask_b32_e64 v5, 0, 1, vcc_lo
	v_add_co_ci_u32_e64 v29, null, 0, v4, vcc_lo
	v_lshrrev_b32_e32 v28, v5, v28
; %bb.574:                              ;   in Loop: Header=BB6_358 Depth=4
	s_andn2_saveexec_b32 s16, s16
; %bb.575:                              ;   in Loop: Header=BB6_358 Depth=4
	v_bfe_u32 v29, v28, 23, 1
; %bb.576:                              ;   in Loop: Header=BB6_358 Depth=4
	s_or_b32 exec_lo, exec_lo, s16
	v_lshrrev_b32_e32 v4, 21, v28
	v_min_i32_e32 v5, 31, v29
	v_cmp_gt_i32_e32 vcc_lo, 32, v29
	v_and_b32_sdwa v1, v1, v60 dst_sel:DWORD dst_unused:UNUSED_PAD src0_sel:BYTE_3 src1_sel:DWORD
	v_lshlrev_b32_e32 v5, 2, v5
	v_cndmask_b32_e32 v4, 3, v4, vcc_lo
	v_and_b32_e32 v5, 0xfc, v5
	v_or_b32_e32 v28, v29, v4
	v_and_b32_e32 v4, 3, v4
	v_cmp_ne_u32_e32 vcc_lo, 0, v28
	v_or3_b32 v1, v5, v1, v4
	v_cndmask_b32_e32 v30, 0, v1, vcc_lo
.LBB6_577:                              ;   in Loop: Header=BB6_358 Depth=4
	s_or_b32 exec_lo, exec_lo, s63
.LBB6_578:                              ;   in Loop: Header=BB6_358 Depth=4
	s_or_b32 exec_lo, exec_lo, s62
	v_cmp_gt_i16_sdwa s16, v50, v59 src0_sel:BYTE_3 src1_sel:DWORD
	s_mov_b32 s62, 0
	s_and_saveexec_b32 s63, s16
	s_xor_b32 s16, exec_lo, s63
	s_cbranch_execz .LBB6_1680
; %bb.579:                              ;   in Loop: Header=BB6_358 Depth=4
	v_cmp_eq_u16_sdwa s72, v50, v60 src0_sel:BYTE_3 src1_sel:DWORD
	s_mov_b32 s62, -1
	s_and_saveexec_b32 s63, s72
; %bb.580:                              ;   in Loop: Header=BB6_358 Depth=4
	s_xor_b32 s62, exec_lo, -1
; %bb.581:                              ;   in Loop: Header=BB6_358 Depth=4
	s_or_b32 exec_lo, exec_lo, s63
	s_and_b32 s62, s62, exec_lo
	s_or_saveexec_b32 s16, s16
	v_mov_b32_e32 v1, 0x7f800001
	s_xor_b32 exec_lo, exec_lo, s16
	s_cbranch_execnz .LBB6_1681
.LBB6_582:                              ;   in Loop: Header=BB6_358 Depth=4
	s_or_b32 exec_lo, exec_lo, s16
	s_and_saveexec_b32 s16, s62
	s_cbranch_execz .LBB6_584
.LBB6_583:                              ;   in Loop: Header=BB6_358 Depth=4
	v_bfe_u32 v1, v50, 24, 2
	v_bfe_u32 v28, v50, 26, 5
	v_ffbh_u32_e32 v4, v1
	v_cmp_eq_u32_e32 vcc_lo, 0, v28
	v_min_u32_e32 v4, 32, v4
	v_subrev_nc_u32_e32 v5, 29, v4
	v_sub_nc_u32_e32 v4, 30, v4
	v_lshlrev_b32_sdwa v5, v5, v50 dst_sel:DWORD dst_unused:UNUSED_PAD src0_sel:DWORD src1_sel:BYTE_3
	v_cndmask_b32_e32 v4, v28, v4, vcc_lo
	v_and_b32_e32 v5, 3, v5
	v_lshl_add_u32 v4, v4, 23, 0x37800000
	v_cndmask_b32_e32 v1, v1, v5, vcc_lo
	v_and_b32_e32 v5, 0x80000000, v50
	v_lshlrev_b32_e32 v1, 21, v1
	v_or3_b32 v1, v5, v4, v1
.LBB6_584:                              ;   in Loop: Header=BB6_358 Depth=4
	s_or_b32 exec_lo, exec_lo, s16
	v_cmp_gt_i16_sdwa s16, v38, v59 src0_sel:BYTE_3 src1_sel:DWORD
	s_mov_b32 s62, 0
	s_and_saveexec_b32 s63, s16
	s_xor_b32 s16, exec_lo, s63
	s_cbranch_execz .LBB6_1682
; %bb.585:                              ;   in Loop: Header=BB6_358 Depth=4
	v_cmp_eq_u16_sdwa s72, v38, v60 src0_sel:BYTE_3 src1_sel:DWORD
	s_mov_b32 s62, -1
	s_and_saveexec_b32 s63, s72
; %bb.586:                              ;   in Loop: Header=BB6_358 Depth=4
	s_xor_b32 s62, exec_lo, -1
; %bb.587:                              ;   in Loop: Header=BB6_358 Depth=4
	s_or_b32 exec_lo, exec_lo, s63
	s_and_b32 s62, s62, exec_lo
	s_or_saveexec_b32 s16, s16
	v_mov_b32_e32 v4, 0x7f800001
	s_xor_b32 exec_lo, exec_lo, s16
	s_cbranch_execnz .LBB6_1683
.LBB6_588:                              ;   in Loop: Header=BB6_358 Depth=4
	s_or_b32 exec_lo, exec_lo, s16
	s_and_saveexec_b32 s16, s62
	s_cbranch_execz .LBB6_590
.LBB6_589:                              ;   in Loop: Header=BB6_358 Depth=4
	v_bfe_u32 v4, v38, 24, 2
	v_bfe_u32 v29, v38, 26, 5
	v_ffbh_u32_e32 v5, v4
	v_cmp_eq_u32_e32 vcc_lo, 0, v29
	v_min_u32_e32 v5, 32, v5
	v_subrev_nc_u32_e32 v28, 29, v5
	v_sub_nc_u32_e32 v5, 30, v5
	v_lshlrev_b32_sdwa v28, v28, v38 dst_sel:DWORD dst_unused:UNUSED_PAD src0_sel:DWORD src1_sel:BYTE_3
	v_cndmask_b32_e32 v5, v29, v5, vcc_lo
	v_and_b32_e32 v28, 3, v28
	v_lshl_add_u32 v5, v5, 23, 0x37800000
	v_cndmask_b32_e32 v4, v4, v28, vcc_lo
	v_and_b32_e32 v28, 0x80000000, v38
	v_lshlrev_b32_e32 v4, 21, v4
	v_or3_b32 v4, v28, v5, v4
.LBB6_590:                              ;   in Loop: Header=BB6_358 Depth=4
	s_or_b32 exec_lo, exec_lo, s16
	v_mul_f32_e32 v1, v1, v4
	v_mov_b32_e32 v38, 0x8000
	s_mov_b32 s62, exec_lo
	v_and_b32_e32 v4, 0x7f800000, v1
	v_cmpx_ne_u32_e32 0x7f800000, v4
	s_cbranch_execz .LBB6_598
; %bb.591:                              ;   in Loop: Header=BB6_358 Depth=4
	v_mov_b32_e32 v38, 0
	s_mov_b32 s63, exec_lo
	v_cmpx_ne_u32_e32 0, v1
	s_cbranch_execz .LBB6_597
; %bb.592:                              ;   in Loop: Header=BB6_358 Depth=4
	v_bfe_u32 v5, v1, 23, 8
	v_and_b32_e32 v4, 0x7fffff, v1
	v_cmp_gt_u32_e64 s16, 0x71, v5
	v_sub_nc_u32_e32 v28, 0x70, v5
	v_cmp_eq_u32_e32 vcc_lo, 0, v5
	v_or_b32_e32 v29, 0x800000, v4
	v_cndmask_b32_e64 v28, 0, v28, s16
	v_cndmask_b32_e32 v4, v29, v4, vcc_lo
	v_cndmask_b32_e64 v28, v28, 0x6f, vcc_lo
	v_lshl_add_u32 v29, 0x200000, v28, -1
	v_lshlrev_b32_e64 v31, v28, 0x100000
	v_and_b32_e32 v29, v29, v4
	v_cmp_eq_u32_e64 s16, v29, v31
	v_lshrrev_b32_e32 v29, v28, v4
	v_add_nc_u32_e32 v4, 0xffffff91, v5
	v_lshrrev_b32_e32 v5, 23, v29
	v_cndmask_b32_e64 v4, v4, 0xffffff92, vcc_lo
	v_xor_b32_e32 v5, 1, v5
	v_add_nc_u32_e32 v4, v28, v4
	v_bfe_u32 v28, v29, 21, 1
	v_add_nc_u32_e32 v28, -1, v28
	v_cndmask_b32_e64 v28, 0, v28, s16
	s_mov_b32 s16, exec_lo
	v_add_nc_u32_e32 v28, v28, v29
	v_and_b32_e32 v28, 0x1fffff, v28
	v_add_nc_u32_e32 v28, v28, v29
                                        ; implicit-def: $vgpr29
	v_cmpx_ne_u32_e64 v4, v5
	s_xor_b32 s16, exec_lo, s16
; %bb.593:                              ;   in Loop: Header=BB6_358 Depth=4
	v_cmp_lt_u32_e32 vcc_lo, 0xffffff, v28
	v_sub_nc_u32_e32 v4, v4, v5
	v_cndmask_b32_e64 v5, 0, 1, vcc_lo
	v_add_co_ci_u32_e64 v29, null, 0, v4, vcc_lo
	v_lshrrev_b32_e32 v28, v5, v28
; %bb.594:                              ;   in Loop: Header=BB6_358 Depth=4
	s_andn2_saveexec_b32 s16, s16
; %bb.595:                              ;   in Loop: Header=BB6_358 Depth=4
	v_bfe_u32 v29, v28, 23, 1
; %bb.596:                              ;   in Loop: Header=BB6_358 Depth=4
	s_or_b32 exec_lo, exec_lo, s16
	v_lshrrev_b32_e32 v4, 21, v28
	v_min_i32_e32 v5, 31, v29
	v_cmp_gt_i32_e32 vcc_lo, 32, v29
	v_and_b32_sdwa v1, v1, v60 dst_sel:DWORD dst_unused:UNUSED_PAD src0_sel:BYTE_3 src1_sel:DWORD
	v_lshlrev_b32_e32 v5, 2, v5
	v_cndmask_b32_e32 v4, 3, v4, vcc_lo
	v_and_b32_e32 v5, 0xfc, v5
	v_or_b32_e32 v28, v29, v4
	v_and_b32_e32 v4, 3, v4
	v_cmp_ne_u32_e32 vcc_lo, 0, v28
	v_or3_b32 v1, v1, v5, v4
	v_lshlrev_b32_e32 v1, 8, v1
	v_cndmask_b32_e32 v38, 0, v1, vcc_lo
.LBB6_597:                              ;   in Loop: Header=BB6_358 Depth=4
	s_or_b32 exec_lo, exec_lo, s63
.LBB6_598:                              ;   in Loop: Header=BB6_358 Depth=4
	s_or_b32 exec_lo, exec_lo, s62
	v_cmp_gt_i16_sdwa s16, v51, v59 src0_sel:BYTE_0 src1_sel:DWORD
	s_mov_b32 s62, 0
	s_and_saveexec_b32 s63, s16
	s_xor_b32 s16, exec_lo, s63
	s_cbranch_execz .LBB6_1684
; %bb.599:                              ;   in Loop: Header=BB6_358 Depth=4
	v_cmp_eq_u16_sdwa s72, v51, v60 src0_sel:BYTE_0 src1_sel:DWORD
	s_mov_b32 s62, -1
	s_and_saveexec_b32 s63, s72
; %bb.600:                              ;   in Loop: Header=BB6_358 Depth=4
	s_xor_b32 s62, exec_lo, -1
; %bb.601:                              ;   in Loop: Header=BB6_358 Depth=4
	s_or_b32 exec_lo, exec_lo, s63
	s_and_b32 s62, s62, exec_lo
	s_or_saveexec_b32 s16, s16
	v_mov_b32_e32 v1, 0x7f800001
	s_xor_b32 exec_lo, exec_lo, s16
	s_cbranch_execnz .LBB6_1685
.LBB6_602:                              ;   in Loop: Header=BB6_358 Depth=4
	s_or_b32 exec_lo, exec_lo, s16
	s_and_saveexec_b32 s16, s62
	s_cbranch_execz .LBB6_604
.LBB6_603:                              ;   in Loop: Header=BB6_358 Depth=4
	v_and_b32_e32 v1, 3, v51
	v_bfe_u32 v4, v51, 2, 5
	v_ffbh_u32_e32 v5, v1
	v_cmp_eq_u32_e32 vcc_lo, 0, v4
	v_min_u32_e32 v5, 32, v5
	v_subrev_nc_u32_e32 v28, 29, v5
	v_sub_nc_u32_e32 v5, 30, v5
	v_lshlrev_b32_e32 v28, v28, v51
	v_cndmask_b32_e32 v4, v4, v5, vcc_lo
	v_lshlrev_b32_e32 v5, 24, v51
	v_and_b32_e32 v28, 3, v28
	v_lshl_add_u32 v4, v4, 23, 0x37800000
	v_and_b32_e32 v5, 0x80000000, v5
	v_cndmask_b32_e32 v1, v1, v28, vcc_lo
	v_lshlrev_b32_e32 v1, 21, v1
	v_or3_b32 v1, v5, v4, v1
.LBB6_604:                              ;   in Loop: Header=BB6_358 Depth=4
	s_or_b32 exec_lo, exec_lo, s16
	v_cmp_gt_i16_sdwa s16, v39, v59 src0_sel:BYTE_0 src1_sel:DWORD
	s_mov_b32 s62, 0
	s_and_saveexec_b32 s63, s16
	s_xor_b32 s16, exec_lo, s63
	s_cbranch_execz .LBB6_1686
; %bb.605:                              ;   in Loop: Header=BB6_358 Depth=4
	v_cmp_eq_u16_sdwa s72, v39, v60 src0_sel:BYTE_0 src1_sel:DWORD
	s_mov_b32 s62, -1
	s_and_saveexec_b32 s63, s72
; %bb.606:                              ;   in Loop: Header=BB6_358 Depth=4
	s_xor_b32 s62, exec_lo, -1
; %bb.607:                              ;   in Loop: Header=BB6_358 Depth=4
	s_or_b32 exec_lo, exec_lo, s63
	s_and_b32 s62, s62, exec_lo
	s_or_saveexec_b32 s16, s16
	v_mov_b32_e32 v4, 0x7f800001
	s_xor_b32 exec_lo, exec_lo, s16
	s_cbranch_execnz .LBB6_1687
.LBB6_608:                              ;   in Loop: Header=BB6_358 Depth=4
	s_or_b32 exec_lo, exec_lo, s16
	s_and_saveexec_b32 s16, s62
	s_cbranch_execz .LBB6_610
.LBB6_609:                              ;   in Loop: Header=BB6_358 Depth=4
	v_and_b32_e32 v4, 3, v39
	v_bfe_u32 v5, v39, 2, 5
	v_ffbh_u32_e32 v28, v4
	v_cmp_eq_u32_e32 vcc_lo, 0, v5
	v_min_u32_e32 v28, 32, v28
	v_subrev_nc_u32_e32 v29, 29, v28
	v_sub_nc_u32_e32 v28, 30, v28
	v_lshlrev_b32_e32 v29, v29, v39
	v_cndmask_b32_e32 v5, v5, v28, vcc_lo
	v_lshlrev_b32_e32 v28, 24, v39
	v_and_b32_e32 v29, 3, v29
	v_lshl_add_u32 v5, v5, 23, 0x37800000
	v_and_b32_e32 v28, 0x80000000, v28
	v_cndmask_b32_e32 v4, v4, v29, vcc_lo
	v_lshlrev_b32_e32 v4, 21, v4
	v_or3_b32 v4, v28, v5, v4
.LBB6_610:                              ;   in Loop: Header=BB6_358 Depth=4
	s_or_b32 exec_lo, exec_lo, s16
	v_mul_f32_e32 v1, v1, v4
	v_mov_b32_e32 v50, 0x80
	s_mov_b32 s62, exec_lo
	v_and_b32_e32 v4, 0x7f800000, v1
	v_cmpx_ne_u32_e32 0x7f800000, v4
	s_cbranch_execz .LBB6_618
; %bb.611:                              ;   in Loop: Header=BB6_358 Depth=4
	v_mov_b32_e32 v50, 0
	s_mov_b32 s63, exec_lo
	v_cmpx_ne_u32_e32 0, v1
	s_cbranch_execz .LBB6_617
; %bb.612:                              ;   in Loop: Header=BB6_358 Depth=4
	v_bfe_u32 v5, v1, 23, 8
	v_and_b32_e32 v4, 0x7fffff, v1
	v_cmp_gt_u32_e64 s16, 0x71, v5
	v_sub_nc_u32_e32 v28, 0x70, v5
	v_cmp_eq_u32_e32 vcc_lo, 0, v5
	v_or_b32_e32 v29, 0x800000, v4
	v_cndmask_b32_e64 v28, 0, v28, s16
	v_cndmask_b32_e32 v4, v29, v4, vcc_lo
	v_cndmask_b32_e64 v28, v28, 0x6f, vcc_lo
	v_lshl_add_u32 v29, 0x200000, v28, -1
	v_lshlrev_b32_e64 v31, v28, 0x100000
	v_and_b32_e32 v29, v29, v4
	v_cmp_eq_u32_e64 s16, v29, v31
	v_lshrrev_b32_e32 v29, v28, v4
	v_add_nc_u32_e32 v4, 0xffffff91, v5
	v_lshrrev_b32_e32 v5, 23, v29
	v_cndmask_b32_e64 v4, v4, 0xffffff92, vcc_lo
	v_xor_b32_e32 v5, 1, v5
	v_add_nc_u32_e32 v4, v28, v4
	v_bfe_u32 v28, v29, 21, 1
	v_add_nc_u32_e32 v28, -1, v28
	v_cndmask_b32_e64 v28, 0, v28, s16
	s_mov_b32 s16, exec_lo
	v_add_nc_u32_e32 v28, v28, v29
	v_and_b32_e32 v28, 0x1fffff, v28
	v_add_nc_u32_e32 v28, v28, v29
                                        ; implicit-def: $vgpr29
	v_cmpx_ne_u32_e64 v4, v5
	s_xor_b32 s16, exec_lo, s16
; %bb.613:                              ;   in Loop: Header=BB6_358 Depth=4
	v_cmp_lt_u32_e32 vcc_lo, 0xffffff, v28
	v_sub_nc_u32_e32 v4, v4, v5
	v_cndmask_b32_e64 v5, 0, 1, vcc_lo
	v_add_co_ci_u32_e64 v29, null, 0, v4, vcc_lo
	v_lshrrev_b32_e32 v28, v5, v28
; %bb.614:                              ;   in Loop: Header=BB6_358 Depth=4
	s_andn2_saveexec_b32 s16, s16
; %bb.615:                              ;   in Loop: Header=BB6_358 Depth=4
	v_bfe_u32 v29, v28, 23, 1
; %bb.616:                              ;   in Loop: Header=BB6_358 Depth=4
	s_or_b32 exec_lo, exec_lo, s16
	v_lshrrev_b32_e32 v4, 21, v28
	v_min_i32_e32 v5, 31, v29
	v_cmp_gt_i32_e32 vcc_lo, 32, v29
	v_and_b32_sdwa v1, v1, v60 dst_sel:DWORD dst_unused:UNUSED_PAD src0_sel:BYTE_3 src1_sel:DWORD
	v_lshlrev_b32_e32 v5, 2, v5
	v_cndmask_b32_e32 v4, 3, v4, vcc_lo
	v_and_b32_e32 v5, 0xfc, v5
	v_or_b32_e32 v28, v29, v4
	v_and_b32_e32 v4, 3, v4
	v_cmp_ne_u32_e32 vcc_lo, 0, v28
	v_or3_b32 v1, v5, v1, v4
	v_cndmask_b32_e32 v50, 0, v1, vcc_lo
.LBB6_617:                              ;   in Loop: Header=BB6_358 Depth=4
	s_or_b32 exec_lo, exec_lo, s63
.LBB6_618:                              ;   in Loop: Header=BB6_358 Depth=4
	s_or_b32 exec_lo, exec_lo, s62
	v_cmp_gt_i16_sdwa s16, v51, v59 src0_sel:BYTE_1 src1_sel:DWORD
	s_mov_b32 s62, 0
	s_and_saveexec_b32 s63, s16
	s_xor_b32 s16, exec_lo, s63
	s_cbranch_execz .LBB6_1688
; %bb.619:                              ;   in Loop: Header=BB6_358 Depth=4
	v_cmp_eq_u16_sdwa s72, v51, v60 src0_sel:BYTE_1 src1_sel:DWORD
	s_mov_b32 s62, -1
	s_and_saveexec_b32 s63, s72
; %bb.620:                              ;   in Loop: Header=BB6_358 Depth=4
	s_xor_b32 s62, exec_lo, -1
; %bb.621:                              ;   in Loop: Header=BB6_358 Depth=4
	s_or_b32 exec_lo, exec_lo, s63
	s_and_b32 s62, s62, exec_lo
	s_or_saveexec_b32 s16, s16
	v_mov_b32_e32 v1, 0x7f800001
	s_xor_b32 exec_lo, exec_lo, s16
	s_cbranch_execnz .LBB6_1689
.LBB6_622:                              ;   in Loop: Header=BB6_358 Depth=4
	s_or_b32 exec_lo, exec_lo, s16
	s_and_saveexec_b32 s16, s62
	s_cbranch_execz .LBB6_624
.LBB6_623:                              ;   in Loop: Header=BB6_358 Depth=4
	v_and_b32_sdwa v1, v61, v51 dst_sel:DWORD dst_unused:UNUSED_PAD src0_sel:DWORD src1_sel:BYTE_1
	v_and_b32_e32 v4, 3, v1
	v_bfe_u32 v29, v1, 2, 5
	v_ffbh_u32_e32 v5, v4
	v_cmp_eq_u32_e32 vcc_lo, 0, v29
	v_min_u32_e32 v5, 32, v5
	v_subrev_nc_u32_e32 v28, 29, v5
	v_sub_nc_u32_e32 v5, 30, v5
	v_lshlrev_b32_e32 v1, v28, v1
	v_lshlrev_b32_sdwa v28, v62, v51 dst_sel:DWORD dst_unused:UNUSED_PAD src0_sel:DWORD src1_sel:BYTE_1
	v_cndmask_b32_e32 v5, v29, v5, vcc_lo
	v_and_b32_e32 v1, 3, v1
	v_lshl_add_u32 v5, v5, 23, 0x37800000
	v_cndmask_b32_e32 v1, v4, v1, vcc_lo
	v_and_b32_e32 v4, 0x80000000, v28
	v_lshlrev_b32_e32 v1, 21, v1
	v_or3_b32 v1, v4, v5, v1
.LBB6_624:                              ;   in Loop: Header=BB6_358 Depth=4
	s_or_b32 exec_lo, exec_lo, s16
	v_cmp_gt_i16_sdwa s16, v39, v59 src0_sel:BYTE_1 src1_sel:DWORD
	s_mov_b32 s62, 0
	s_and_saveexec_b32 s63, s16
	s_xor_b32 s16, exec_lo, s63
	s_cbranch_execz .LBB6_1690
; %bb.625:                              ;   in Loop: Header=BB6_358 Depth=4
	v_cmp_eq_u16_sdwa s72, v39, v60 src0_sel:BYTE_1 src1_sel:DWORD
	s_mov_b32 s62, -1
	s_and_saveexec_b32 s63, s72
; %bb.626:                              ;   in Loop: Header=BB6_358 Depth=4
	s_xor_b32 s62, exec_lo, -1
; %bb.627:                              ;   in Loop: Header=BB6_358 Depth=4
	s_or_b32 exec_lo, exec_lo, s63
	s_and_b32 s62, s62, exec_lo
	s_or_saveexec_b32 s16, s16
	v_mov_b32_e32 v4, 0x7f800001
	s_xor_b32 exec_lo, exec_lo, s16
	s_cbranch_execnz .LBB6_1691
.LBB6_628:                              ;   in Loop: Header=BB6_358 Depth=4
	s_or_b32 exec_lo, exec_lo, s16
	s_and_saveexec_b32 s16, s62
	s_cbranch_execz .LBB6_630
.LBB6_629:                              ;   in Loop: Header=BB6_358 Depth=4
	v_and_b32_sdwa v4, v61, v39 dst_sel:DWORD dst_unused:UNUSED_PAD src0_sel:DWORD src1_sel:BYTE_1
	v_and_b32_e32 v5, 3, v4
	v_bfe_u32 v31, v4, 2, 5
	v_ffbh_u32_e32 v28, v5
	v_cmp_eq_u32_e32 vcc_lo, 0, v31
	v_min_u32_e32 v28, 32, v28
	v_subrev_nc_u32_e32 v29, 29, v28
	v_sub_nc_u32_e32 v28, 30, v28
	v_lshlrev_b32_e32 v4, v29, v4
	v_lshlrev_b32_sdwa v29, v62, v39 dst_sel:DWORD dst_unused:UNUSED_PAD src0_sel:DWORD src1_sel:BYTE_1
	v_cndmask_b32_e32 v28, v31, v28, vcc_lo
	v_and_b32_e32 v4, 3, v4
	v_lshl_add_u32 v28, v28, 23, 0x37800000
	v_cndmask_b32_e32 v4, v5, v4, vcc_lo
	v_and_b32_e32 v5, 0x80000000, v29
	v_lshlrev_b32_e32 v4, 21, v4
	v_or3_b32 v4, v5, v28, v4
.LBB6_630:                              ;   in Loop: Header=BB6_358 Depth=4
	s_or_b32 exec_lo, exec_lo, s16
	v_mul_f32_e32 v1, v1, v4
	v_mov_b32_e32 v54, 0x8000
	s_mov_b32 s62, exec_lo
	v_and_b32_e32 v4, 0x7f800000, v1
	v_cmpx_ne_u32_e32 0x7f800000, v4
	s_cbranch_execz .LBB6_638
; %bb.631:                              ;   in Loop: Header=BB6_358 Depth=4
	v_mov_b32_e32 v54, 0
	s_mov_b32 s63, exec_lo
	v_cmpx_ne_u32_e32 0, v1
	s_cbranch_execz .LBB6_637
; %bb.632:                              ;   in Loop: Header=BB6_358 Depth=4
	v_bfe_u32 v5, v1, 23, 8
	v_and_b32_e32 v4, 0x7fffff, v1
	v_cmp_gt_u32_e64 s16, 0x71, v5
	v_sub_nc_u32_e32 v28, 0x70, v5
	v_cmp_eq_u32_e32 vcc_lo, 0, v5
	v_or_b32_e32 v29, 0x800000, v4
	v_cndmask_b32_e64 v28, 0, v28, s16
	v_cndmask_b32_e32 v4, v29, v4, vcc_lo
	v_cndmask_b32_e64 v28, v28, 0x6f, vcc_lo
	v_lshl_add_u32 v29, 0x200000, v28, -1
	v_lshlrev_b32_e64 v31, v28, 0x100000
	v_and_b32_e32 v29, v29, v4
	v_cmp_eq_u32_e64 s16, v29, v31
	v_lshrrev_b32_e32 v29, v28, v4
	v_add_nc_u32_e32 v4, 0xffffff91, v5
	v_lshrrev_b32_e32 v5, 23, v29
	v_cndmask_b32_e64 v4, v4, 0xffffff92, vcc_lo
	v_xor_b32_e32 v5, 1, v5
	v_add_nc_u32_e32 v4, v28, v4
	v_bfe_u32 v28, v29, 21, 1
	v_add_nc_u32_e32 v28, -1, v28
	v_cndmask_b32_e64 v28, 0, v28, s16
	s_mov_b32 s16, exec_lo
	v_add_nc_u32_e32 v28, v28, v29
	v_and_b32_e32 v28, 0x1fffff, v28
	v_add_nc_u32_e32 v28, v28, v29
                                        ; implicit-def: $vgpr29
	v_cmpx_ne_u32_e64 v4, v5
	s_xor_b32 s16, exec_lo, s16
; %bb.633:                              ;   in Loop: Header=BB6_358 Depth=4
	v_cmp_lt_u32_e32 vcc_lo, 0xffffff, v28
	v_sub_nc_u32_e32 v4, v4, v5
	v_cndmask_b32_e64 v5, 0, 1, vcc_lo
	v_add_co_ci_u32_e64 v29, null, 0, v4, vcc_lo
	v_lshrrev_b32_e32 v28, v5, v28
; %bb.634:                              ;   in Loop: Header=BB6_358 Depth=4
	s_andn2_saveexec_b32 s16, s16
; %bb.635:                              ;   in Loop: Header=BB6_358 Depth=4
	v_bfe_u32 v29, v28, 23, 1
; %bb.636:                              ;   in Loop: Header=BB6_358 Depth=4
	s_or_b32 exec_lo, exec_lo, s16
	v_lshrrev_b32_e32 v4, 21, v28
	v_min_i32_e32 v5, 31, v29
	v_cmp_gt_i32_e32 vcc_lo, 32, v29
	v_and_b32_sdwa v1, v1, v60 dst_sel:DWORD dst_unused:UNUSED_PAD src0_sel:BYTE_3 src1_sel:DWORD
	v_lshlrev_b32_e32 v5, 2, v5
	v_cndmask_b32_e32 v4, 3, v4, vcc_lo
	v_and_b32_e32 v5, 0xfc, v5
	v_or_b32_e32 v28, v29, v4
	v_and_b32_e32 v4, 3, v4
	v_cmp_ne_u32_e32 vcc_lo, 0, v28
	v_or3_b32 v1, v1, v5, v4
	v_lshlrev_b32_e32 v1, 8, v1
	v_cndmask_b32_e32 v54, 0, v1, vcc_lo
.LBB6_637:                              ;   in Loop: Header=BB6_358 Depth=4
	s_or_b32 exec_lo, exec_lo, s63
.LBB6_638:                              ;   in Loop: Header=BB6_358 Depth=4
	s_or_b32 exec_lo, exec_lo, s62
	v_and_b32_sdwa v4, v51, v63 dst_sel:DWORD dst_unused:UNUSED_PAD src0_sel:WORD_1 src1_sel:DWORD
	s_mov_b32 s62, 0
	s_mov_b32 s16, exec_lo
	v_cmpx_lt_i16_e32 0x7f, v4
	s_xor_b32 s16, exec_lo, s16
	s_cbranch_execz .LBB6_1692
; %bb.639:                              ;   in Loop: Header=BB6_358 Depth=4
	s_mov_b32 s62, -1
	s_mov_b32 s63, exec_lo
	v_cmpx_eq_u16_e32 0x80, v4
; %bb.640:                              ;   in Loop: Header=BB6_358 Depth=4
	s_xor_b32 s62, exec_lo, -1
; %bb.641:                              ;   in Loop: Header=BB6_358 Depth=4
	s_or_b32 exec_lo, exec_lo, s63
	s_and_b32 s62, s62, exec_lo
                                        ; implicit-def: $vgpr4
	s_or_saveexec_b32 s16, s16
	v_mov_b32_e32 v1, 0x7f800001
	s_xor_b32 exec_lo, exec_lo, s16
	s_cbranch_execnz .LBB6_1693
.LBB6_642:                              ;   in Loop: Header=BB6_358 Depth=4
	s_or_b32 exec_lo, exec_lo, s16
	s_and_saveexec_b32 s16, s62
	s_cbranch_execz .LBB6_644
.LBB6_643:                              ;   in Loop: Header=BB6_358 Depth=4
	v_bfe_u32 v1, v51, 16, 2
	v_bfe_u32 v4, v51, 18, 5
	v_ffbh_u32_e32 v5, v1
	v_cmp_eq_u32_e32 vcc_lo, 0, v4
	v_min_u32_e32 v5, 32, v5
	v_subrev_nc_u32_e32 v28, 29, v5
	v_sub_nc_u32_e32 v5, 30, v5
	v_lshlrev_b32_sdwa v28, v28, v51 dst_sel:DWORD dst_unused:UNUSED_PAD src0_sel:DWORD src1_sel:WORD_1
	v_cndmask_b32_e32 v4, v4, v5, vcc_lo
	v_lshlrev_b32_e32 v5, 8, v51
	v_and_b32_e32 v28, 3, v28
	v_lshl_add_u32 v4, v4, 23, 0x37800000
	v_and_b32_e32 v5, 0x80000000, v5
	v_cndmask_b32_e32 v1, v1, v28, vcc_lo
	v_lshlrev_b32_e32 v1, 21, v1
	v_or3_b32 v1, v5, v4, v1
.LBB6_644:                              ;   in Loop: Header=BB6_358 Depth=4
	s_or_b32 exec_lo, exec_lo, s16
	v_and_b32_sdwa v5, v39, v63 dst_sel:DWORD dst_unused:UNUSED_PAD src0_sel:WORD_1 src1_sel:DWORD
	s_mov_b32 s62, 0
	s_mov_b32 s16, exec_lo
	v_cmpx_lt_i16_e32 0x7f, v5
	s_xor_b32 s16, exec_lo, s16
	s_cbranch_execz .LBB6_1694
; %bb.645:                              ;   in Loop: Header=BB6_358 Depth=4
	s_mov_b32 s62, -1
	s_mov_b32 s63, exec_lo
	v_cmpx_eq_u16_e32 0x80, v5
; %bb.646:                              ;   in Loop: Header=BB6_358 Depth=4
	s_xor_b32 s62, exec_lo, -1
; %bb.647:                              ;   in Loop: Header=BB6_358 Depth=4
	s_or_b32 exec_lo, exec_lo, s63
	s_and_b32 s62, s62, exec_lo
                                        ; implicit-def: $vgpr5
	s_or_saveexec_b32 s16, s16
	v_mov_b32_e32 v4, 0x7f800001
	s_xor_b32 exec_lo, exec_lo, s16
	s_cbranch_execnz .LBB6_1695
.LBB6_648:                              ;   in Loop: Header=BB6_358 Depth=4
	s_or_b32 exec_lo, exec_lo, s16
	s_and_saveexec_b32 s16, s62
	s_cbranch_execz .LBB6_650
.LBB6_649:                              ;   in Loop: Header=BB6_358 Depth=4
	v_bfe_u32 v4, v39, 16, 2
	v_bfe_u32 v5, v39, 18, 5
	v_ffbh_u32_e32 v28, v4
	v_cmp_eq_u32_e32 vcc_lo, 0, v5
	v_min_u32_e32 v28, 32, v28
	v_subrev_nc_u32_e32 v29, 29, v28
	v_sub_nc_u32_e32 v28, 30, v28
	v_lshlrev_b32_sdwa v29, v29, v39 dst_sel:DWORD dst_unused:UNUSED_PAD src0_sel:DWORD src1_sel:WORD_1
	v_cndmask_b32_e32 v5, v5, v28, vcc_lo
	v_lshlrev_b32_e32 v28, 8, v39
	v_and_b32_e32 v29, 3, v29
	v_lshl_add_u32 v5, v5, 23, 0x37800000
	v_and_b32_e32 v28, 0x80000000, v28
	v_cndmask_b32_e32 v4, v4, v29, vcc_lo
	v_lshlrev_b32_e32 v4, 21, v4
	v_or3_b32 v4, v28, v5, v4
.LBB6_650:                              ;   in Loop: Header=BB6_358 Depth=4
	s_or_b32 exec_lo, exec_lo, s16
	v_mul_f32_e32 v1, v1, v4
	v_mov_b32_e32 v55, 0x80
	s_mov_b32 s62, exec_lo
	v_and_b32_e32 v4, 0x7f800000, v1
	v_cmpx_ne_u32_e32 0x7f800000, v4
	s_cbranch_execz .LBB6_658
; %bb.651:                              ;   in Loop: Header=BB6_358 Depth=4
	v_mov_b32_e32 v55, 0
	s_mov_b32 s63, exec_lo
	v_cmpx_ne_u32_e32 0, v1
	s_cbranch_execz .LBB6_657
; %bb.652:                              ;   in Loop: Header=BB6_358 Depth=4
	v_bfe_u32 v5, v1, 23, 8
	v_and_b32_e32 v4, 0x7fffff, v1
	v_cmp_gt_u32_e64 s16, 0x71, v5
	v_sub_nc_u32_e32 v28, 0x70, v5
	v_cmp_eq_u32_e32 vcc_lo, 0, v5
	v_or_b32_e32 v29, 0x800000, v4
	v_cndmask_b32_e64 v28, 0, v28, s16
	v_cndmask_b32_e32 v4, v29, v4, vcc_lo
	v_cndmask_b32_e64 v28, v28, 0x6f, vcc_lo
	v_lshl_add_u32 v29, 0x200000, v28, -1
	v_lshlrev_b32_e64 v31, v28, 0x100000
	v_and_b32_e32 v29, v29, v4
	v_cmp_eq_u32_e64 s16, v29, v31
	v_lshrrev_b32_e32 v29, v28, v4
	v_add_nc_u32_e32 v4, 0xffffff91, v5
	v_lshrrev_b32_e32 v5, 23, v29
	v_cndmask_b32_e64 v4, v4, 0xffffff92, vcc_lo
	v_xor_b32_e32 v5, 1, v5
	v_add_nc_u32_e32 v4, v28, v4
	v_bfe_u32 v28, v29, 21, 1
	v_add_nc_u32_e32 v28, -1, v28
	v_cndmask_b32_e64 v28, 0, v28, s16
	s_mov_b32 s16, exec_lo
	v_add_nc_u32_e32 v28, v28, v29
	v_and_b32_e32 v28, 0x1fffff, v28
	v_add_nc_u32_e32 v28, v28, v29
                                        ; implicit-def: $vgpr29
	v_cmpx_ne_u32_e64 v4, v5
	s_xor_b32 s16, exec_lo, s16
; %bb.653:                              ;   in Loop: Header=BB6_358 Depth=4
	v_cmp_lt_u32_e32 vcc_lo, 0xffffff, v28
	v_sub_nc_u32_e32 v4, v4, v5
	v_cndmask_b32_e64 v5, 0, 1, vcc_lo
	v_add_co_ci_u32_e64 v29, null, 0, v4, vcc_lo
	v_lshrrev_b32_e32 v28, v5, v28
; %bb.654:                              ;   in Loop: Header=BB6_358 Depth=4
	s_andn2_saveexec_b32 s16, s16
; %bb.655:                              ;   in Loop: Header=BB6_358 Depth=4
	v_bfe_u32 v29, v28, 23, 1
; %bb.656:                              ;   in Loop: Header=BB6_358 Depth=4
	s_or_b32 exec_lo, exec_lo, s16
	v_lshrrev_b32_e32 v4, 21, v28
	v_min_i32_e32 v5, 31, v29
	v_cmp_gt_i32_e32 vcc_lo, 32, v29
	v_and_b32_sdwa v1, v1, v60 dst_sel:DWORD dst_unused:UNUSED_PAD src0_sel:BYTE_3 src1_sel:DWORD
	v_lshlrev_b32_e32 v5, 2, v5
	v_cndmask_b32_e32 v4, 3, v4, vcc_lo
	v_and_b32_e32 v5, 0xfc, v5
	v_or_b32_e32 v28, v29, v4
	v_and_b32_e32 v4, 3, v4
	v_cmp_ne_u32_e32 vcc_lo, 0, v28
	v_or3_b32 v1, v5, v1, v4
	v_cndmask_b32_e32 v55, 0, v1, vcc_lo
.LBB6_657:                              ;   in Loop: Header=BB6_358 Depth=4
	s_or_b32 exec_lo, exec_lo, s63
.LBB6_658:                              ;   in Loop: Header=BB6_358 Depth=4
	s_or_b32 exec_lo, exec_lo, s62
	v_cmp_gt_i16_sdwa s16, v51, v59 src0_sel:BYTE_3 src1_sel:DWORD
	s_mov_b32 s62, 0
	s_and_saveexec_b32 s63, s16
	s_xor_b32 s16, exec_lo, s63
	s_cbranch_execz .LBB6_1696
; %bb.659:                              ;   in Loop: Header=BB6_358 Depth=4
	v_cmp_eq_u16_sdwa s72, v51, v60 src0_sel:BYTE_3 src1_sel:DWORD
	s_mov_b32 s62, -1
	s_and_saveexec_b32 s63, s72
; %bb.660:                              ;   in Loop: Header=BB6_358 Depth=4
	s_xor_b32 s62, exec_lo, -1
; %bb.661:                              ;   in Loop: Header=BB6_358 Depth=4
	s_or_b32 exec_lo, exec_lo, s63
	s_and_b32 s62, s62, exec_lo
	s_or_saveexec_b32 s16, s16
	v_mov_b32_e32 v1, 0x7f800001
	s_xor_b32 exec_lo, exec_lo, s16
	s_cbranch_execnz .LBB6_1697
.LBB6_662:                              ;   in Loop: Header=BB6_358 Depth=4
	s_or_b32 exec_lo, exec_lo, s16
	s_and_saveexec_b32 s16, s62
	s_cbranch_execz .LBB6_664
.LBB6_663:                              ;   in Loop: Header=BB6_358 Depth=4
	v_bfe_u32 v1, v51, 24, 2
	v_bfe_u32 v28, v51, 26, 5
	v_ffbh_u32_e32 v4, v1
	v_cmp_eq_u32_e32 vcc_lo, 0, v28
	v_min_u32_e32 v4, 32, v4
	v_subrev_nc_u32_e32 v5, 29, v4
	v_sub_nc_u32_e32 v4, 30, v4
	v_lshlrev_b32_sdwa v5, v5, v51 dst_sel:DWORD dst_unused:UNUSED_PAD src0_sel:DWORD src1_sel:BYTE_3
	v_cndmask_b32_e32 v4, v28, v4, vcc_lo
	v_and_b32_e32 v5, 3, v5
	v_lshl_add_u32 v4, v4, 23, 0x37800000
	v_cndmask_b32_e32 v1, v1, v5, vcc_lo
	v_and_b32_e32 v5, 0x80000000, v51
	v_lshlrev_b32_e32 v1, 21, v1
	v_or3_b32 v1, v5, v4, v1
.LBB6_664:                              ;   in Loop: Header=BB6_358 Depth=4
	s_or_b32 exec_lo, exec_lo, s16
	v_cmp_gt_i16_sdwa s16, v39, v59 src0_sel:BYTE_3 src1_sel:DWORD
	s_mov_b32 s62, 0
	s_and_saveexec_b32 s63, s16
	s_xor_b32 s16, exec_lo, s63
	s_cbranch_execz .LBB6_1698
; %bb.665:                              ;   in Loop: Header=BB6_358 Depth=4
	v_cmp_eq_u16_sdwa s72, v39, v60 src0_sel:BYTE_3 src1_sel:DWORD
	s_mov_b32 s62, -1
	s_and_saveexec_b32 s63, s72
; %bb.666:                              ;   in Loop: Header=BB6_358 Depth=4
	s_xor_b32 s62, exec_lo, -1
; %bb.667:                              ;   in Loop: Header=BB6_358 Depth=4
	s_or_b32 exec_lo, exec_lo, s63
	s_and_b32 s62, s62, exec_lo
	s_or_saveexec_b32 s16, s16
	v_mov_b32_e32 v4, 0x7f800001
	s_xor_b32 exec_lo, exec_lo, s16
	s_cbranch_execnz .LBB6_1699
.LBB6_668:                              ;   in Loop: Header=BB6_358 Depth=4
	s_or_b32 exec_lo, exec_lo, s16
	s_and_saveexec_b32 s16, s62
	s_cbranch_execz .LBB6_670
.LBB6_669:                              ;   in Loop: Header=BB6_358 Depth=4
	v_bfe_u32 v4, v39, 24, 2
	v_bfe_u32 v29, v39, 26, 5
	v_ffbh_u32_e32 v5, v4
	v_cmp_eq_u32_e32 vcc_lo, 0, v29
	v_min_u32_e32 v5, 32, v5
	v_subrev_nc_u32_e32 v28, 29, v5
	v_sub_nc_u32_e32 v5, 30, v5
	v_lshlrev_b32_sdwa v28, v28, v39 dst_sel:DWORD dst_unused:UNUSED_PAD src0_sel:DWORD src1_sel:BYTE_3
	v_cndmask_b32_e32 v5, v29, v5, vcc_lo
	v_and_b32_e32 v28, 3, v28
	v_lshl_add_u32 v5, v5, 23, 0x37800000
	v_cndmask_b32_e32 v4, v4, v28, vcc_lo
	v_and_b32_e32 v28, 0x80000000, v39
	v_lshlrev_b32_e32 v4, 21, v4
	v_or3_b32 v4, v28, v5, v4
.LBB6_670:                              ;   in Loop: Header=BB6_358 Depth=4
	s_or_b32 exec_lo, exec_lo, s16
	v_mul_f32_e32 v1, v1, v4
	v_mov_b32_e32 v39, 0x8000
	s_mov_b32 s62, exec_lo
	v_and_b32_e32 v4, 0x7f800000, v1
	v_cmpx_ne_u32_e32 0x7f800000, v4
	s_cbranch_execz .LBB6_678
; %bb.671:                              ;   in Loop: Header=BB6_358 Depth=4
	v_mov_b32_e32 v39, 0
	s_mov_b32 s63, exec_lo
	v_cmpx_ne_u32_e32 0, v1
	s_cbranch_execz .LBB6_677
; %bb.672:                              ;   in Loop: Header=BB6_358 Depth=4
	v_bfe_u32 v5, v1, 23, 8
	v_and_b32_e32 v4, 0x7fffff, v1
	v_cmp_gt_u32_e64 s16, 0x71, v5
	v_sub_nc_u32_e32 v28, 0x70, v5
	v_cmp_eq_u32_e32 vcc_lo, 0, v5
	v_or_b32_e32 v29, 0x800000, v4
	v_cndmask_b32_e64 v28, 0, v28, s16
	v_cndmask_b32_e32 v4, v29, v4, vcc_lo
	v_cndmask_b32_e64 v28, v28, 0x6f, vcc_lo
	v_lshl_add_u32 v29, 0x200000, v28, -1
	v_lshlrev_b32_e64 v31, v28, 0x100000
	v_and_b32_e32 v29, v29, v4
	v_cmp_eq_u32_e64 s16, v29, v31
	v_lshrrev_b32_e32 v29, v28, v4
	v_add_nc_u32_e32 v4, 0xffffff91, v5
	v_lshrrev_b32_e32 v5, 23, v29
	v_cndmask_b32_e64 v4, v4, 0xffffff92, vcc_lo
	v_xor_b32_e32 v5, 1, v5
	v_add_nc_u32_e32 v4, v28, v4
	v_bfe_u32 v28, v29, 21, 1
	v_add_nc_u32_e32 v28, -1, v28
	v_cndmask_b32_e64 v28, 0, v28, s16
	s_mov_b32 s16, exec_lo
	v_add_nc_u32_e32 v28, v28, v29
	v_and_b32_e32 v28, 0x1fffff, v28
	v_add_nc_u32_e32 v28, v28, v29
                                        ; implicit-def: $vgpr29
	v_cmpx_ne_u32_e64 v4, v5
	s_xor_b32 s16, exec_lo, s16
; %bb.673:                              ;   in Loop: Header=BB6_358 Depth=4
	v_cmp_lt_u32_e32 vcc_lo, 0xffffff, v28
	v_sub_nc_u32_e32 v4, v4, v5
	v_cndmask_b32_e64 v5, 0, 1, vcc_lo
	v_add_co_ci_u32_e64 v29, null, 0, v4, vcc_lo
	v_lshrrev_b32_e32 v28, v5, v28
; %bb.674:                              ;   in Loop: Header=BB6_358 Depth=4
	s_andn2_saveexec_b32 s16, s16
; %bb.675:                              ;   in Loop: Header=BB6_358 Depth=4
	v_bfe_u32 v29, v28, 23, 1
; %bb.676:                              ;   in Loop: Header=BB6_358 Depth=4
	s_or_b32 exec_lo, exec_lo, s16
	v_lshrrev_b32_e32 v4, 21, v28
	v_min_i32_e32 v5, 31, v29
	v_cmp_gt_i32_e32 vcc_lo, 32, v29
	v_and_b32_sdwa v1, v1, v60 dst_sel:DWORD dst_unused:UNUSED_PAD src0_sel:BYTE_3 src1_sel:DWORD
	v_lshlrev_b32_e32 v5, 2, v5
	v_cndmask_b32_e32 v4, 3, v4, vcc_lo
	v_and_b32_e32 v5, 0xfc, v5
	v_or_b32_e32 v28, v29, v4
	v_and_b32_e32 v4, 3, v4
	v_cmp_ne_u32_e32 vcc_lo, 0, v28
	v_or3_b32 v1, v1, v5, v4
	v_lshlrev_b32_e32 v1, 8, v1
	v_cndmask_b32_e32 v39, 0, v1, vcc_lo
.LBB6_677:                              ;   in Loop: Header=BB6_358 Depth=4
	s_or_b32 exec_lo, exec_lo, s63
.LBB6_678:                              ;   in Loop: Header=BB6_358 Depth=4
	s_or_b32 exec_lo, exec_lo, s62
	v_cmp_gt_i16_sdwa s16, v32, v59 src0_sel:BYTE_0 src1_sel:DWORD
	s_mov_b32 s62, 0
	s_and_saveexec_b32 s63, s16
	s_xor_b32 s16, exec_lo, s63
	s_cbranch_execz .LBB6_1700
; %bb.679:                              ;   in Loop: Header=BB6_358 Depth=4
	v_cmp_eq_u16_sdwa s72, v32, v60 src0_sel:BYTE_0 src1_sel:DWORD
	s_mov_b32 s62, -1
	s_and_saveexec_b32 s63, s72
; %bb.680:                              ;   in Loop: Header=BB6_358 Depth=4
	s_xor_b32 s62, exec_lo, -1
; %bb.681:                              ;   in Loop: Header=BB6_358 Depth=4
	s_or_b32 exec_lo, exec_lo, s63
	s_and_b32 s62, s62, exec_lo
	s_or_saveexec_b32 s16, s16
	v_mov_b32_e32 v1, 0x7f800001
	s_xor_b32 exec_lo, exec_lo, s16
	s_cbranch_execnz .LBB6_1701
.LBB6_682:                              ;   in Loop: Header=BB6_358 Depth=4
	s_or_b32 exec_lo, exec_lo, s16
	s_and_saveexec_b32 s16, s62
	s_cbranch_execz .LBB6_684
.LBB6_683:                              ;   in Loop: Header=BB6_358 Depth=4
	v_and_b32_e32 v1, 3, v32
	v_bfe_u32 v4, v32, 2, 5
	v_ffbh_u32_e32 v5, v1
	v_cmp_eq_u32_e32 vcc_lo, 0, v4
	v_min_u32_e32 v5, 32, v5
	v_subrev_nc_u32_e32 v28, 29, v5
	v_sub_nc_u32_e32 v5, 30, v5
	v_lshlrev_b32_e32 v28, v28, v32
	v_cndmask_b32_e32 v4, v4, v5, vcc_lo
	v_lshlrev_b32_e32 v5, 24, v32
	v_and_b32_e32 v28, 3, v28
	v_lshl_add_u32 v4, v4, 23, 0x37800000
	v_and_b32_e32 v5, 0x80000000, v5
	v_cndmask_b32_e32 v1, v1, v28, vcc_lo
	v_lshlrev_b32_e32 v1, 21, v1
	v_or3_b32 v1, v5, v4, v1
.LBB6_684:                              ;   in Loop: Header=BB6_358 Depth=4
	s_or_b32 exec_lo, exec_lo, s16
	s_waitcnt vmcnt(2)
	v_cmp_gt_i16_sdwa s16, v24, v59 src0_sel:BYTE_0 src1_sel:DWORD
	s_mov_b32 s62, 0
	s_and_saveexec_b32 s63, s16
	s_xor_b32 s16, exec_lo, s63
	s_cbranch_execz .LBB6_1702
; %bb.685:                              ;   in Loop: Header=BB6_358 Depth=4
	v_cmp_eq_u16_sdwa s72, v24, v60 src0_sel:BYTE_0 src1_sel:DWORD
	s_mov_b32 s62, -1
	s_and_saveexec_b32 s63, s72
; %bb.686:                              ;   in Loop: Header=BB6_358 Depth=4
	s_xor_b32 s62, exec_lo, -1
; %bb.687:                              ;   in Loop: Header=BB6_358 Depth=4
	s_or_b32 exec_lo, exec_lo, s63
	s_and_b32 s62, s62, exec_lo
	s_or_saveexec_b32 s16, s16
	v_mov_b32_e32 v4, 0x7f800001
	s_xor_b32 exec_lo, exec_lo, s16
	s_cbranch_execnz .LBB6_1703
.LBB6_688:                              ;   in Loop: Header=BB6_358 Depth=4
	s_or_b32 exec_lo, exec_lo, s16
	s_and_saveexec_b32 s16, s62
	s_cbranch_execz .LBB6_690
.LBB6_689:                              ;   in Loop: Header=BB6_358 Depth=4
	v_and_b32_e32 v4, 3, v24
	v_bfe_u32 v5, v24, 2, 5
	v_ffbh_u32_e32 v28, v4
	v_cmp_eq_u32_e32 vcc_lo, 0, v5
	v_min_u32_e32 v28, 32, v28
	v_subrev_nc_u32_e32 v29, 29, v28
	v_sub_nc_u32_e32 v28, 30, v28
	v_lshlrev_b32_e32 v29, v29, v24
	v_cndmask_b32_e32 v5, v5, v28, vcc_lo
	v_lshlrev_b32_e32 v28, 24, v24
	v_and_b32_e32 v29, 3, v29
	v_lshl_add_u32 v5, v5, 23, 0x37800000
	v_and_b32_e32 v28, 0x80000000, v28
	v_cndmask_b32_e32 v4, v4, v29, vcc_lo
	v_lshlrev_b32_e32 v4, 21, v4
	v_or3_b32 v4, v28, v5, v4
.LBB6_690:                              ;   in Loop: Header=BB6_358 Depth=4
	s_or_b32 exec_lo, exec_lo, s16
	v_mul_f32_e32 v1, v1, v4
	v_mov_b32_e32 v51, 0x80
	s_mov_b32 s62, exec_lo
	v_and_b32_e32 v4, 0x7f800000, v1
	v_cmpx_ne_u32_e32 0x7f800000, v4
	s_cbranch_execz .LBB6_698
; %bb.691:                              ;   in Loop: Header=BB6_358 Depth=4
	v_mov_b32_e32 v51, 0
	s_mov_b32 s63, exec_lo
	v_cmpx_ne_u32_e32 0, v1
	s_cbranch_execz .LBB6_697
; %bb.692:                              ;   in Loop: Header=BB6_358 Depth=4
	v_bfe_u32 v5, v1, 23, 8
	v_and_b32_e32 v4, 0x7fffff, v1
	v_cmp_gt_u32_e64 s16, 0x71, v5
	v_sub_nc_u32_e32 v28, 0x70, v5
	v_cmp_eq_u32_e32 vcc_lo, 0, v5
	v_or_b32_e32 v29, 0x800000, v4
	v_cndmask_b32_e64 v28, 0, v28, s16
	v_cndmask_b32_e32 v4, v29, v4, vcc_lo
	v_cndmask_b32_e64 v28, v28, 0x6f, vcc_lo
	v_lshl_add_u32 v29, 0x200000, v28, -1
	v_lshlrev_b32_e64 v31, v28, 0x100000
	v_and_b32_e32 v29, v29, v4
	v_cmp_eq_u32_e64 s16, v29, v31
	v_lshrrev_b32_e32 v29, v28, v4
	v_add_nc_u32_e32 v4, 0xffffff91, v5
	v_lshrrev_b32_e32 v5, 23, v29
	v_cndmask_b32_e64 v4, v4, 0xffffff92, vcc_lo
	v_xor_b32_e32 v5, 1, v5
	v_add_nc_u32_e32 v4, v28, v4
	v_bfe_u32 v28, v29, 21, 1
	v_add_nc_u32_e32 v28, -1, v28
	v_cndmask_b32_e64 v28, 0, v28, s16
	s_mov_b32 s16, exec_lo
	v_add_nc_u32_e32 v28, v28, v29
	v_and_b32_e32 v28, 0x1fffff, v28
	v_add_nc_u32_e32 v28, v28, v29
                                        ; implicit-def: $vgpr29
	v_cmpx_ne_u32_e64 v4, v5
	s_xor_b32 s16, exec_lo, s16
; %bb.693:                              ;   in Loop: Header=BB6_358 Depth=4
	v_cmp_lt_u32_e32 vcc_lo, 0xffffff, v28
	v_sub_nc_u32_e32 v4, v4, v5
	v_cndmask_b32_e64 v5, 0, 1, vcc_lo
	v_add_co_ci_u32_e64 v29, null, 0, v4, vcc_lo
	v_lshrrev_b32_e32 v28, v5, v28
; %bb.694:                              ;   in Loop: Header=BB6_358 Depth=4
	s_andn2_saveexec_b32 s16, s16
; %bb.695:                              ;   in Loop: Header=BB6_358 Depth=4
	v_bfe_u32 v29, v28, 23, 1
; %bb.696:                              ;   in Loop: Header=BB6_358 Depth=4
	s_or_b32 exec_lo, exec_lo, s16
	v_lshrrev_b32_e32 v4, 21, v28
	v_min_i32_e32 v5, 31, v29
	v_cmp_gt_i32_e32 vcc_lo, 32, v29
	v_and_b32_sdwa v1, v1, v60 dst_sel:DWORD dst_unused:UNUSED_PAD src0_sel:BYTE_3 src1_sel:DWORD
	v_lshlrev_b32_e32 v5, 2, v5
	v_cndmask_b32_e32 v4, 3, v4, vcc_lo
	v_and_b32_e32 v5, 0xfc, v5
	v_or_b32_e32 v28, v29, v4
	v_and_b32_e32 v4, 3, v4
	v_cmp_ne_u32_e32 vcc_lo, 0, v28
	v_or3_b32 v1, v5, v1, v4
	v_cndmask_b32_e32 v51, 0, v1, vcc_lo
.LBB6_697:                              ;   in Loop: Header=BB6_358 Depth=4
	s_or_b32 exec_lo, exec_lo, s63
.LBB6_698:                              ;   in Loop: Header=BB6_358 Depth=4
	s_or_b32 exec_lo, exec_lo, s62
	v_cmp_gt_i16_sdwa s62, v32, v59 src0_sel:BYTE_1 src1_sel:DWORD
	s_mov_b32 s16, 0
	s_and_saveexec_b32 s63, s62
	s_xor_b32 s62, exec_lo, s63
	s_cbranch_execz .LBB6_1704
; %bb.699:                              ;   in Loop: Header=BB6_358 Depth=4
	v_cmp_eq_u16_sdwa s72, v32, v60 src0_sel:BYTE_1 src1_sel:DWORD
	s_mov_b32 s16, -1
	s_and_saveexec_b32 s63, s72
; %bb.700:                              ;   in Loop: Header=BB6_358 Depth=4
	s_xor_b32 s16, exec_lo, -1
; %bb.701:                              ;   in Loop: Header=BB6_358 Depth=4
	s_or_b32 exec_lo, exec_lo, s63
	s_and_b32 s16, s16, exec_lo
	s_or_saveexec_b32 s62, s62
	v_mov_b32_e32 v1, 0x7f800001
	s_xor_b32 exec_lo, exec_lo, s62
	s_cbranch_execnz .LBB6_1705
.LBB6_702:                              ;   in Loop: Header=BB6_358 Depth=4
	s_or_b32 exec_lo, exec_lo, s62
	s_and_saveexec_b32 s62, s16
	s_cbranch_execz .LBB6_704
.LBB6_703:                              ;   in Loop: Header=BB6_358 Depth=4
	v_and_b32_sdwa v1, v61, v32 dst_sel:DWORD dst_unused:UNUSED_PAD src0_sel:DWORD src1_sel:BYTE_1
	v_and_b32_e32 v4, 3, v1
	v_bfe_u32 v29, v1, 2, 5
	v_ffbh_u32_e32 v5, v4
	v_cmp_eq_u32_e32 vcc_lo, 0, v29
	v_min_u32_e32 v5, 32, v5
	v_subrev_nc_u32_e32 v28, 29, v5
	v_sub_nc_u32_e32 v5, 30, v5
	v_lshlrev_b32_e32 v1, v28, v1
	v_lshlrev_b32_sdwa v28, v62, v32 dst_sel:DWORD dst_unused:UNUSED_PAD src0_sel:DWORD src1_sel:BYTE_1
	v_cndmask_b32_e32 v5, v29, v5, vcc_lo
	v_and_b32_e32 v1, 3, v1
	v_lshl_add_u32 v5, v5, 23, 0x37800000
	v_cndmask_b32_e32 v1, v4, v1, vcc_lo
	v_and_b32_e32 v4, 0x80000000, v28
	v_lshlrev_b32_e32 v1, 21, v1
	v_or3_b32 v1, v4, v5, v1
.LBB6_704:                              ;   in Loop: Header=BB6_358 Depth=4
	s_or_b32 exec_lo, exec_lo, s62
	v_cmp_gt_i16_sdwa s62, v24, v59 src0_sel:BYTE_1 src1_sel:DWORD
	s_mov_b32 s16, 0
	s_and_saveexec_b32 s63, s62
	s_xor_b32 s62, exec_lo, s63
	s_cbranch_execz .LBB6_1706
; %bb.705:                              ;   in Loop: Header=BB6_358 Depth=4
	v_cmp_eq_u16_sdwa s72, v24, v60 src0_sel:BYTE_1 src1_sel:DWORD
	s_mov_b32 s16, -1
	s_and_saveexec_b32 s63, s72
; %bb.706:                              ;   in Loop: Header=BB6_358 Depth=4
	s_xor_b32 s16, exec_lo, -1
; %bb.707:                              ;   in Loop: Header=BB6_358 Depth=4
	s_or_b32 exec_lo, exec_lo, s63
	s_and_b32 s16, s16, exec_lo
	s_or_saveexec_b32 s62, s62
	v_mov_b32_e32 v4, 0x7f800001
	s_xor_b32 exec_lo, exec_lo, s62
	s_cbranch_execnz .LBB6_1707
.LBB6_708:                              ;   in Loop: Header=BB6_358 Depth=4
	s_or_b32 exec_lo, exec_lo, s62
	s_and_saveexec_b32 s62, s16
	s_cbranch_execz .LBB6_710
.LBB6_709:                              ;   in Loop: Header=BB6_358 Depth=4
	v_and_b32_sdwa v4, v61, v24 dst_sel:DWORD dst_unused:UNUSED_PAD src0_sel:DWORD src1_sel:BYTE_1
	v_and_b32_e32 v5, 3, v4
	v_bfe_u32 v31, v4, 2, 5
	v_ffbh_u32_e32 v28, v5
	v_cmp_eq_u32_e32 vcc_lo, 0, v31
	v_min_u32_e32 v28, 32, v28
	v_subrev_nc_u32_e32 v29, 29, v28
	v_sub_nc_u32_e32 v28, 30, v28
	v_lshlrev_b32_e32 v4, v29, v4
	v_lshlrev_b32_sdwa v29, v62, v24 dst_sel:DWORD dst_unused:UNUSED_PAD src0_sel:DWORD src1_sel:BYTE_1
	v_cndmask_b32_e32 v28, v31, v28, vcc_lo
	v_and_b32_e32 v4, 3, v4
	v_lshl_add_u32 v28, v28, 23, 0x37800000
	v_cndmask_b32_e32 v4, v5, v4, vcc_lo
	v_and_b32_e32 v5, 0x80000000, v29
	v_lshlrev_b32_e32 v4, 21, v4
	v_or3_b32 v4, v5, v28, v4
.LBB6_710:                              ;   in Loop: Header=BB6_358 Depth=4
	s_or_b32 exec_lo, exec_lo, s62
	v_mul_f32_e32 v1, v1, v4
	v_mov_b32_e32 v28, 0x8000
	s_mov_b32 s62, exec_lo
	v_and_b32_e32 v4, 0x7f800000, v1
	v_cmpx_ne_u32_e32 0x7f800000, v4
	s_cbranch_execz .LBB6_718
; %bb.711:                              ;   in Loop: Header=BB6_358 Depth=4
	v_mov_b32_e32 v28, 0
	s_mov_b32 s63, exec_lo
	v_cmpx_ne_u32_e32 0, v1
	s_cbranch_execz .LBB6_717
; %bb.712:                              ;   in Loop: Header=BB6_358 Depth=4
	v_bfe_u32 v5, v1, 23, 8
	v_and_b32_e32 v4, 0x7fffff, v1
	v_cmp_gt_u32_e64 s16, 0x71, v5
	v_sub_nc_u32_e32 v28, 0x70, v5
	v_cmp_eq_u32_e32 vcc_lo, 0, v5
	v_or_b32_e32 v29, 0x800000, v4
	v_cndmask_b32_e64 v28, 0, v28, s16
	v_cndmask_b32_e32 v4, v29, v4, vcc_lo
	v_cndmask_b32_e64 v28, v28, 0x6f, vcc_lo
	v_lshl_add_u32 v29, 0x200000, v28, -1
	v_lshlrev_b32_e64 v31, v28, 0x100000
	v_and_b32_e32 v29, v29, v4
	v_cmp_eq_u32_e64 s16, v29, v31
	v_lshrrev_b32_e32 v29, v28, v4
	v_add_nc_u32_e32 v4, 0xffffff91, v5
	v_lshrrev_b32_e32 v5, 23, v29
	v_cndmask_b32_e64 v4, v4, 0xffffff92, vcc_lo
	v_xor_b32_e32 v5, 1, v5
	v_add_nc_u32_e32 v4, v28, v4
	v_bfe_u32 v28, v29, 21, 1
	v_add_nc_u32_e32 v28, -1, v28
	v_cndmask_b32_e64 v28, 0, v28, s16
	s_mov_b32 s16, exec_lo
	v_add_nc_u32_e32 v28, v28, v29
	v_and_b32_e32 v28, 0x1fffff, v28
	v_add_nc_u32_e32 v28, v28, v29
                                        ; implicit-def: $vgpr29
	v_cmpx_ne_u32_e64 v4, v5
	s_xor_b32 s16, exec_lo, s16
; %bb.713:                              ;   in Loop: Header=BB6_358 Depth=4
	v_cmp_lt_u32_e32 vcc_lo, 0xffffff, v28
	v_sub_nc_u32_e32 v4, v4, v5
	v_cndmask_b32_e64 v5, 0, 1, vcc_lo
	v_add_co_ci_u32_e64 v29, null, 0, v4, vcc_lo
	v_lshrrev_b32_e32 v28, v5, v28
; %bb.714:                              ;   in Loop: Header=BB6_358 Depth=4
	s_andn2_saveexec_b32 s16, s16
; %bb.715:                              ;   in Loop: Header=BB6_358 Depth=4
	v_bfe_u32 v29, v28, 23, 1
; %bb.716:                              ;   in Loop: Header=BB6_358 Depth=4
	s_or_b32 exec_lo, exec_lo, s16
	v_lshrrev_b32_e32 v4, 21, v28
	v_min_i32_e32 v5, 31, v29
	v_cmp_gt_i32_e32 vcc_lo, 32, v29
	v_and_b32_sdwa v1, v1, v60 dst_sel:DWORD dst_unused:UNUSED_PAD src0_sel:BYTE_3 src1_sel:DWORD
	v_lshlrev_b32_e32 v5, 2, v5
	v_cndmask_b32_e32 v4, 3, v4, vcc_lo
	v_and_b32_e32 v5, 0xfc, v5
	v_or_b32_e32 v28, v29, v4
	v_and_b32_e32 v4, 3, v4
	v_cmp_ne_u32_e32 vcc_lo, 0, v28
	v_or3_b32 v1, v1, v5, v4
	v_lshlrev_b32_e32 v1, 8, v1
	v_cndmask_b32_e32 v28, 0, v1, vcc_lo
.LBB6_717:                              ;   in Loop: Header=BB6_358 Depth=4
	s_or_b32 exec_lo, exec_lo, s63
.LBB6_718:                              ;   in Loop: Header=BB6_358 Depth=4
	s_or_b32 exec_lo, exec_lo, s62
	v_and_b32_sdwa v4, v32, v63 dst_sel:DWORD dst_unused:UNUSED_PAD src0_sel:WORD_1 src1_sel:DWORD
	s_mov_b32 s62, 0
	s_mov_b32 s16, exec_lo
	v_cmpx_lt_i16_e32 0x7f, v4
	s_xor_b32 s16, exec_lo, s16
	s_cbranch_execz .LBB6_1708
; %bb.719:                              ;   in Loop: Header=BB6_358 Depth=4
	s_mov_b32 s62, -1
	s_mov_b32 s63, exec_lo
	v_cmpx_eq_u16_e32 0x80, v4
; %bb.720:                              ;   in Loop: Header=BB6_358 Depth=4
	s_xor_b32 s62, exec_lo, -1
; %bb.721:                              ;   in Loop: Header=BB6_358 Depth=4
	s_or_b32 exec_lo, exec_lo, s63
	s_and_b32 s62, s62, exec_lo
                                        ; implicit-def: $vgpr4
	s_or_saveexec_b32 s16, s16
	v_mov_b32_e32 v1, 0x7f800001
	s_xor_b32 exec_lo, exec_lo, s16
	s_cbranch_execnz .LBB6_1709
.LBB6_722:                              ;   in Loop: Header=BB6_358 Depth=4
	s_or_b32 exec_lo, exec_lo, s16
	s_and_saveexec_b32 s16, s62
	s_cbranch_execz .LBB6_724
.LBB6_723:                              ;   in Loop: Header=BB6_358 Depth=4
	v_bfe_u32 v1, v32, 16, 2
	v_bfe_u32 v4, v32, 18, 5
	v_ffbh_u32_e32 v5, v1
	v_cmp_eq_u32_e32 vcc_lo, 0, v4
	v_min_u32_e32 v5, 32, v5
	v_subrev_nc_u32_e32 v29, 29, v5
	v_sub_nc_u32_e32 v5, 30, v5
	v_lshlrev_b32_sdwa v29, v29, v32 dst_sel:DWORD dst_unused:UNUSED_PAD src0_sel:DWORD src1_sel:WORD_1
	v_cndmask_b32_e32 v4, v4, v5, vcc_lo
	v_lshlrev_b32_e32 v5, 8, v32
	v_and_b32_e32 v29, 3, v29
	v_lshl_add_u32 v4, v4, 23, 0x37800000
	v_and_b32_e32 v5, 0x80000000, v5
	v_cndmask_b32_e32 v1, v1, v29, vcc_lo
	v_lshlrev_b32_e32 v1, 21, v1
	v_or3_b32 v1, v5, v4, v1
.LBB6_724:                              ;   in Loop: Header=BB6_358 Depth=4
	s_or_b32 exec_lo, exec_lo, s16
	v_and_b32_sdwa v5, v24, v63 dst_sel:DWORD dst_unused:UNUSED_PAD src0_sel:WORD_1 src1_sel:DWORD
	s_mov_b32 s62, 0
	s_mov_b32 s16, exec_lo
	v_cmpx_lt_i16_e32 0x7f, v5
	s_xor_b32 s16, exec_lo, s16
	s_cbranch_execz .LBB6_1710
; %bb.725:                              ;   in Loop: Header=BB6_358 Depth=4
	s_mov_b32 s62, -1
	s_mov_b32 s63, exec_lo
	v_cmpx_eq_u16_e32 0x80, v5
; %bb.726:                              ;   in Loop: Header=BB6_358 Depth=4
	s_xor_b32 s62, exec_lo, -1
; %bb.727:                              ;   in Loop: Header=BB6_358 Depth=4
	s_or_b32 exec_lo, exec_lo, s63
	s_and_b32 s62, s62, exec_lo
                                        ; implicit-def: $vgpr5
	s_or_saveexec_b32 s16, s16
	v_mov_b32_e32 v4, 0x7f800001
	s_xor_b32 exec_lo, exec_lo, s16
	s_cbranch_execnz .LBB6_1711
.LBB6_728:                              ;   in Loop: Header=BB6_358 Depth=4
	s_or_b32 exec_lo, exec_lo, s16
	s_and_saveexec_b32 s16, s62
	s_cbranch_execz .LBB6_730
.LBB6_729:                              ;   in Loop: Header=BB6_358 Depth=4
	v_bfe_u32 v4, v24, 16, 2
	v_bfe_u32 v5, v24, 18, 5
	v_ffbh_u32_e32 v29, v4
	v_cmp_eq_u32_e32 vcc_lo, 0, v5
	v_min_u32_e32 v29, 32, v29
	v_subrev_nc_u32_e32 v31, 29, v29
	v_sub_nc_u32_e32 v29, 30, v29
	v_lshlrev_b32_sdwa v31, v31, v24 dst_sel:DWORD dst_unused:UNUSED_PAD src0_sel:DWORD src1_sel:WORD_1
	v_cndmask_b32_e32 v5, v5, v29, vcc_lo
	v_lshlrev_b32_e32 v29, 8, v24
	v_and_b32_e32 v31, 3, v31
	v_lshl_add_u32 v5, v5, 23, 0x37800000
	v_and_b32_e32 v29, 0x80000000, v29
	v_cndmask_b32_e32 v4, v4, v31, vcc_lo
	v_lshlrev_b32_e32 v4, 21, v4
	v_or3_b32 v4, v29, v5, v4
.LBB6_730:                              ;   in Loop: Header=BB6_358 Depth=4
	s_or_b32 exec_lo, exec_lo, s16
	v_mul_f32_e32 v1, v1, v4
	v_mov_b32_e32 v29, 0x80
	s_mov_b32 s62, exec_lo
	v_and_b32_e32 v4, 0x7f800000, v1
	v_cmpx_ne_u32_e32 0x7f800000, v4
	s_cbranch_execz .LBB6_738
; %bb.731:                              ;   in Loop: Header=BB6_358 Depth=4
	v_mov_b32_e32 v29, 0
	s_mov_b32 s63, exec_lo
	v_cmpx_ne_u32_e32 0, v1
	s_cbranch_execz .LBB6_737
; %bb.732:                              ;   in Loop: Header=BB6_358 Depth=4
	v_bfe_u32 v5, v1, 23, 8
	v_and_b32_e32 v4, 0x7fffff, v1
	v_cmp_gt_u32_e64 s16, 0x71, v5
	v_sub_nc_u32_e32 v29, 0x70, v5
	v_cmp_eq_u32_e32 vcc_lo, 0, v5
	v_or_b32_e32 v31, 0x800000, v4
	v_cndmask_b32_e64 v29, 0, v29, s16
	v_cndmask_b32_e32 v4, v31, v4, vcc_lo
	v_cndmask_b32_e64 v29, v29, 0x6f, vcc_lo
	v_lshl_add_u32 v31, 0x200000, v29, -1
	v_lshlrev_b32_e64 v82, v29, 0x100000
	v_and_b32_e32 v31, v31, v4
	v_cmp_eq_u32_e64 s16, v31, v82
	v_lshrrev_b32_e32 v31, v29, v4
	v_add_nc_u32_e32 v4, 0xffffff91, v5
	v_lshrrev_b32_e32 v5, 23, v31
	v_cndmask_b32_e64 v4, v4, 0xffffff92, vcc_lo
	v_xor_b32_e32 v5, 1, v5
	v_add_nc_u32_e32 v4, v29, v4
	v_bfe_u32 v29, v31, 21, 1
	v_add_nc_u32_e32 v29, -1, v29
	v_cndmask_b32_e64 v29, 0, v29, s16
	s_mov_b32 s16, exec_lo
	v_add_nc_u32_e32 v29, v29, v31
	v_and_b32_e32 v29, 0x1fffff, v29
	v_add_nc_u32_e32 v29, v29, v31
                                        ; implicit-def: $vgpr31
	v_cmpx_ne_u32_e64 v4, v5
	s_xor_b32 s16, exec_lo, s16
; %bb.733:                              ;   in Loop: Header=BB6_358 Depth=4
	v_cmp_lt_u32_e32 vcc_lo, 0xffffff, v29
	v_sub_nc_u32_e32 v4, v4, v5
	v_cndmask_b32_e64 v5, 0, 1, vcc_lo
	v_add_co_ci_u32_e64 v31, null, 0, v4, vcc_lo
	v_lshrrev_b32_e32 v29, v5, v29
; %bb.734:                              ;   in Loop: Header=BB6_358 Depth=4
	s_andn2_saveexec_b32 s16, s16
; %bb.735:                              ;   in Loop: Header=BB6_358 Depth=4
	v_bfe_u32 v31, v29, 23, 1
; %bb.736:                              ;   in Loop: Header=BB6_358 Depth=4
	s_or_b32 exec_lo, exec_lo, s16
	v_lshrrev_b32_e32 v4, 21, v29
	v_min_i32_e32 v5, 31, v31
	v_cmp_gt_i32_e32 vcc_lo, 32, v31
	v_and_b32_sdwa v1, v1, v60 dst_sel:DWORD dst_unused:UNUSED_PAD src0_sel:BYTE_3 src1_sel:DWORD
	v_lshlrev_b32_e32 v5, 2, v5
	v_cndmask_b32_e32 v4, 3, v4, vcc_lo
	v_and_b32_e32 v5, 0xfc, v5
	v_or_b32_e32 v29, v31, v4
	v_and_b32_e32 v4, 3, v4
	v_cmp_ne_u32_e32 vcc_lo, 0, v29
	v_or3_b32 v1, v5, v1, v4
	v_cndmask_b32_e32 v29, 0, v1, vcc_lo
.LBB6_737:                              ;   in Loop: Header=BB6_358 Depth=4
	s_or_b32 exec_lo, exec_lo, s63
.LBB6_738:                              ;   in Loop: Header=BB6_358 Depth=4
	s_or_b32 exec_lo, exec_lo, s62
	v_cmp_gt_i16_sdwa s62, v32, v59 src0_sel:BYTE_3 src1_sel:DWORD
	s_mov_b32 s16, 0
	s_and_saveexec_b32 s63, s62
	s_xor_b32 s62, exec_lo, s63
	s_cbranch_execz .LBB6_1712
; %bb.739:                              ;   in Loop: Header=BB6_358 Depth=4
	v_cmp_eq_u16_sdwa s72, v32, v60 src0_sel:BYTE_3 src1_sel:DWORD
	s_mov_b32 s16, -1
	s_and_saveexec_b32 s63, s72
; %bb.740:                              ;   in Loop: Header=BB6_358 Depth=4
	s_xor_b32 s16, exec_lo, -1
; %bb.741:                              ;   in Loop: Header=BB6_358 Depth=4
	s_or_b32 exec_lo, exec_lo, s63
	s_and_b32 s16, s16, exec_lo
	s_or_saveexec_b32 s62, s62
	v_mov_b32_e32 v1, 0x7f800001
	s_xor_b32 exec_lo, exec_lo, s62
	s_cbranch_execnz .LBB6_1713
.LBB6_742:                              ;   in Loop: Header=BB6_358 Depth=4
	s_or_b32 exec_lo, exec_lo, s62
	s_and_saveexec_b32 s62, s16
	s_cbranch_execz .LBB6_744
.LBB6_743:                              ;   in Loop: Header=BB6_358 Depth=4
	v_bfe_u32 v1, v32, 24, 2
	v_bfe_u32 v31, v32, 26, 5
	v_ffbh_u32_e32 v4, v1
	v_cmp_eq_u32_e32 vcc_lo, 0, v31
	v_min_u32_e32 v4, 32, v4
	v_subrev_nc_u32_e32 v5, 29, v4
	v_sub_nc_u32_e32 v4, 30, v4
	v_lshlrev_b32_sdwa v5, v5, v32 dst_sel:DWORD dst_unused:UNUSED_PAD src0_sel:DWORD src1_sel:BYTE_3
	v_cndmask_b32_e32 v4, v31, v4, vcc_lo
	v_and_b32_e32 v5, 3, v5
	v_lshl_add_u32 v4, v4, 23, 0x37800000
	v_cndmask_b32_e32 v1, v1, v5, vcc_lo
	v_and_b32_e32 v5, 0x80000000, v32
	v_lshlrev_b32_e32 v1, 21, v1
	v_or3_b32 v1, v5, v4, v1
.LBB6_744:                              ;   in Loop: Header=BB6_358 Depth=4
	s_or_b32 exec_lo, exec_lo, s62
	v_cmp_gt_i16_sdwa s62, v24, v59 src0_sel:BYTE_3 src1_sel:DWORD
	s_mov_b32 s16, 0
	s_and_saveexec_b32 s63, s62
	s_xor_b32 s62, exec_lo, s63
	s_cbranch_execz .LBB6_1714
; %bb.745:                              ;   in Loop: Header=BB6_358 Depth=4
	v_cmp_eq_u16_sdwa s72, v24, v60 src0_sel:BYTE_3 src1_sel:DWORD
	s_mov_b32 s16, -1
	s_and_saveexec_b32 s63, s72
; %bb.746:                              ;   in Loop: Header=BB6_358 Depth=4
	s_xor_b32 s16, exec_lo, -1
; %bb.747:                              ;   in Loop: Header=BB6_358 Depth=4
	s_or_b32 exec_lo, exec_lo, s63
	s_and_b32 s16, s16, exec_lo
	s_or_saveexec_b32 s62, s62
	v_mov_b32_e32 v4, 0x7f800001
	s_xor_b32 exec_lo, exec_lo, s62
	s_cbranch_execnz .LBB6_1715
.LBB6_748:                              ;   in Loop: Header=BB6_358 Depth=4
	s_or_b32 exec_lo, exec_lo, s62
	s_and_saveexec_b32 s62, s16
	s_cbranch_execz .LBB6_750
.LBB6_749:                              ;   in Loop: Header=BB6_358 Depth=4
	v_bfe_u32 v4, v24, 24, 2
	v_bfe_u32 v32, v24, 26, 5
	v_ffbh_u32_e32 v5, v4
	v_cmp_eq_u32_e32 vcc_lo, 0, v32
	v_min_u32_e32 v5, 32, v5
	v_subrev_nc_u32_e32 v31, 29, v5
	v_sub_nc_u32_e32 v5, 30, v5
	v_lshlrev_b32_sdwa v31, v31, v24 dst_sel:DWORD dst_unused:UNUSED_PAD src0_sel:DWORD src1_sel:BYTE_3
	v_cndmask_b32_e32 v5, v32, v5, vcc_lo
	v_and_b32_e32 v24, 0x80000000, v24
	v_and_b32_e32 v31, 3, v31
	v_lshl_add_u32 v5, v5, 23, 0x37800000
	v_cndmask_b32_e32 v4, v4, v31, vcc_lo
	v_lshlrev_b32_e32 v4, 21, v4
	v_or3_b32 v4, v24, v5, v4
.LBB6_750:                              ;   in Loop: Header=BB6_358 Depth=4
	s_or_b32 exec_lo, exec_lo, s62
	v_mul_f32_e32 v1, v1, v4
	v_mov_b32_e32 v24, 0x8000
	s_mov_b32 s62, exec_lo
	v_and_b32_e32 v4, 0x7f800000, v1
	v_cmpx_ne_u32_e32 0x7f800000, v4
	s_cbranch_execz .LBB6_758
; %bb.751:                              ;   in Loop: Header=BB6_358 Depth=4
	v_mov_b32_e32 v24, 0
	s_mov_b32 s63, exec_lo
	v_cmpx_ne_u32_e32 0, v1
	s_cbranch_execz .LBB6_757
; %bb.752:                              ;   in Loop: Header=BB6_358 Depth=4
	v_bfe_u32 v5, v1, 23, 8
	v_and_b32_e32 v4, 0x7fffff, v1
	v_cmp_gt_u32_e64 s16, 0x71, v5
	v_sub_nc_u32_e32 v24, 0x70, v5
	v_cmp_eq_u32_e32 vcc_lo, 0, v5
	v_or_b32_e32 v31, 0x800000, v4
	v_cndmask_b32_e64 v24, 0, v24, s16
	v_cndmask_b32_e32 v4, v31, v4, vcc_lo
	v_cndmask_b32_e64 v24, v24, 0x6f, vcc_lo
	v_lshl_add_u32 v31, 0x200000, v24, -1
	v_lshlrev_b32_e64 v32, v24, 0x100000
	v_and_b32_e32 v31, v31, v4
	v_cmp_eq_u32_e64 s16, v31, v32
	v_lshrrev_b32_e32 v31, v24, v4
	v_add_nc_u32_e32 v4, 0xffffff91, v5
	v_lshrrev_b32_e32 v5, 23, v31
	v_cndmask_b32_e64 v4, v4, 0xffffff92, vcc_lo
	v_xor_b32_e32 v5, 1, v5
	v_add_nc_u32_e32 v4, v24, v4
	v_bfe_u32 v24, v31, 21, 1
	v_add_nc_u32_e32 v24, -1, v24
	v_cndmask_b32_e64 v24, 0, v24, s16
	s_mov_b32 s16, exec_lo
	v_add_nc_u32_e32 v24, v24, v31
	v_and_b32_e32 v24, 0x1fffff, v24
	v_add_nc_u32_e32 v24, v24, v31
                                        ; implicit-def: $vgpr31
	v_cmpx_ne_u32_e64 v4, v5
	s_xor_b32 s16, exec_lo, s16
; %bb.753:                              ;   in Loop: Header=BB6_358 Depth=4
	v_cmp_lt_u32_e32 vcc_lo, 0xffffff, v24
	v_sub_nc_u32_e32 v4, v4, v5
	v_cndmask_b32_e64 v5, 0, 1, vcc_lo
	v_add_co_ci_u32_e64 v31, null, 0, v4, vcc_lo
	v_lshrrev_b32_e32 v24, v5, v24
; %bb.754:                              ;   in Loop: Header=BB6_358 Depth=4
	s_andn2_saveexec_b32 s16, s16
; %bb.755:                              ;   in Loop: Header=BB6_358 Depth=4
	v_bfe_u32 v31, v24, 23, 1
; %bb.756:                              ;   in Loop: Header=BB6_358 Depth=4
	s_or_b32 exec_lo, exec_lo, s16
	v_lshrrev_b32_e32 v4, 21, v24
	v_min_i32_e32 v5, 31, v31
	v_cmp_gt_i32_e32 vcc_lo, 32, v31
	v_and_b32_sdwa v1, v1, v60 dst_sel:DWORD dst_unused:UNUSED_PAD src0_sel:BYTE_3 src1_sel:DWORD
	v_lshlrev_b32_e32 v5, 2, v5
	v_cndmask_b32_e32 v4, 3, v4, vcc_lo
	v_and_b32_e32 v5, 0xfc, v5
	v_or_b32_e32 v24, v31, v4
	v_and_b32_e32 v4, 3, v4
	v_cmp_ne_u32_e32 vcc_lo, 0, v24
	v_or3_b32 v1, v1, v5, v4
	v_lshlrev_b32_e32 v1, 8, v1
	v_cndmask_b32_e32 v24, 0, v1, vcc_lo
.LBB6_757:                              ;   in Loop: Header=BB6_358 Depth=4
	s_or_b32 exec_lo, exec_lo, s63
.LBB6_758:                              ;   in Loop: Header=BB6_358 Depth=4
	s_or_b32 exec_lo, exec_lo, s62
	v_cmp_gt_i16_sdwa s16, v33, v59 src0_sel:BYTE_0 src1_sel:DWORD
	s_mov_b32 s62, 0
	s_and_saveexec_b32 s63, s16
	s_xor_b32 s16, exec_lo, s63
	s_cbranch_execz .LBB6_1716
; %bb.759:                              ;   in Loop: Header=BB6_358 Depth=4
	v_cmp_eq_u16_sdwa s72, v33, v60 src0_sel:BYTE_0 src1_sel:DWORD
	s_mov_b32 s62, -1
	s_and_saveexec_b32 s63, s72
; %bb.760:                              ;   in Loop: Header=BB6_358 Depth=4
	s_xor_b32 s62, exec_lo, -1
; %bb.761:                              ;   in Loop: Header=BB6_358 Depth=4
	s_or_b32 exec_lo, exec_lo, s63
	s_and_b32 s62, s62, exec_lo
	s_or_saveexec_b32 s16, s16
	v_mov_b32_e32 v1, 0x7f800001
	s_xor_b32 exec_lo, exec_lo, s16
	s_cbranch_execnz .LBB6_1717
.LBB6_762:                              ;   in Loop: Header=BB6_358 Depth=4
	s_or_b32 exec_lo, exec_lo, s16
	s_and_saveexec_b32 s16, s62
	s_cbranch_execz .LBB6_764
.LBB6_763:                              ;   in Loop: Header=BB6_358 Depth=4
	v_and_b32_e32 v1, 3, v33
	v_bfe_u32 v4, v33, 2, 5
	v_ffbh_u32_e32 v5, v1
	v_cmp_eq_u32_e32 vcc_lo, 0, v4
	v_min_u32_e32 v5, 32, v5
	v_subrev_nc_u32_e32 v31, 29, v5
	v_sub_nc_u32_e32 v5, 30, v5
	v_lshlrev_b32_e32 v31, v31, v33
	v_cndmask_b32_e32 v4, v4, v5, vcc_lo
	v_lshlrev_b32_e32 v5, 24, v33
	v_and_b32_e32 v31, 3, v31
	v_lshl_add_u32 v4, v4, 23, 0x37800000
	v_and_b32_e32 v5, 0x80000000, v5
	v_cndmask_b32_e32 v1, v1, v31, vcc_lo
	v_lshlrev_b32_e32 v1, 21, v1
	v_or3_b32 v1, v5, v4, v1
.LBB6_764:                              ;   in Loop: Header=BB6_358 Depth=4
	s_or_b32 exec_lo, exec_lo, s16
	v_cmp_gt_i16_sdwa s16, v25, v59 src0_sel:BYTE_0 src1_sel:DWORD
	s_mov_b32 s62, 0
	s_and_saveexec_b32 s63, s16
	s_xor_b32 s16, exec_lo, s63
	s_cbranch_execz .LBB6_1718
; %bb.765:                              ;   in Loop: Header=BB6_358 Depth=4
	v_cmp_eq_u16_sdwa s72, v25, v60 src0_sel:BYTE_0 src1_sel:DWORD
	s_mov_b32 s62, -1
	s_and_saveexec_b32 s63, s72
; %bb.766:                              ;   in Loop: Header=BB6_358 Depth=4
	s_xor_b32 s62, exec_lo, -1
; %bb.767:                              ;   in Loop: Header=BB6_358 Depth=4
	s_or_b32 exec_lo, exec_lo, s63
	s_and_b32 s62, s62, exec_lo
	s_or_saveexec_b32 s16, s16
	v_mov_b32_e32 v4, 0x7f800001
	s_xor_b32 exec_lo, exec_lo, s16
	s_cbranch_execnz .LBB6_1719
.LBB6_768:                              ;   in Loop: Header=BB6_358 Depth=4
	s_or_b32 exec_lo, exec_lo, s16
	s_and_saveexec_b32 s16, s62
	s_cbranch_execz .LBB6_770
.LBB6_769:                              ;   in Loop: Header=BB6_358 Depth=4
	v_and_b32_e32 v4, 3, v25
	v_bfe_u32 v5, v25, 2, 5
	v_ffbh_u32_e32 v31, v4
	v_cmp_eq_u32_e32 vcc_lo, 0, v5
	v_min_u32_e32 v31, 32, v31
	v_subrev_nc_u32_e32 v32, 29, v31
	v_sub_nc_u32_e32 v31, 30, v31
	v_lshlrev_b32_e32 v32, v32, v25
	v_cndmask_b32_e32 v5, v5, v31, vcc_lo
	v_lshlrev_b32_e32 v31, 24, v25
	v_and_b32_e32 v32, 3, v32
	v_lshl_add_u32 v5, v5, 23, 0x37800000
	v_and_b32_e32 v31, 0x80000000, v31
	v_cndmask_b32_e32 v4, v4, v32, vcc_lo
	v_lshlrev_b32_e32 v4, 21, v4
	v_or3_b32 v4, v31, v5, v4
.LBB6_770:                              ;   in Loop: Header=BB6_358 Depth=4
	s_or_b32 exec_lo, exec_lo, s16
	v_mul_f32_e32 v1, v1, v4
	v_mov_b32_e32 v32, 0x80
	s_mov_b32 s62, exec_lo
	v_and_b32_e32 v4, 0x7f800000, v1
	v_cmpx_ne_u32_e32 0x7f800000, v4
	s_cbranch_execz .LBB6_778
; %bb.771:                              ;   in Loop: Header=BB6_358 Depth=4
	v_mov_b32_e32 v32, 0
	s_mov_b32 s63, exec_lo
	v_cmpx_ne_u32_e32 0, v1
	s_cbranch_execz .LBB6_777
; %bb.772:                              ;   in Loop: Header=BB6_358 Depth=4
	v_bfe_u32 v5, v1, 23, 8
	v_and_b32_e32 v4, 0x7fffff, v1
	v_cmp_gt_u32_e64 s16, 0x71, v5
	v_sub_nc_u32_e32 v31, 0x70, v5
	v_cmp_eq_u32_e32 vcc_lo, 0, v5
	v_or_b32_e32 v32, 0x800000, v4
	v_cndmask_b32_e64 v31, 0, v31, s16
	v_cndmask_b32_e32 v4, v32, v4, vcc_lo
	v_cndmask_b32_e64 v31, v31, 0x6f, vcc_lo
	v_lshl_add_u32 v32, 0x200000, v31, -1
	v_lshlrev_b32_e64 v82, v31, 0x100000
	v_and_b32_e32 v32, v32, v4
	v_cmp_eq_u32_e64 s16, v32, v82
	v_lshrrev_b32_e32 v32, v31, v4
	v_add_nc_u32_e32 v4, 0xffffff91, v5
	v_lshrrev_b32_e32 v5, 23, v32
	v_cndmask_b32_e64 v4, v4, 0xffffff92, vcc_lo
	v_xor_b32_e32 v5, 1, v5
	v_add_nc_u32_e32 v4, v31, v4
	v_bfe_u32 v31, v32, 21, 1
	v_add_nc_u32_e32 v31, -1, v31
	v_cndmask_b32_e64 v31, 0, v31, s16
	s_mov_b32 s16, exec_lo
	v_add_nc_u32_e32 v31, v31, v32
	v_and_b32_e32 v31, 0x1fffff, v31
	v_add_nc_u32_e32 v31, v31, v32
                                        ; implicit-def: $vgpr32
	v_cmpx_ne_u32_e64 v4, v5
	s_xor_b32 s16, exec_lo, s16
; %bb.773:                              ;   in Loop: Header=BB6_358 Depth=4
	v_cmp_lt_u32_e32 vcc_lo, 0xffffff, v31
	v_sub_nc_u32_e32 v4, v4, v5
	v_cndmask_b32_e64 v5, 0, 1, vcc_lo
	v_add_co_ci_u32_e64 v32, null, 0, v4, vcc_lo
	v_lshrrev_b32_e32 v31, v5, v31
; %bb.774:                              ;   in Loop: Header=BB6_358 Depth=4
	s_andn2_saveexec_b32 s16, s16
; %bb.775:                              ;   in Loop: Header=BB6_358 Depth=4
	v_bfe_u32 v32, v31, 23, 1
; %bb.776:                              ;   in Loop: Header=BB6_358 Depth=4
	s_or_b32 exec_lo, exec_lo, s16
	v_lshrrev_b32_e32 v4, 21, v31
	v_min_i32_e32 v5, 31, v32
	v_cmp_gt_i32_e32 vcc_lo, 32, v32
	v_and_b32_sdwa v1, v1, v60 dst_sel:DWORD dst_unused:UNUSED_PAD src0_sel:BYTE_3 src1_sel:DWORD
	v_lshlrev_b32_e32 v5, 2, v5
	v_cndmask_b32_e32 v4, 3, v4, vcc_lo
	v_and_b32_e32 v5, 0xfc, v5
	v_or_b32_e32 v31, v32, v4
	v_and_b32_e32 v4, 3, v4
	v_cmp_ne_u32_e32 vcc_lo, 0, v31
	v_or3_b32 v1, v5, v1, v4
	v_cndmask_b32_e32 v32, 0, v1, vcc_lo
.LBB6_777:                              ;   in Loop: Header=BB6_358 Depth=4
	s_or_b32 exec_lo, exec_lo, s63
.LBB6_778:                              ;   in Loop: Header=BB6_358 Depth=4
	s_or_b32 exec_lo, exec_lo, s62
	v_cmp_gt_i16_sdwa s62, v33, v59 src0_sel:BYTE_1 src1_sel:DWORD
	s_mov_b32 s16, 0
	s_and_saveexec_b32 s63, s62
	s_xor_b32 s62, exec_lo, s63
	s_cbranch_execz .LBB6_1720
; %bb.779:                              ;   in Loop: Header=BB6_358 Depth=4
	v_cmp_eq_u16_sdwa s72, v33, v60 src0_sel:BYTE_1 src1_sel:DWORD
	s_mov_b32 s16, -1
	s_and_saveexec_b32 s63, s72
; %bb.780:                              ;   in Loop: Header=BB6_358 Depth=4
	s_xor_b32 s16, exec_lo, -1
; %bb.781:                              ;   in Loop: Header=BB6_358 Depth=4
	s_or_b32 exec_lo, exec_lo, s63
	s_and_b32 s16, s16, exec_lo
	s_or_saveexec_b32 s62, s62
	v_mov_b32_e32 v1, 0x7f800001
	s_xor_b32 exec_lo, exec_lo, s62
	s_cbranch_execnz .LBB6_1721
.LBB6_782:                              ;   in Loop: Header=BB6_358 Depth=4
	s_or_b32 exec_lo, exec_lo, s62
	s_and_saveexec_b32 s62, s16
	s_cbranch_execz .LBB6_784
.LBB6_783:                              ;   in Loop: Header=BB6_358 Depth=4
	v_and_b32_sdwa v1, v61, v33 dst_sel:DWORD dst_unused:UNUSED_PAD src0_sel:DWORD src1_sel:BYTE_1
	v_and_b32_e32 v4, 3, v1
	v_bfe_u32 v82, v1, 2, 5
	v_ffbh_u32_e32 v5, v4
	v_cmp_eq_u32_e32 vcc_lo, 0, v82
	v_min_u32_e32 v5, 32, v5
	v_subrev_nc_u32_e32 v31, 29, v5
	v_sub_nc_u32_e32 v5, 30, v5
	v_lshlrev_b32_e32 v1, v31, v1
	v_lshlrev_b32_sdwa v31, v62, v33 dst_sel:DWORD dst_unused:UNUSED_PAD src0_sel:DWORD src1_sel:BYTE_1
	v_cndmask_b32_e32 v5, v82, v5, vcc_lo
	v_and_b32_e32 v1, 3, v1
	v_lshl_add_u32 v5, v5, 23, 0x37800000
	v_cndmask_b32_e32 v1, v4, v1, vcc_lo
	v_and_b32_e32 v4, 0x80000000, v31
	v_lshlrev_b32_e32 v1, 21, v1
	v_or3_b32 v1, v4, v5, v1
.LBB6_784:                              ;   in Loop: Header=BB6_358 Depth=4
	s_or_b32 exec_lo, exec_lo, s62
	v_cmp_gt_i16_sdwa s62, v25, v59 src0_sel:BYTE_1 src1_sel:DWORD
	s_mov_b32 s16, 0
	s_and_saveexec_b32 s63, s62
	s_xor_b32 s62, exec_lo, s63
	s_cbranch_execz .LBB6_1722
; %bb.785:                              ;   in Loop: Header=BB6_358 Depth=4
	v_cmp_eq_u16_sdwa s72, v25, v60 src0_sel:BYTE_1 src1_sel:DWORD
	s_mov_b32 s16, -1
	s_and_saveexec_b32 s63, s72
; %bb.786:                              ;   in Loop: Header=BB6_358 Depth=4
	s_xor_b32 s16, exec_lo, -1
; %bb.787:                              ;   in Loop: Header=BB6_358 Depth=4
	s_or_b32 exec_lo, exec_lo, s63
	s_and_b32 s16, s16, exec_lo
	s_or_saveexec_b32 s62, s62
	v_mov_b32_e32 v4, 0x7f800001
	s_xor_b32 exec_lo, exec_lo, s62
	s_cbranch_execnz .LBB6_1723
.LBB6_788:                              ;   in Loop: Header=BB6_358 Depth=4
	s_or_b32 exec_lo, exec_lo, s62
	s_and_saveexec_b32 s62, s16
	s_cbranch_execz .LBB6_790
.LBB6_789:                              ;   in Loop: Header=BB6_358 Depth=4
	v_and_b32_sdwa v4, v61, v25 dst_sel:DWORD dst_unused:UNUSED_PAD src0_sel:DWORD src1_sel:BYTE_1
	v_and_b32_e32 v5, 3, v4
	v_bfe_u32 v83, v4, 2, 5
	v_ffbh_u32_e32 v31, v5
	v_cmp_eq_u32_e32 vcc_lo, 0, v83
	v_min_u32_e32 v31, 32, v31
	v_subrev_nc_u32_e32 v82, 29, v31
	v_sub_nc_u32_e32 v31, 30, v31
	v_lshlrev_b32_e32 v4, v82, v4
	v_lshlrev_b32_sdwa v82, v62, v25 dst_sel:DWORD dst_unused:UNUSED_PAD src0_sel:DWORD src1_sel:BYTE_1
	v_cndmask_b32_e32 v31, v83, v31, vcc_lo
	v_and_b32_e32 v4, 3, v4
	v_lshl_add_u32 v31, v31, 23, 0x37800000
	v_cndmask_b32_e32 v4, v5, v4, vcc_lo
	v_and_b32_e32 v5, 0x80000000, v82
	v_lshlrev_b32_e32 v4, 21, v4
	v_or3_b32 v4, v5, v31, v4
.LBB6_790:                              ;   in Loop: Header=BB6_358 Depth=4
	s_or_b32 exec_lo, exec_lo, s62
	v_mul_f32_e32 v1, v1, v4
	v_mov_b32_e32 v84, 0x8000
	s_mov_b32 s62, exec_lo
	v_and_b32_e32 v4, 0x7f800000, v1
	v_cmpx_ne_u32_e32 0x7f800000, v4
	s_cbranch_execz .LBB6_798
; %bb.791:                              ;   in Loop: Header=BB6_358 Depth=4
	v_mov_b32_e32 v84, 0
	s_mov_b32 s63, exec_lo
	v_cmpx_ne_u32_e32 0, v1
	s_cbranch_execz .LBB6_797
; %bb.792:                              ;   in Loop: Header=BB6_358 Depth=4
	v_bfe_u32 v5, v1, 23, 8
	v_and_b32_e32 v4, 0x7fffff, v1
	v_cmp_gt_u32_e64 s16, 0x71, v5
	v_sub_nc_u32_e32 v31, 0x70, v5
	v_cmp_eq_u32_e32 vcc_lo, 0, v5
	v_or_b32_e32 v82, 0x800000, v4
	v_cndmask_b32_e64 v31, 0, v31, s16
	v_cndmask_b32_e32 v4, v82, v4, vcc_lo
	v_cndmask_b32_e64 v31, v31, 0x6f, vcc_lo
	v_lshl_add_u32 v82, 0x200000, v31, -1
	v_lshlrev_b32_e64 v83, v31, 0x100000
	v_and_b32_e32 v82, v82, v4
	v_cmp_eq_u32_e64 s16, v82, v83
	v_lshrrev_b32_e32 v82, v31, v4
	v_add_nc_u32_e32 v4, 0xffffff91, v5
	v_lshrrev_b32_e32 v5, 23, v82
	v_cndmask_b32_e64 v4, v4, 0xffffff92, vcc_lo
	v_xor_b32_e32 v5, 1, v5
	v_add_nc_u32_e32 v4, v31, v4
	v_bfe_u32 v31, v82, 21, 1
	v_add_nc_u32_e32 v31, -1, v31
	v_cndmask_b32_e64 v31, 0, v31, s16
	s_mov_b32 s16, exec_lo
	v_add_nc_u32_e32 v31, v31, v82
	v_and_b32_e32 v31, 0x1fffff, v31
	v_add_nc_u32_e32 v31, v31, v82
                                        ; implicit-def: $vgpr82
	v_cmpx_ne_u32_e64 v4, v5
	s_xor_b32 s16, exec_lo, s16
; %bb.793:                              ;   in Loop: Header=BB6_358 Depth=4
	v_cmp_lt_u32_e32 vcc_lo, 0xffffff, v31
	v_sub_nc_u32_e32 v4, v4, v5
	v_cndmask_b32_e64 v5, 0, 1, vcc_lo
	v_add_co_ci_u32_e64 v82, null, 0, v4, vcc_lo
	v_lshrrev_b32_e32 v31, v5, v31
; %bb.794:                              ;   in Loop: Header=BB6_358 Depth=4
	s_andn2_saveexec_b32 s16, s16
; %bb.795:                              ;   in Loop: Header=BB6_358 Depth=4
	v_bfe_u32 v82, v31, 23, 1
; %bb.796:                              ;   in Loop: Header=BB6_358 Depth=4
	s_or_b32 exec_lo, exec_lo, s16
	v_lshrrev_b32_e32 v4, 21, v31
	v_min_i32_e32 v5, 31, v82
	v_cmp_gt_i32_e32 vcc_lo, 32, v82
	v_and_b32_sdwa v1, v1, v60 dst_sel:DWORD dst_unused:UNUSED_PAD src0_sel:BYTE_3 src1_sel:DWORD
	v_lshlrev_b32_e32 v5, 2, v5
	v_cndmask_b32_e32 v4, 3, v4, vcc_lo
	v_and_b32_e32 v5, 0xfc, v5
	v_or_b32_e32 v31, v82, v4
	v_and_b32_e32 v4, 3, v4
	v_cmp_ne_u32_e32 vcc_lo, 0, v31
	v_or3_b32 v1, v1, v5, v4
	v_lshlrev_b32_e32 v1, 8, v1
	v_cndmask_b32_e32 v84, 0, v1, vcc_lo
.LBB6_797:                              ;   in Loop: Header=BB6_358 Depth=4
	s_or_b32 exec_lo, exec_lo, s63
.LBB6_798:                              ;   in Loop: Header=BB6_358 Depth=4
	s_or_b32 exec_lo, exec_lo, s62
	v_and_b32_sdwa v4, v33, v63 dst_sel:DWORD dst_unused:UNUSED_PAD src0_sel:WORD_1 src1_sel:DWORD
	s_mov_b32 s62, 0
	s_mov_b32 s16, exec_lo
	v_cmpx_lt_i16_e32 0x7f, v4
	s_xor_b32 s16, exec_lo, s16
	s_cbranch_execz .LBB6_1724
; %bb.799:                              ;   in Loop: Header=BB6_358 Depth=4
	s_mov_b32 s62, -1
	s_mov_b32 s63, exec_lo
	v_cmpx_eq_u16_e32 0x80, v4
; %bb.800:                              ;   in Loop: Header=BB6_358 Depth=4
	s_xor_b32 s62, exec_lo, -1
; %bb.801:                              ;   in Loop: Header=BB6_358 Depth=4
	s_or_b32 exec_lo, exec_lo, s63
	s_and_b32 s62, s62, exec_lo
                                        ; implicit-def: $vgpr4
	s_or_saveexec_b32 s16, s16
	v_mov_b32_e32 v1, 0x7f800001
	s_xor_b32 exec_lo, exec_lo, s16
	s_cbranch_execnz .LBB6_1725
.LBB6_802:                              ;   in Loop: Header=BB6_358 Depth=4
	s_or_b32 exec_lo, exec_lo, s16
	s_and_saveexec_b32 s16, s62
	s_cbranch_execz .LBB6_804
.LBB6_803:                              ;   in Loop: Header=BB6_358 Depth=4
	v_bfe_u32 v1, v33, 16, 2
	v_bfe_u32 v4, v33, 18, 5
	v_ffbh_u32_e32 v5, v1
	v_cmp_eq_u32_e32 vcc_lo, 0, v4
	v_min_u32_e32 v5, 32, v5
	v_subrev_nc_u32_e32 v31, 29, v5
	v_sub_nc_u32_e32 v5, 30, v5
	v_lshlrev_b32_sdwa v31, v31, v33 dst_sel:DWORD dst_unused:UNUSED_PAD src0_sel:DWORD src1_sel:WORD_1
	v_cndmask_b32_e32 v4, v4, v5, vcc_lo
	v_lshlrev_b32_e32 v5, 8, v33
	v_and_b32_e32 v31, 3, v31
	v_lshl_add_u32 v4, v4, 23, 0x37800000
	v_and_b32_e32 v5, 0x80000000, v5
	v_cndmask_b32_e32 v1, v1, v31, vcc_lo
	v_lshlrev_b32_e32 v1, 21, v1
	v_or3_b32 v1, v5, v4, v1
.LBB6_804:                              ;   in Loop: Header=BB6_358 Depth=4
	s_or_b32 exec_lo, exec_lo, s16
	v_and_b32_sdwa v5, v25, v63 dst_sel:DWORD dst_unused:UNUSED_PAD src0_sel:WORD_1 src1_sel:DWORD
	s_mov_b32 s62, 0
	s_mov_b32 s16, exec_lo
	v_cmpx_lt_i16_e32 0x7f, v5
	s_xor_b32 s16, exec_lo, s16
	s_cbranch_execz .LBB6_1726
; %bb.805:                              ;   in Loop: Header=BB6_358 Depth=4
	s_mov_b32 s62, -1
	s_mov_b32 s63, exec_lo
	v_cmpx_eq_u16_e32 0x80, v5
; %bb.806:                              ;   in Loop: Header=BB6_358 Depth=4
	s_xor_b32 s62, exec_lo, -1
; %bb.807:                              ;   in Loop: Header=BB6_358 Depth=4
	s_or_b32 exec_lo, exec_lo, s63
	s_and_b32 s62, s62, exec_lo
                                        ; implicit-def: $vgpr5
	s_or_saveexec_b32 s16, s16
	v_mov_b32_e32 v4, 0x7f800001
	s_xor_b32 exec_lo, exec_lo, s16
	s_cbranch_execnz .LBB6_1727
.LBB6_808:                              ;   in Loop: Header=BB6_358 Depth=4
	s_or_b32 exec_lo, exec_lo, s16
	s_and_saveexec_b32 s16, s62
	s_cbranch_execz .LBB6_810
.LBB6_809:                              ;   in Loop: Header=BB6_358 Depth=4
	v_bfe_u32 v4, v25, 16, 2
	v_bfe_u32 v5, v25, 18, 5
	v_ffbh_u32_e32 v31, v4
	v_cmp_eq_u32_e32 vcc_lo, 0, v5
	v_min_u32_e32 v31, 32, v31
	v_subrev_nc_u32_e32 v82, 29, v31
	v_sub_nc_u32_e32 v31, 30, v31
	v_lshlrev_b32_sdwa v82, v82, v25 dst_sel:DWORD dst_unused:UNUSED_PAD src0_sel:DWORD src1_sel:WORD_1
	v_cndmask_b32_e32 v5, v5, v31, vcc_lo
	v_lshlrev_b32_e32 v31, 8, v25
	v_and_b32_e32 v82, 3, v82
	v_lshl_add_u32 v5, v5, 23, 0x37800000
	v_and_b32_e32 v31, 0x80000000, v31
	v_cndmask_b32_e32 v4, v4, v82, vcc_lo
	v_lshlrev_b32_e32 v4, 21, v4
	v_or3_b32 v4, v31, v5, v4
.LBB6_810:                              ;   in Loop: Header=BB6_358 Depth=4
	s_or_b32 exec_lo, exec_lo, s16
	v_mul_f32_e32 v1, v1, v4
	v_mov_b32_e32 v85, 0x80
	s_mov_b32 s62, exec_lo
	v_and_b32_e32 v4, 0x7f800000, v1
	v_cmpx_ne_u32_e32 0x7f800000, v4
	s_cbranch_execz .LBB6_818
; %bb.811:                              ;   in Loop: Header=BB6_358 Depth=4
	v_mov_b32_e32 v85, 0
	s_mov_b32 s63, exec_lo
	v_cmpx_ne_u32_e32 0, v1
	s_cbranch_execz .LBB6_817
; %bb.812:                              ;   in Loop: Header=BB6_358 Depth=4
	v_bfe_u32 v5, v1, 23, 8
	v_and_b32_e32 v4, 0x7fffff, v1
	v_cmp_gt_u32_e64 s16, 0x71, v5
	v_sub_nc_u32_e32 v31, 0x70, v5
	v_cmp_eq_u32_e32 vcc_lo, 0, v5
	v_or_b32_e32 v82, 0x800000, v4
	v_cndmask_b32_e64 v31, 0, v31, s16
	v_cndmask_b32_e32 v4, v82, v4, vcc_lo
	v_cndmask_b32_e64 v31, v31, 0x6f, vcc_lo
	v_lshl_add_u32 v82, 0x200000, v31, -1
	v_lshlrev_b32_e64 v83, v31, 0x100000
	v_and_b32_e32 v82, v82, v4
	v_cmp_eq_u32_e64 s16, v82, v83
	v_lshrrev_b32_e32 v82, v31, v4
	v_add_nc_u32_e32 v4, 0xffffff91, v5
	v_lshrrev_b32_e32 v5, 23, v82
	v_cndmask_b32_e64 v4, v4, 0xffffff92, vcc_lo
	v_xor_b32_e32 v5, 1, v5
	v_add_nc_u32_e32 v4, v31, v4
	v_bfe_u32 v31, v82, 21, 1
	v_add_nc_u32_e32 v31, -1, v31
	v_cndmask_b32_e64 v31, 0, v31, s16
	s_mov_b32 s16, exec_lo
	v_add_nc_u32_e32 v31, v31, v82
	v_and_b32_e32 v31, 0x1fffff, v31
	v_add_nc_u32_e32 v31, v31, v82
                                        ; implicit-def: $vgpr82
	v_cmpx_ne_u32_e64 v4, v5
	s_xor_b32 s16, exec_lo, s16
; %bb.813:                              ;   in Loop: Header=BB6_358 Depth=4
	v_cmp_lt_u32_e32 vcc_lo, 0xffffff, v31
	v_sub_nc_u32_e32 v4, v4, v5
	v_cndmask_b32_e64 v5, 0, 1, vcc_lo
	v_add_co_ci_u32_e64 v82, null, 0, v4, vcc_lo
	v_lshrrev_b32_e32 v31, v5, v31
; %bb.814:                              ;   in Loop: Header=BB6_358 Depth=4
	s_andn2_saveexec_b32 s16, s16
; %bb.815:                              ;   in Loop: Header=BB6_358 Depth=4
	v_bfe_u32 v82, v31, 23, 1
; %bb.816:                              ;   in Loop: Header=BB6_358 Depth=4
	s_or_b32 exec_lo, exec_lo, s16
	v_lshrrev_b32_e32 v4, 21, v31
	v_min_i32_e32 v5, 31, v82
	v_cmp_gt_i32_e32 vcc_lo, 32, v82
	v_and_b32_sdwa v1, v1, v60 dst_sel:DWORD dst_unused:UNUSED_PAD src0_sel:BYTE_3 src1_sel:DWORD
	v_lshlrev_b32_e32 v5, 2, v5
	v_cndmask_b32_e32 v4, 3, v4, vcc_lo
	v_and_b32_e32 v5, 0xfc, v5
	v_or_b32_e32 v31, v82, v4
	v_and_b32_e32 v4, 3, v4
	v_cmp_ne_u32_e32 vcc_lo, 0, v31
	v_or3_b32 v1, v5, v1, v4
	v_cndmask_b32_e32 v85, 0, v1, vcc_lo
.LBB6_817:                              ;   in Loop: Header=BB6_358 Depth=4
	s_or_b32 exec_lo, exec_lo, s63
.LBB6_818:                              ;   in Loop: Header=BB6_358 Depth=4
	s_or_b32 exec_lo, exec_lo, s62
	v_cmp_gt_i16_sdwa s62, v33, v59 src0_sel:BYTE_3 src1_sel:DWORD
	s_mov_b32 s16, 0
	s_and_saveexec_b32 s63, s62
	s_xor_b32 s62, exec_lo, s63
	s_cbranch_execz .LBB6_1728
; %bb.819:                              ;   in Loop: Header=BB6_358 Depth=4
	v_cmp_eq_u16_sdwa s72, v33, v60 src0_sel:BYTE_3 src1_sel:DWORD
	s_mov_b32 s16, -1
	s_and_saveexec_b32 s63, s72
; %bb.820:                              ;   in Loop: Header=BB6_358 Depth=4
	s_xor_b32 s16, exec_lo, -1
; %bb.821:                              ;   in Loop: Header=BB6_358 Depth=4
	s_or_b32 exec_lo, exec_lo, s63
	s_and_b32 s16, s16, exec_lo
	s_or_saveexec_b32 s62, s62
	v_mov_b32_e32 v1, 0x7f800001
	s_xor_b32 exec_lo, exec_lo, s62
	s_cbranch_execnz .LBB6_1729
.LBB6_822:                              ;   in Loop: Header=BB6_358 Depth=4
	s_or_b32 exec_lo, exec_lo, s62
	s_and_saveexec_b32 s62, s16
	s_cbranch_execz .LBB6_824
.LBB6_823:                              ;   in Loop: Header=BB6_358 Depth=4
	v_bfe_u32 v1, v33, 24, 2
	v_bfe_u32 v31, v33, 26, 5
	v_ffbh_u32_e32 v4, v1
	v_cmp_eq_u32_e32 vcc_lo, 0, v31
	v_min_u32_e32 v4, 32, v4
	v_subrev_nc_u32_e32 v5, 29, v4
	v_sub_nc_u32_e32 v4, 30, v4
	v_lshlrev_b32_sdwa v5, v5, v33 dst_sel:DWORD dst_unused:UNUSED_PAD src0_sel:DWORD src1_sel:BYTE_3
	v_cndmask_b32_e32 v4, v31, v4, vcc_lo
	v_and_b32_e32 v5, 3, v5
	v_lshl_add_u32 v4, v4, 23, 0x37800000
	v_cndmask_b32_e32 v1, v1, v5, vcc_lo
	v_and_b32_e32 v5, 0x80000000, v33
	v_lshlrev_b32_e32 v1, 21, v1
	v_or3_b32 v1, v5, v4, v1
.LBB6_824:                              ;   in Loop: Header=BB6_358 Depth=4
	s_or_b32 exec_lo, exec_lo, s62
	v_cmp_gt_i16_sdwa s62, v25, v59 src0_sel:BYTE_3 src1_sel:DWORD
	s_mov_b32 s16, 0
	s_and_saveexec_b32 s63, s62
	s_xor_b32 s62, exec_lo, s63
	s_cbranch_execz .LBB6_1730
; %bb.825:                              ;   in Loop: Header=BB6_358 Depth=4
	v_cmp_eq_u16_sdwa s72, v25, v60 src0_sel:BYTE_3 src1_sel:DWORD
	s_mov_b32 s16, -1
	s_and_saveexec_b32 s63, s72
; %bb.826:                              ;   in Loop: Header=BB6_358 Depth=4
	s_xor_b32 s16, exec_lo, -1
; %bb.827:                              ;   in Loop: Header=BB6_358 Depth=4
	s_or_b32 exec_lo, exec_lo, s63
	s_and_b32 s16, s16, exec_lo
	s_or_saveexec_b32 s62, s62
	v_mov_b32_e32 v4, 0x7f800001
	s_xor_b32 exec_lo, exec_lo, s62
	s_cbranch_execnz .LBB6_1731
.LBB6_828:                              ;   in Loop: Header=BB6_358 Depth=4
	s_or_b32 exec_lo, exec_lo, s62
	s_and_saveexec_b32 s62, s16
	s_cbranch_execz .LBB6_830
.LBB6_829:                              ;   in Loop: Header=BB6_358 Depth=4
	v_bfe_u32 v4, v25, 24, 2
	v_bfe_u32 v33, v25, 26, 5
	v_ffbh_u32_e32 v5, v4
	v_cmp_eq_u32_e32 vcc_lo, 0, v33
	v_min_u32_e32 v5, 32, v5
	v_subrev_nc_u32_e32 v31, 29, v5
	v_sub_nc_u32_e32 v5, 30, v5
	v_lshlrev_b32_sdwa v31, v31, v25 dst_sel:DWORD dst_unused:UNUSED_PAD src0_sel:DWORD src1_sel:BYTE_3
	v_cndmask_b32_e32 v5, v33, v5, vcc_lo
	v_and_b32_e32 v25, 0x80000000, v25
	v_and_b32_e32 v31, 3, v31
	v_lshl_add_u32 v5, v5, 23, 0x37800000
	v_cndmask_b32_e32 v4, v4, v31, vcc_lo
	v_lshlrev_b32_e32 v4, 21, v4
	v_or3_b32 v4, v25, v5, v4
.LBB6_830:                              ;   in Loop: Header=BB6_358 Depth=4
	s_or_b32 exec_lo, exec_lo, s62
	v_mul_f32_e32 v1, v1, v4
	v_mov_b32_e32 v25, 0x8000
	s_mov_b32 s62, exec_lo
	v_and_b32_e32 v4, 0x7f800000, v1
	v_cmpx_ne_u32_e32 0x7f800000, v4
	s_cbranch_execz .LBB6_838
; %bb.831:                              ;   in Loop: Header=BB6_358 Depth=4
	v_mov_b32_e32 v25, 0
	s_mov_b32 s63, exec_lo
	v_cmpx_ne_u32_e32 0, v1
	s_cbranch_execz .LBB6_837
; %bb.832:                              ;   in Loop: Header=BB6_358 Depth=4
	v_bfe_u32 v5, v1, 23, 8
	v_and_b32_e32 v4, 0x7fffff, v1
	v_cmp_gt_u32_e64 s16, 0x71, v5
	v_sub_nc_u32_e32 v25, 0x70, v5
	v_cmp_eq_u32_e32 vcc_lo, 0, v5
	v_or_b32_e32 v31, 0x800000, v4
	v_cndmask_b32_e64 v25, 0, v25, s16
	v_cndmask_b32_e32 v4, v31, v4, vcc_lo
	v_cndmask_b32_e64 v25, v25, 0x6f, vcc_lo
	v_lshl_add_u32 v31, 0x200000, v25, -1
	v_lshlrev_b32_e64 v33, v25, 0x100000
	v_and_b32_e32 v31, v31, v4
	v_cmp_eq_u32_e64 s16, v31, v33
	v_lshrrev_b32_e32 v31, v25, v4
	v_add_nc_u32_e32 v4, 0xffffff91, v5
	v_lshrrev_b32_e32 v5, 23, v31
	v_cndmask_b32_e64 v4, v4, 0xffffff92, vcc_lo
	v_xor_b32_e32 v5, 1, v5
	v_add_nc_u32_e32 v4, v25, v4
	v_bfe_u32 v25, v31, 21, 1
	v_add_nc_u32_e32 v25, -1, v25
	v_cndmask_b32_e64 v25, 0, v25, s16
	s_mov_b32 s16, exec_lo
	v_add_nc_u32_e32 v25, v25, v31
	v_and_b32_e32 v25, 0x1fffff, v25
	v_add_nc_u32_e32 v25, v25, v31
                                        ; implicit-def: $vgpr31
	v_cmpx_ne_u32_e64 v4, v5
	s_xor_b32 s16, exec_lo, s16
; %bb.833:                              ;   in Loop: Header=BB6_358 Depth=4
	v_cmp_lt_u32_e32 vcc_lo, 0xffffff, v25
	v_sub_nc_u32_e32 v4, v4, v5
	v_cndmask_b32_e64 v5, 0, 1, vcc_lo
	v_add_co_ci_u32_e64 v31, null, 0, v4, vcc_lo
	v_lshrrev_b32_e32 v25, v5, v25
; %bb.834:                              ;   in Loop: Header=BB6_358 Depth=4
	s_andn2_saveexec_b32 s16, s16
; %bb.835:                              ;   in Loop: Header=BB6_358 Depth=4
	v_bfe_u32 v31, v25, 23, 1
; %bb.836:                              ;   in Loop: Header=BB6_358 Depth=4
	s_or_b32 exec_lo, exec_lo, s16
	v_lshrrev_b32_e32 v4, 21, v25
	v_min_i32_e32 v5, 31, v31
	v_cmp_gt_i32_e32 vcc_lo, 32, v31
	v_and_b32_sdwa v1, v1, v60 dst_sel:DWORD dst_unused:UNUSED_PAD src0_sel:BYTE_3 src1_sel:DWORD
	v_lshlrev_b32_e32 v5, 2, v5
	v_cndmask_b32_e32 v4, 3, v4, vcc_lo
	v_and_b32_e32 v5, 0xfc, v5
	v_or_b32_e32 v25, v31, v4
	v_and_b32_e32 v4, 3, v4
	v_cmp_ne_u32_e32 vcc_lo, 0, v25
	v_or3_b32 v1, v1, v5, v4
	v_lshlrev_b32_e32 v1, 8, v1
	v_cndmask_b32_e32 v25, 0, v1, vcc_lo
.LBB6_837:                              ;   in Loop: Header=BB6_358 Depth=4
	s_or_b32 exec_lo, exec_lo, s63
.LBB6_838:                              ;   in Loop: Header=BB6_358 Depth=4
	s_or_b32 exec_lo, exec_lo, s62
	v_cmp_gt_i16_sdwa s16, v34, v59 src0_sel:BYTE_0 src1_sel:DWORD
	s_mov_b32 s62, 0
	s_and_saveexec_b32 s63, s16
	s_xor_b32 s16, exec_lo, s63
	s_cbranch_execz .LBB6_1732
; %bb.839:                              ;   in Loop: Header=BB6_358 Depth=4
	v_cmp_eq_u16_sdwa s72, v34, v60 src0_sel:BYTE_0 src1_sel:DWORD
	s_mov_b32 s62, -1
	s_and_saveexec_b32 s63, s72
; %bb.840:                              ;   in Loop: Header=BB6_358 Depth=4
	s_xor_b32 s62, exec_lo, -1
; %bb.841:                              ;   in Loop: Header=BB6_358 Depth=4
	s_or_b32 exec_lo, exec_lo, s63
	s_and_b32 s62, s62, exec_lo
	s_or_saveexec_b32 s16, s16
	v_mov_b32_e32 v1, 0x7f800001
	s_xor_b32 exec_lo, exec_lo, s16
	s_cbranch_execnz .LBB6_1733
.LBB6_842:                              ;   in Loop: Header=BB6_358 Depth=4
	s_or_b32 exec_lo, exec_lo, s16
	s_and_saveexec_b32 s16, s62
	s_cbranch_execz .LBB6_844
.LBB6_843:                              ;   in Loop: Header=BB6_358 Depth=4
	v_and_b32_e32 v1, 3, v34
	v_bfe_u32 v4, v34, 2, 5
	v_ffbh_u32_e32 v5, v1
	v_cmp_eq_u32_e32 vcc_lo, 0, v4
	v_min_u32_e32 v5, 32, v5
	v_subrev_nc_u32_e32 v31, 29, v5
	v_sub_nc_u32_e32 v5, 30, v5
	v_lshlrev_b32_e32 v31, v31, v34
	v_cndmask_b32_e32 v4, v4, v5, vcc_lo
	v_lshlrev_b32_e32 v5, 24, v34
	v_and_b32_e32 v31, 3, v31
	v_lshl_add_u32 v4, v4, 23, 0x37800000
	v_and_b32_e32 v5, 0x80000000, v5
	v_cndmask_b32_e32 v1, v1, v31, vcc_lo
	v_lshlrev_b32_e32 v1, 21, v1
	v_or3_b32 v1, v5, v4, v1
.LBB6_844:                              ;   in Loop: Header=BB6_358 Depth=4
	s_or_b32 exec_lo, exec_lo, s16
	v_cmp_gt_i16_sdwa s16, v26, v59 src0_sel:BYTE_0 src1_sel:DWORD
	s_mov_b32 s62, 0
	s_and_saveexec_b32 s63, s16
	s_xor_b32 s16, exec_lo, s63
	s_cbranch_execz .LBB6_1734
; %bb.845:                              ;   in Loop: Header=BB6_358 Depth=4
	v_cmp_eq_u16_sdwa s72, v26, v60 src0_sel:BYTE_0 src1_sel:DWORD
	s_mov_b32 s62, -1
	s_and_saveexec_b32 s63, s72
; %bb.846:                              ;   in Loop: Header=BB6_358 Depth=4
	s_xor_b32 s62, exec_lo, -1
; %bb.847:                              ;   in Loop: Header=BB6_358 Depth=4
	s_or_b32 exec_lo, exec_lo, s63
	s_and_b32 s62, s62, exec_lo
	s_or_saveexec_b32 s16, s16
	v_mov_b32_e32 v4, 0x7f800001
	s_xor_b32 exec_lo, exec_lo, s16
	s_cbranch_execnz .LBB6_1735
.LBB6_848:                              ;   in Loop: Header=BB6_358 Depth=4
	s_or_b32 exec_lo, exec_lo, s16
	s_and_saveexec_b32 s16, s62
	s_cbranch_execz .LBB6_850
.LBB6_849:                              ;   in Loop: Header=BB6_358 Depth=4
	v_and_b32_e32 v4, 3, v26
	v_bfe_u32 v5, v26, 2, 5
	v_ffbh_u32_e32 v31, v4
	v_cmp_eq_u32_e32 vcc_lo, 0, v5
	v_min_u32_e32 v31, 32, v31
	v_subrev_nc_u32_e32 v33, 29, v31
	v_sub_nc_u32_e32 v31, 30, v31
	v_lshlrev_b32_e32 v33, v33, v26
	v_cndmask_b32_e32 v5, v5, v31, vcc_lo
	v_lshlrev_b32_e32 v31, 24, v26
	v_and_b32_e32 v33, 3, v33
	v_lshl_add_u32 v5, v5, 23, 0x37800000
	v_and_b32_e32 v31, 0x80000000, v31
	v_cndmask_b32_e32 v4, v4, v33, vcc_lo
	v_lshlrev_b32_e32 v4, 21, v4
	v_or3_b32 v4, v31, v5, v4
.LBB6_850:                              ;   in Loop: Header=BB6_358 Depth=4
	s_or_b32 exec_lo, exec_lo, s16
	v_mul_f32_e32 v1, v1, v4
	v_mov_b32_e32 v33, 0x80
	s_mov_b32 s62, exec_lo
	v_and_b32_e32 v4, 0x7f800000, v1
	v_cmpx_ne_u32_e32 0x7f800000, v4
	s_cbranch_execz .LBB6_858
; %bb.851:                              ;   in Loop: Header=BB6_358 Depth=4
	v_mov_b32_e32 v33, 0
	s_mov_b32 s63, exec_lo
	v_cmpx_ne_u32_e32 0, v1
	s_cbranch_execz .LBB6_857
; %bb.852:                              ;   in Loop: Header=BB6_358 Depth=4
	v_bfe_u32 v5, v1, 23, 8
	v_and_b32_e32 v4, 0x7fffff, v1
	v_cmp_gt_u32_e64 s16, 0x71, v5
	v_sub_nc_u32_e32 v31, 0x70, v5
	v_cmp_eq_u32_e32 vcc_lo, 0, v5
	v_or_b32_e32 v33, 0x800000, v4
	v_cndmask_b32_e64 v31, 0, v31, s16
	v_cndmask_b32_e32 v4, v33, v4, vcc_lo
	v_cndmask_b32_e64 v31, v31, 0x6f, vcc_lo
	v_lshl_add_u32 v33, 0x200000, v31, -1
	v_lshlrev_b32_e64 v82, v31, 0x100000
	v_and_b32_e32 v33, v33, v4
	v_cmp_eq_u32_e64 s16, v33, v82
	v_lshrrev_b32_e32 v33, v31, v4
	v_add_nc_u32_e32 v4, 0xffffff91, v5
	v_lshrrev_b32_e32 v5, 23, v33
	v_cndmask_b32_e64 v4, v4, 0xffffff92, vcc_lo
	v_xor_b32_e32 v5, 1, v5
	v_add_nc_u32_e32 v4, v31, v4
	v_bfe_u32 v31, v33, 21, 1
	v_add_nc_u32_e32 v31, -1, v31
	v_cndmask_b32_e64 v31, 0, v31, s16
	s_mov_b32 s16, exec_lo
	v_add_nc_u32_e32 v31, v31, v33
	v_and_b32_e32 v31, 0x1fffff, v31
	v_add_nc_u32_e32 v31, v31, v33
                                        ; implicit-def: $vgpr33
	v_cmpx_ne_u32_e64 v4, v5
	s_xor_b32 s16, exec_lo, s16
; %bb.853:                              ;   in Loop: Header=BB6_358 Depth=4
	v_cmp_lt_u32_e32 vcc_lo, 0xffffff, v31
	v_sub_nc_u32_e32 v4, v4, v5
	v_cndmask_b32_e64 v5, 0, 1, vcc_lo
	v_add_co_ci_u32_e64 v33, null, 0, v4, vcc_lo
	v_lshrrev_b32_e32 v31, v5, v31
; %bb.854:                              ;   in Loop: Header=BB6_358 Depth=4
	s_andn2_saveexec_b32 s16, s16
; %bb.855:                              ;   in Loop: Header=BB6_358 Depth=4
	v_bfe_u32 v33, v31, 23, 1
; %bb.856:                              ;   in Loop: Header=BB6_358 Depth=4
	s_or_b32 exec_lo, exec_lo, s16
	v_lshrrev_b32_e32 v4, 21, v31
	v_min_i32_e32 v5, 31, v33
	v_cmp_gt_i32_e32 vcc_lo, 32, v33
	v_and_b32_sdwa v1, v1, v60 dst_sel:DWORD dst_unused:UNUSED_PAD src0_sel:BYTE_3 src1_sel:DWORD
	v_lshlrev_b32_e32 v5, 2, v5
	v_cndmask_b32_e32 v4, 3, v4, vcc_lo
	v_and_b32_e32 v5, 0xfc, v5
	v_or_b32_e32 v31, v33, v4
	v_and_b32_e32 v4, 3, v4
	v_cmp_ne_u32_e32 vcc_lo, 0, v31
	v_or3_b32 v1, v5, v1, v4
	v_cndmask_b32_e32 v33, 0, v1, vcc_lo
.LBB6_857:                              ;   in Loop: Header=BB6_358 Depth=4
	s_or_b32 exec_lo, exec_lo, s63
.LBB6_858:                              ;   in Loop: Header=BB6_358 Depth=4
	s_or_b32 exec_lo, exec_lo, s62
	v_cmp_gt_i16_sdwa s62, v34, v59 src0_sel:BYTE_1 src1_sel:DWORD
	s_mov_b32 s16, 0
	s_and_saveexec_b32 s63, s62
	s_xor_b32 s62, exec_lo, s63
	s_cbranch_execz .LBB6_1736
; %bb.859:                              ;   in Loop: Header=BB6_358 Depth=4
	v_cmp_eq_u16_sdwa s72, v34, v60 src0_sel:BYTE_1 src1_sel:DWORD
	s_mov_b32 s16, -1
	s_and_saveexec_b32 s63, s72
; %bb.860:                              ;   in Loop: Header=BB6_358 Depth=4
	s_xor_b32 s16, exec_lo, -1
; %bb.861:                              ;   in Loop: Header=BB6_358 Depth=4
	s_or_b32 exec_lo, exec_lo, s63
	s_and_b32 s16, s16, exec_lo
	s_or_saveexec_b32 s62, s62
	v_mov_b32_e32 v1, 0x7f800001
	s_xor_b32 exec_lo, exec_lo, s62
	s_cbranch_execnz .LBB6_1737
.LBB6_862:                              ;   in Loop: Header=BB6_358 Depth=4
	s_or_b32 exec_lo, exec_lo, s62
	s_and_saveexec_b32 s62, s16
	s_cbranch_execz .LBB6_864
.LBB6_863:                              ;   in Loop: Header=BB6_358 Depth=4
	v_and_b32_sdwa v1, v61, v34 dst_sel:DWORD dst_unused:UNUSED_PAD src0_sel:DWORD src1_sel:BYTE_1
	v_and_b32_e32 v4, 3, v1
	v_bfe_u32 v82, v1, 2, 5
	v_ffbh_u32_e32 v5, v4
	v_cmp_eq_u32_e32 vcc_lo, 0, v82
	v_min_u32_e32 v5, 32, v5
	v_subrev_nc_u32_e32 v31, 29, v5
	v_sub_nc_u32_e32 v5, 30, v5
	v_lshlrev_b32_e32 v1, v31, v1
	v_lshlrev_b32_sdwa v31, v62, v34 dst_sel:DWORD dst_unused:UNUSED_PAD src0_sel:DWORD src1_sel:BYTE_1
	v_cndmask_b32_e32 v5, v82, v5, vcc_lo
	v_and_b32_e32 v1, 3, v1
	v_lshl_add_u32 v5, v5, 23, 0x37800000
	v_cndmask_b32_e32 v1, v4, v1, vcc_lo
	v_and_b32_e32 v4, 0x80000000, v31
	v_lshlrev_b32_e32 v1, 21, v1
	v_or3_b32 v1, v4, v5, v1
.LBB6_864:                              ;   in Loop: Header=BB6_358 Depth=4
	s_or_b32 exec_lo, exec_lo, s62
	v_cmp_gt_i16_sdwa s62, v26, v59 src0_sel:BYTE_1 src1_sel:DWORD
	s_mov_b32 s16, 0
	s_and_saveexec_b32 s63, s62
	s_xor_b32 s62, exec_lo, s63
	s_cbranch_execz .LBB6_1738
; %bb.865:                              ;   in Loop: Header=BB6_358 Depth=4
	v_cmp_eq_u16_sdwa s72, v26, v60 src0_sel:BYTE_1 src1_sel:DWORD
	s_mov_b32 s16, -1
	s_and_saveexec_b32 s63, s72
; %bb.866:                              ;   in Loop: Header=BB6_358 Depth=4
	s_xor_b32 s16, exec_lo, -1
; %bb.867:                              ;   in Loop: Header=BB6_358 Depth=4
	s_or_b32 exec_lo, exec_lo, s63
	s_and_b32 s16, s16, exec_lo
	s_or_saveexec_b32 s62, s62
	v_mov_b32_e32 v4, 0x7f800001
	s_xor_b32 exec_lo, exec_lo, s62
	s_cbranch_execnz .LBB6_1739
.LBB6_868:                              ;   in Loop: Header=BB6_358 Depth=4
	s_or_b32 exec_lo, exec_lo, s62
	s_and_saveexec_b32 s62, s16
	s_cbranch_execz .LBB6_870
.LBB6_869:                              ;   in Loop: Header=BB6_358 Depth=4
	v_and_b32_sdwa v4, v61, v26 dst_sel:DWORD dst_unused:UNUSED_PAD src0_sel:DWORD src1_sel:BYTE_1
	v_and_b32_e32 v5, 3, v4
	v_bfe_u32 v83, v4, 2, 5
	v_ffbh_u32_e32 v31, v5
	v_cmp_eq_u32_e32 vcc_lo, 0, v83
	v_min_u32_e32 v31, 32, v31
	v_subrev_nc_u32_e32 v82, 29, v31
	v_sub_nc_u32_e32 v31, 30, v31
	v_lshlrev_b32_e32 v4, v82, v4
	v_lshlrev_b32_sdwa v82, v62, v26 dst_sel:DWORD dst_unused:UNUSED_PAD src0_sel:DWORD src1_sel:BYTE_1
	v_cndmask_b32_e32 v31, v83, v31, vcc_lo
	v_and_b32_e32 v4, 3, v4
	v_lshl_add_u32 v31, v31, 23, 0x37800000
	v_cndmask_b32_e32 v4, v5, v4, vcc_lo
	v_and_b32_e32 v5, 0x80000000, v82
	v_lshlrev_b32_e32 v4, 21, v4
	v_or3_b32 v4, v5, v31, v4
.LBB6_870:                              ;   in Loop: Header=BB6_358 Depth=4
	s_or_b32 exec_lo, exec_lo, s62
	v_mul_f32_e32 v1, v1, v4
	v_and_b32_e32 v4, 0x7f800000, v1
	v_cmp_ne_u32_e32 vcc_lo, 0x7f800000, v4
	v_mov_b32_e32 v4, 0x8000
	s_and_saveexec_b32 s62, vcc_lo
	s_cbranch_execz .LBB6_878
; %bb.871:                              ;   in Loop: Header=BB6_358 Depth=4
	v_mov_b32_e32 v4, 0
	s_mov_b32 s63, exec_lo
	v_cmpx_ne_u32_e32 0, v1
	s_cbranch_execz .LBB6_877
; %bb.872:                              ;   in Loop: Header=BB6_358 Depth=4
	v_bfe_u32 v5, v1, 23, 8
	v_and_b32_e32 v4, 0x7fffff, v1
	v_cmp_gt_u32_e64 s16, 0x71, v5
	v_sub_nc_u32_e32 v31, 0x70, v5
	v_cmp_eq_u32_e32 vcc_lo, 0, v5
	v_or_b32_e32 v82, 0x800000, v4
	v_cndmask_b32_e64 v31, 0, v31, s16
	v_cndmask_b32_e32 v4, v82, v4, vcc_lo
	v_cndmask_b32_e64 v31, v31, 0x6f, vcc_lo
	v_lshl_add_u32 v82, 0x200000, v31, -1
	v_lshlrev_b32_e64 v83, v31, 0x100000
	v_and_b32_e32 v82, v82, v4
	v_cmp_eq_u32_e64 s16, v82, v83
	v_lshrrev_b32_e32 v82, v31, v4
	v_add_nc_u32_e32 v4, 0xffffff91, v5
	v_lshrrev_b32_e32 v5, 23, v82
	v_cndmask_b32_e64 v4, v4, 0xffffff92, vcc_lo
	v_xor_b32_e32 v5, 1, v5
	v_add_nc_u32_e32 v4, v31, v4
	v_bfe_u32 v31, v82, 21, 1
	v_add_nc_u32_e32 v31, -1, v31
	v_cndmask_b32_e64 v31, 0, v31, s16
	s_mov_b32 s16, exec_lo
	v_add_nc_u32_e32 v31, v31, v82
	v_and_b32_e32 v31, 0x1fffff, v31
	v_add_nc_u32_e32 v31, v31, v82
                                        ; implicit-def: $vgpr82
	v_cmpx_ne_u32_e64 v4, v5
	s_xor_b32 s16, exec_lo, s16
; %bb.873:                              ;   in Loop: Header=BB6_358 Depth=4
	v_cmp_lt_u32_e32 vcc_lo, 0xffffff, v31
	v_sub_nc_u32_e32 v4, v4, v5
	v_cndmask_b32_e64 v5, 0, 1, vcc_lo
	v_add_co_ci_u32_e64 v82, null, 0, v4, vcc_lo
	v_lshrrev_b32_e32 v31, v5, v31
; %bb.874:                              ;   in Loop: Header=BB6_358 Depth=4
	s_andn2_saveexec_b32 s16, s16
; %bb.875:                              ;   in Loop: Header=BB6_358 Depth=4
	v_bfe_u32 v82, v31, 23, 1
; %bb.876:                              ;   in Loop: Header=BB6_358 Depth=4
	s_or_b32 exec_lo, exec_lo, s16
	v_lshrrev_b32_e32 v4, 21, v31
	v_min_i32_e32 v5, 31, v82
	v_cmp_gt_i32_e32 vcc_lo, 32, v82
	v_and_b32_sdwa v1, v1, v60 dst_sel:DWORD dst_unused:UNUSED_PAD src0_sel:BYTE_3 src1_sel:DWORD
	v_lshlrev_b32_e32 v5, 2, v5
	v_cndmask_b32_e32 v4, 3, v4, vcc_lo
	v_and_b32_e32 v5, 0xfc, v5
	v_or_b32_e32 v31, v82, v4
	v_and_b32_e32 v4, 3, v4
	v_cmp_ne_u32_e32 vcc_lo, 0, v31
	v_or3_b32 v1, v1, v5, v4
	v_lshlrev_b32_e32 v1, 8, v1
	v_cndmask_b32_e32 v4, 0, v1, vcc_lo
.LBB6_877:                              ;   in Loop: Header=BB6_358 Depth=4
	s_or_b32 exec_lo, exec_lo, s63
.LBB6_878:                              ;   in Loop: Header=BB6_358 Depth=4
	s_or_b32 exec_lo, exec_lo, s62
	v_and_b32_sdwa v5, v34, v63 dst_sel:DWORD dst_unused:UNUSED_PAD src0_sel:WORD_1 src1_sel:DWORD
	s_mov_b32 s62, 0
	s_mov_b32 s16, exec_lo
	v_cmpx_lt_i16_e32 0x7f, v5
	s_xor_b32 s16, exec_lo, s16
	s_cbranch_execz .LBB6_1740
; %bb.879:                              ;   in Loop: Header=BB6_358 Depth=4
	s_mov_b32 s62, -1
	s_mov_b32 s63, exec_lo
	v_cmpx_eq_u16_e32 0x80, v5
; %bb.880:                              ;   in Loop: Header=BB6_358 Depth=4
	s_xor_b32 s62, exec_lo, -1
; %bb.881:                              ;   in Loop: Header=BB6_358 Depth=4
	s_or_b32 exec_lo, exec_lo, s63
	s_and_b32 s62, s62, exec_lo
                                        ; implicit-def: $vgpr5
	s_or_saveexec_b32 s16, s16
	v_mov_b32_e32 v1, 0x7f800001
	s_xor_b32 exec_lo, exec_lo, s16
	s_cbranch_execnz .LBB6_1741
.LBB6_882:                              ;   in Loop: Header=BB6_358 Depth=4
	s_or_b32 exec_lo, exec_lo, s16
	s_and_saveexec_b32 s16, s62
	s_cbranch_execz .LBB6_884
.LBB6_883:                              ;   in Loop: Header=BB6_358 Depth=4
	v_bfe_u32 v1, v34, 16, 2
	v_bfe_u32 v5, v34, 18, 5
	v_ffbh_u32_e32 v31, v1
	v_cmp_eq_u32_e32 vcc_lo, 0, v5
	v_min_u32_e32 v31, 32, v31
	v_subrev_nc_u32_e32 v82, 29, v31
	v_sub_nc_u32_e32 v31, 30, v31
	v_lshlrev_b32_sdwa v82, v82, v34 dst_sel:DWORD dst_unused:UNUSED_PAD src0_sel:DWORD src1_sel:WORD_1
	v_cndmask_b32_e32 v5, v5, v31, vcc_lo
	v_lshlrev_b32_e32 v31, 8, v34
	v_and_b32_e32 v82, 3, v82
	v_lshl_add_u32 v5, v5, 23, 0x37800000
	v_and_b32_e32 v31, 0x80000000, v31
	v_cndmask_b32_e32 v1, v1, v82, vcc_lo
	v_lshlrev_b32_e32 v1, 21, v1
	v_or3_b32 v1, v31, v5, v1
.LBB6_884:                              ;   in Loop: Header=BB6_358 Depth=4
	s_or_b32 exec_lo, exec_lo, s16
	v_and_b32_sdwa v31, v26, v63 dst_sel:DWORD dst_unused:UNUSED_PAD src0_sel:WORD_1 src1_sel:DWORD
	s_mov_b32 s62, 0
	s_mov_b32 s16, exec_lo
	v_cmpx_lt_i16_e32 0x7f, v31
	s_xor_b32 s16, exec_lo, s16
	s_cbranch_execz .LBB6_1742
; %bb.885:                              ;   in Loop: Header=BB6_358 Depth=4
	s_mov_b32 s62, -1
	s_mov_b32 s63, exec_lo
	v_cmpx_eq_u16_e32 0x80, v31
; %bb.886:                              ;   in Loop: Header=BB6_358 Depth=4
	s_xor_b32 s62, exec_lo, -1
; %bb.887:                              ;   in Loop: Header=BB6_358 Depth=4
	s_or_b32 exec_lo, exec_lo, s63
	s_and_b32 s62, s62, exec_lo
                                        ; implicit-def: $vgpr31
	s_or_saveexec_b32 s16, s16
	v_mov_b32_e32 v5, 0x7f800001
	s_xor_b32 exec_lo, exec_lo, s16
	s_cbranch_execnz .LBB6_1743
.LBB6_888:                              ;   in Loop: Header=BB6_358 Depth=4
	s_or_b32 exec_lo, exec_lo, s16
	s_and_saveexec_b32 s16, s62
	s_cbranch_execz .LBB6_890
.LBB6_889:                              ;   in Loop: Header=BB6_358 Depth=4
	v_bfe_u32 v5, v26, 16, 2
	v_bfe_u32 v31, v26, 18, 5
	v_ffbh_u32_e32 v82, v5
	v_cmp_eq_u32_e32 vcc_lo, 0, v31
	v_min_u32_e32 v82, 32, v82
	v_subrev_nc_u32_e32 v83, 29, v82
	v_sub_nc_u32_e32 v82, 30, v82
	v_lshlrev_b32_sdwa v83, v83, v26 dst_sel:DWORD dst_unused:UNUSED_PAD src0_sel:DWORD src1_sel:WORD_1
	v_cndmask_b32_e32 v31, v31, v82, vcc_lo
	v_lshlrev_b32_e32 v82, 8, v26
	v_and_b32_e32 v83, 3, v83
	v_lshl_add_u32 v31, v31, 23, 0x37800000
	v_and_b32_e32 v82, 0x80000000, v82
	v_cndmask_b32_e32 v5, v5, v83, vcc_lo
	v_lshlrev_b32_e32 v5, 21, v5
	v_or3_b32 v5, v82, v31, v5
.LBB6_890:                              ;   in Loop: Header=BB6_358 Depth=4
	s_or_b32 exec_lo, exec_lo, s16
	v_mul_f32_e32 v1, v1, v5
	v_and_b32_e32 v5, 0x7f800000, v1
	v_cmp_ne_u32_e32 vcc_lo, 0x7f800000, v5
	v_mov_b32_e32 v5, 0x80
	s_and_saveexec_b32 s62, vcc_lo
	s_cbranch_execz .LBB6_898
; %bb.891:                              ;   in Loop: Header=BB6_358 Depth=4
	v_mov_b32_e32 v5, 0
	s_mov_b32 s63, exec_lo
	v_cmpx_ne_u32_e32 0, v1
	s_cbranch_execz .LBB6_897
; %bb.892:                              ;   in Loop: Header=BB6_358 Depth=4
	v_bfe_u32 v31, v1, 23, 8
	v_and_b32_e32 v5, 0x7fffff, v1
	v_cmp_gt_u32_e64 s16, 0x71, v31
	v_sub_nc_u32_e32 v82, 0x70, v31
	v_cmp_eq_u32_e32 vcc_lo, 0, v31
	v_or_b32_e32 v83, 0x800000, v5
	v_cndmask_b32_e64 v82, 0, v82, s16
	v_cndmask_b32_e32 v5, v83, v5, vcc_lo
	v_cndmask_b32_e64 v82, v82, 0x6f, vcc_lo
	v_lshl_add_u32 v83, 0x200000, v82, -1
	v_lshlrev_b32_e64 v86, v82, 0x100000
	v_and_b32_e32 v83, v83, v5
	v_cmp_eq_u32_e64 s16, v83, v86
	v_lshrrev_b32_e32 v83, v82, v5
	v_add_nc_u32_e32 v5, 0xffffff91, v31
	v_lshrrev_b32_e32 v31, 23, v83
	v_cndmask_b32_e64 v5, v5, 0xffffff92, vcc_lo
	v_xor_b32_e32 v31, 1, v31
	v_add_nc_u32_e32 v5, v82, v5
	v_bfe_u32 v82, v83, 21, 1
	v_add_nc_u32_e32 v82, -1, v82
	v_cndmask_b32_e64 v82, 0, v82, s16
	s_mov_b32 s16, exec_lo
	v_add_nc_u32_e32 v82, v82, v83
	v_and_b32_e32 v82, 0x1fffff, v82
	v_add_nc_u32_e32 v82, v82, v83
                                        ; implicit-def: $vgpr83
	v_cmpx_ne_u32_e64 v5, v31
	s_xor_b32 s16, exec_lo, s16
; %bb.893:                              ;   in Loop: Header=BB6_358 Depth=4
	v_cmp_lt_u32_e32 vcc_lo, 0xffffff, v82
	v_sub_nc_u32_e32 v5, v5, v31
	v_cndmask_b32_e64 v31, 0, 1, vcc_lo
	v_add_co_ci_u32_e64 v83, null, 0, v5, vcc_lo
	v_lshrrev_b32_e32 v82, v31, v82
; %bb.894:                              ;   in Loop: Header=BB6_358 Depth=4
	s_andn2_saveexec_b32 s16, s16
; %bb.895:                              ;   in Loop: Header=BB6_358 Depth=4
	v_bfe_u32 v83, v82, 23, 1
; %bb.896:                              ;   in Loop: Header=BB6_358 Depth=4
	s_or_b32 exec_lo, exec_lo, s16
	v_lshrrev_b32_e32 v5, 21, v82
	v_min_i32_e32 v31, 31, v83
	v_cmp_gt_i32_e32 vcc_lo, 32, v83
	v_and_b32_sdwa v1, v1, v60 dst_sel:DWORD dst_unused:UNUSED_PAD src0_sel:BYTE_3 src1_sel:DWORD
	v_lshlrev_b32_e32 v31, 2, v31
	v_cndmask_b32_e32 v5, 3, v5, vcc_lo
	v_and_b32_e32 v31, 0xfc, v31
	v_or_b32_e32 v82, v83, v5
	v_and_b32_e32 v5, 3, v5
	v_cmp_ne_u32_e32 vcc_lo, 0, v82
	v_or3_b32 v1, v31, v1, v5
	v_cndmask_b32_e32 v5, 0, v1, vcc_lo
.LBB6_897:                              ;   in Loop: Header=BB6_358 Depth=4
	s_or_b32 exec_lo, exec_lo, s63
.LBB6_898:                              ;   in Loop: Header=BB6_358 Depth=4
	s_or_b32 exec_lo, exec_lo, s62
	v_cmp_gt_i16_sdwa s62, v34, v59 src0_sel:BYTE_3 src1_sel:DWORD
	s_mov_b32 s16, 0
	s_and_saveexec_b32 s63, s62
	s_xor_b32 s62, exec_lo, s63
	s_cbranch_execz .LBB6_1744
; %bb.899:                              ;   in Loop: Header=BB6_358 Depth=4
	v_cmp_eq_u16_sdwa s72, v34, v60 src0_sel:BYTE_3 src1_sel:DWORD
	s_mov_b32 s16, -1
	s_and_saveexec_b32 s63, s72
; %bb.900:                              ;   in Loop: Header=BB6_358 Depth=4
	s_xor_b32 s16, exec_lo, -1
; %bb.901:                              ;   in Loop: Header=BB6_358 Depth=4
	s_or_b32 exec_lo, exec_lo, s63
	s_and_b32 s16, s16, exec_lo
	s_or_saveexec_b32 s62, s62
	v_mov_b32_e32 v1, 0x7f800001
	s_xor_b32 exec_lo, exec_lo, s62
	s_cbranch_execnz .LBB6_1745
.LBB6_902:                              ;   in Loop: Header=BB6_358 Depth=4
	s_or_b32 exec_lo, exec_lo, s62
	s_and_saveexec_b32 s62, s16
	s_cbranch_execz .LBB6_904
.LBB6_903:                              ;   in Loop: Header=BB6_358 Depth=4
	v_bfe_u32 v1, v34, 24, 2
	v_bfe_u32 v83, v34, 26, 5
	v_ffbh_u32_e32 v31, v1
	v_cmp_eq_u32_e32 vcc_lo, 0, v83
	v_min_u32_e32 v31, 32, v31
	v_subrev_nc_u32_e32 v82, 29, v31
	v_sub_nc_u32_e32 v31, 30, v31
	v_lshlrev_b32_sdwa v82, v82, v34 dst_sel:DWORD dst_unused:UNUSED_PAD src0_sel:DWORD src1_sel:BYTE_3
	v_cndmask_b32_e32 v31, v83, v31, vcc_lo
	v_and_b32_e32 v34, 0x80000000, v34
	v_and_b32_e32 v82, 3, v82
	v_lshl_add_u32 v31, v31, 23, 0x37800000
	v_cndmask_b32_e32 v1, v1, v82, vcc_lo
	v_lshlrev_b32_e32 v1, 21, v1
	v_or3_b32 v1, v34, v31, v1
.LBB6_904:                              ;   in Loop: Header=BB6_358 Depth=4
	s_or_b32 exec_lo, exec_lo, s62
	v_cmp_gt_i16_sdwa s62, v26, v59 src0_sel:BYTE_3 src1_sel:DWORD
	s_mov_b32 s16, 0
	s_and_saveexec_b32 s63, s62
	s_xor_b32 s62, exec_lo, s63
	s_cbranch_execz .LBB6_1746
; %bb.905:                              ;   in Loop: Header=BB6_358 Depth=4
	v_cmp_eq_u16_sdwa s72, v26, v60 src0_sel:BYTE_3 src1_sel:DWORD
	s_mov_b32 s16, -1
	s_and_saveexec_b32 s63, s72
; %bb.906:                              ;   in Loop: Header=BB6_358 Depth=4
	s_xor_b32 s16, exec_lo, -1
; %bb.907:                              ;   in Loop: Header=BB6_358 Depth=4
	s_or_b32 exec_lo, exec_lo, s63
	s_and_b32 s16, s16, exec_lo
	s_or_saveexec_b32 s62, s62
	v_mov_b32_e32 v31, 0x7f800001
	s_xor_b32 exec_lo, exec_lo, s62
	s_cbranch_execnz .LBB6_1747
.LBB6_908:                              ;   in Loop: Header=BB6_358 Depth=4
	s_or_b32 exec_lo, exec_lo, s62
	s_and_saveexec_b32 s62, s16
	s_cbranch_execz .LBB6_910
.LBB6_909:                              ;   in Loop: Header=BB6_358 Depth=4
	v_bfe_u32 v31, v26, 24, 2
	v_bfe_u32 v83, v26, 26, 5
	v_ffbh_u32_e32 v34, v31
	v_cmp_eq_u32_e32 vcc_lo, 0, v83
	v_min_u32_e32 v34, 32, v34
	v_subrev_nc_u32_e32 v82, 29, v34
	v_sub_nc_u32_e32 v34, 30, v34
	v_lshlrev_b32_sdwa v82, v82, v26 dst_sel:DWORD dst_unused:UNUSED_PAD src0_sel:DWORD src1_sel:BYTE_3
	v_cndmask_b32_e32 v34, v83, v34, vcc_lo
	v_and_b32_e32 v26, 0x80000000, v26
	v_and_b32_e32 v82, 3, v82
	v_lshl_add_u32 v34, v34, 23, 0x37800000
	v_cndmask_b32_e32 v31, v31, v82, vcc_lo
	v_lshlrev_b32_e32 v31, 21, v31
	v_or3_b32 v31, v26, v34, v31
.LBB6_910:                              ;   in Loop: Header=BB6_358 Depth=4
	s_or_b32 exec_lo, exec_lo, s62
	v_mul_f32_e32 v1, v1, v31
	v_and_b32_e32 v26, 0x7f800000, v1
	v_cmp_ne_u32_e32 vcc_lo, 0x7f800000, v26
	v_mov_b32_e32 v26, 0x8000
	s_and_saveexec_b32 s62, vcc_lo
	s_cbranch_execz .LBB6_918
; %bb.911:                              ;   in Loop: Header=BB6_358 Depth=4
	v_mov_b32_e32 v26, 0
	s_mov_b32 s63, exec_lo
	v_cmpx_ne_u32_e32 0, v1
	s_cbranch_execz .LBB6_917
; %bb.912:                              ;   in Loop: Header=BB6_358 Depth=4
	v_bfe_u32 v31, v1, 23, 8
	v_and_b32_e32 v26, 0x7fffff, v1
	v_cmp_gt_u32_e64 s16, 0x71, v31
	v_sub_nc_u32_e32 v34, 0x70, v31
	v_cmp_eq_u32_e32 vcc_lo, 0, v31
	v_or_b32_e32 v82, 0x800000, v26
	v_cndmask_b32_e64 v34, 0, v34, s16
	v_cndmask_b32_e32 v26, v82, v26, vcc_lo
	v_cndmask_b32_e64 v34, v34, 0x6f, vcc_lo
	v_lshl_add_u32 v82, 0x200000, v34, -1
	v_lshlrev_b32_e64 v83, v34, 0x100000
	v_and_b32_e32 v82, v82, v26
	v_cmp_eq_u32_e64 s16, v82, v83
	v_lshrrev_b32_e32 v82, v34, v26
	v_add_nc_u32_e32 v26, 0xffffff91, v31
	v_lshrrev_b32_e32 v31, 23, v82
	v_cndmask_b32_e64 v26, v26, 0xffffff92, vcc_lo
	v_xor_b32_e32 v31, 1, v31
	v_add_nc_u32_e32 v26, v34, v26
	v_bfe_u32 v34, v82, 21, 1
	v_add_nc_u32_e32 v34, -1, v34
	v_cndmask_b32_e64 v34, 0, v34, s16
	s_mov_b32 s16, exec_lo
	v_add_nc_u32_e32 v34, v34, v82
	v_and_b32_e32 v34, 0x1fffff, v34
	v_add_nc_u32_e32 v34, v34, v82
                                        ; implicit-def: $vgpr82
	v_cmpx_ne_u32_e64 v26, v31
	s_xor_b32 s16, exec_lo, s16
; %bb.913:                              ;   in Loop: Header=BB6_358 Depth=4
	v_cmp_lt_u32_e32 vcc_lo, 0xffffff, v34
	v_sub_nc_u32_e32 v26, v26, v31
	v_cndmask_b32_e64 v31, 0, 1, vcc_lo
	v_add_co_ci_u32_e64 v82, null, 0, v26, vcc_lo
	v_lshrrev_b32_e32 v34, v31, v34
; %bb.914:                              ;   in Loop: Header=BB6_358 Depth=4
	s_andn2_saveexec_b32 s16, s16
; %bb.915:                              ;   in Loop: Header=BB6_358 Depth=4
	v_bfe_u32 v82, v34, 23, 1
; %bb.916:                              ;   in Loop: Header=BB6_358 Depth=4
	s_or_b32 exec_lo, exec_lo, s16
	v_lshrrev_b32_e32 v26, 21, v34
	v_min_i32_e32 v31, 31, v82
	v_cmp_gt_i32_e32 vcc_lo, 32, v82
	v_and_b32_sdwa v1, v1, v60 dst_sel:DWORD dst_unused:UNUSED_PAD src0_sel:BYTE_3 src1_sel:DWORD
	v_lshlrev_b32_e32 v31, 2, v31
	v_cndmask_b32_e32 v26, 3, v26, vcc_lo
	v_and_b32_e32 v31, 0xfc, v31
	v_or_b32_e32 v34, v82, v26
	v_and_b32_e32 v26, 3, v26
	v_cmp_ne_u32_e32 vcc_lo, 0, v34
	v_or3_b32 v1, v1, v31, v26
	v_lshlrev_b32_e32 v1, 8, v1
	v_cndmask_b32_e32 v26, 0, v1, vcc_lo
.LBB6_917:                              ;   in Loop: Header=BB6_358 Depth=4
	s_or_b32 exec_lo, exec_lo, s63
.LBB6_918:                              ;   in Loop: Header=BB6_358 Depth=4
	s_or_b32 exec_lo, exec_lo, s62
	v_cmp_gt_i16_sdwa s16, v35, v59 src0_sel:BYTE_0 src1_sel:DWORD
	s_mov_b32 s62, 0
	s_and_saveexec_b32 s63, s16
	s_xor_b32 s16, exec_lo, s63
	s_cbranch_execz .LBB6_1748
; %bb.919:                              ;   in Loop: Header=BB6_358 Depth=4
	v_cmp_eq_u16_sdwa s72, v35, v60 src0_sel:BYTE_0 src1_sel:DWORD
	s_mov_b32 s62, -1
	s_and_saveexec_b32 s63, s72
; %bb.920:                              ;   in Loop: Header=BB6_358 Depth=4
	s_xor_b32 s62, exec_lo, -1
; %bb.921:                              ;   in Loop: Header=BB6_358 Depth=4
	s_or_b32 exec_lo, exec_lo, s63
	s_and_b32 s62, s62, exec_lo
	s_or_saveexec_b32 s16, s16
	v_mov_b32_e32 v1, 0x7f800001
	s_xor_b32 exec_lo, exec_lo, s16
	s_cbranch_execnz .LBB6_1749
.LBB6_922:                              ;   in Loop: Header=BB6_358 Depth=4
	s_or_b32 exec_lo, exec_lo, s16
	s_and_saveexec_b32 s16, s62
	s_cbranch_execz .LBB6_924
.LBB6_923:                              ;   in Loop: Header=BB6_358 Depth=4
	v_and_b32_e32 v1, 3, v35
	v_bfe_u32 v31, v35, 2, 5
	v_ffbh_u32_e32 v34, v1
	v_cmp_eq_u32_e32 vcc_lo, 0, v31
	v_min_u32_e32 v34, 32, v34
	v_subrev_nc_u32_e32 v82, 29, v34
	v_sub_nc_u32_e32 v34, 30, v34
	v_lshlrev_b32_e32 v82, v82, v35
	v_cndmask_b32_e32 v31, v31, v34, vcc_lo
	v_lshlrev_b32_e32 v34, 24, v35
	v_and_b32_e32 v82, 3, v82
	v_lshl_add_u32 v31, v31, 23, 0x37800000
	v_and_b32_e32 v34, 0x80000000, v34
	v_cndmask_b32_e32 v1, v1, v82, vcc_lo
	v_lshlrev_b32_e32 v1, 21, v1
	v_or3_b32 v1, v34, v31, v1
.LBB6_924:                              ;   in Loop: Header=BB6_358 Depth=4
	s_or_b32 exec_lo, exec_lo, s16
	v_cmp_gt_i16_sdwa s16, v27, v59 src0_sel:BYTE_0 src1_sel:DWORD
	s_mov_b32 s62, 0
	s_and_saveexec_b32 s63, s16
	s_xor_b32 s16, exec_lo, s63
	s_cbranch_execz .LBB6_1750
; %bb.925:                              ;   in Loop: Header=BB6_358 Depth=4
	v_cmp_eq_u16_sdwa s72, v27, v60 src0_sel:BYTE_0 src1_sel:DWORD
	s_mov_b32 s62, -1
	s_and_saveexec_b32 s63, s72
; %bb.926:                              ;   in Loop: Header=BB6_358 Depth=4
	s_xor_b32 s62, exec_lo, -1
; %bb.927:                              ;   in Loop: Header=BB6_358 Depth=4
	s_or_b32 exec_lo, exec_lo, s63
	s_and_b32 s62, s62, exec_lo
	s_or_saveexec_b32 s16, s16
	v_mov_b32_e32 v31, 0x7f800001
	s_xor_b32 exec_lo, exec_lo, s16
	s_cbranch_execnz .LBB6_1751
.LBB6_928:                              ;   in Loop: Header=BB6_358 Depth=4
	s_or_b32 exec_lo, exec_lo, s16
	s_and_saveexec_b32 s16, s62
	s_cbranch_execz .LBB6_930
.LBB6_929:                              ;   in Loop: Header=BB6_358 Depth=4
	v_and_b32_e32 v31, 3, v27
	v_bfe_u32 v34, v27, 2, 5
	v_ffbh_u32_e32 v82, v31
	v_cmp_eq_u32_e32 vcc_lo, 0, v34
	v_min_u32_e32 v82, 32, v82
	v_subrev_nc_u32_e32 v83, 29, v82
	v_sub_nc_u32_e32 v82, 30, v82
	v_lshlrev_b32_e32 v83, v83, v27
	v_cndmask_b32_e32 v34, v34, v82, vcc_lo
	v_lshlrev_b32_e32 v82, 24, v27
	v_and_b32_e32 v83, 3, v83
	v_lshl_add_u32 v34, v34, 23, 0x37800000
	v_and_b32_e32 v82, 0x80000000, v82
	v_cndmask_b32_e32 v31, v31, v83, vcc_lo
	v_lshlrev_b32_e32 v31, 21, v31
	v_or3_b32 v31, v82, v34, v31
.LBB6_930:                              ;   in Loop: Header=BB6_358 Depth=4
	s_or_b32 exec_lo, exec_lo, s16
	v_mul_f32_e32 v1, v1, v31
	v_mov_b32_e32 v34, 0x80
	s_mov_b32 s62, exec_lo
	v_and_b32_e32 v31, 0x7f800000, v1
	v_cmpx_ne_u32_e32 0x7f800000, v31
	s_cbranch_execz .LBB6_938
; %bb.931:                              ;   in Loop: Header=BB6_358 Depth=4
	v_mov_b32_e32 v34, 0
	s_mov_b32 s63, exec_lo
	v_cmpx_ne_u32_e32 0, v1
	s_cbranch_execz .LBB6_937
; %bb.932:                              ;   in Loop: Header=BB6_358 Depth=4
	v_bfe_u32 v34, v1, 23, 8
	v_and_b32_e32 v31, 0x7fffff, v1
	v_cmp_gt_u32_e64 s16, 0x71, v34
	v_sub_nc_u32_e32 v82, 0x70, v34
	v_cmp_eq_u32_e32 vcc_lo, 0, v34
	v_or_b32_e32 v83, 0x800000, v31
	v_cndmask_b32_e64 v82, 0, v82, s16
	v_cndmask_b32_e32 v31, v83, v31, vcc_lo
	v_cndmask_b32_e64 v82, v82, 0x6f, vcc_lo
	v_lshl_add_u32 v83, 0x200000, v82, -1
	v_lshlrev_b32_e64 v86, v82, 0x100000
	v_and_b32_e32 v83, v83, v31
	v_cmp_eq_u32_e64 s16, v83, v86
	v_lshrrev_b32_e32 v83, v82, v31
	v_add_nc_u32_e32 v31, 0xffffff91, v34
	v_lshrrev_b32_e32 v34, 23, v83
	v_cndmask_b32_e64 v31, v31, 0xffffff92, vcc_lo
	v_xor_b32_e32 v34, 1, v34
	v_add_nc_u32_e32 v31, v82, v31
	v_bfe_u32 v82, v83, 21, 1
	v_add_nc_u32_e32 v82, -1, v82
	v_cndmask_b32_e64 v82, 0, v82, s16
	s_mov_b32 s16, exec_lo
	v_add_nc_u32_e32 v82, v82, v83
	v_and_b32_e32 v82, 0x1fffff, v82
	v_add_nc_u32_e32 v82, v82, v83
                                        ; implicit-def: $vgpr83
	v_cmpx_ne_u32_e64 v31, v34
	s_xor_b32 s16, exec_lo, s16
; %bb.933:                              ;   in Loop: Header=BB6_358 Depth=4
	v_cmp_lt_u32_e32 vcc_lo, 0xffffff, v82
	v_sub_nc_u32_e32 v31, v31, v34
	v_cndmask_b32_e64 v34, 0, 1, vcc_lo
	v_add_co_ci_u32_e64 v83, null, 0, v31, vcc_lo
	v_lshrrev_b32_e32 v82, v34, v82
; %bb.934:                              ;   in Loop: Header=BB6_358 Depth=4
	s_andn2_saveexec_b32 s16, s16
; %bb.935:                              ;   in Loop: Header=BB6_358 Depth=4
	v_bfe_u32 v83, v82, 23, 1
; %bb.936:                              ;   in Loop: Header=BB6_358 Depth=4
	s_or_b32 exec_lo, exec_lo, s16
	v_lshrrev_b32_e32 v31, 21, v82
	v_min_i32_e32 v34, 31, v83
	v_cmp_gt_i32_e32 vcc_lo, 32, v83
	v_and_b32_sdwa v1, v1, v60 dst_sel:DWORD dst_unused:UNUSED_PAD src0_sel:BYTE_3 src1_sel:DWORD
	v_lshlrev_b32_e32 v34, 2, v34
	v_cndmask_b32_e32 v31, 3, v31, vcc_lo
	v_and_b32_e32 v34, 0xfc, v34
	v_or_b32_e32 v82, v83, v31
	v_and_b32_e32 v31, 3, v31
	v_cmp_ne_u32_e32 vcc_lo, 0, v82
	v_or3_b32 v1, v34, v1, v31
	v_cndmask_b32_e32 v34, 0, v1, vcc_lo
.LBB6_937:                              ;   in Loop: Header=BB6_358 Depth=4
	s_or_b32 exec_lo, exec_lo, s63
.LBB6_938:                              ;   in Loop: Header=BB6_358 Depth=4
	s_or_b32 exec_lo, exec_lo, s62
	v_cmp_gt_i16_sdwa s62, v35, v59 src0_sel:BYTE_1 src1_sel:DWORD
	s_mov_b32 s16, 0
	s_and_saveexec_b32 s63, s62
	s_xor_b32 s62, exec_lo, s63
	s_cbranch_execz .LBB6_1752
; %bb.939:                              ;   in Loop: Header=BB6_358 Depth=4
	v_cmp_eq_u16_sdwa s72, v35, v60 src0_sel:BYTE_1 src1_sel:DWORD
	s_mov_b32 s16, -1
	s_and_saveexec_b32 s63, s72
; %bb.940:                              ;   in Loop: Header=BB6_358 Depth=4
	s_xor_b32 s16, exec_lo, -1
; %bb.941:                              ;   in Loop: Header=BB6_358 Depth=4
	s_or_b32 exec_lo, exec_lo, s63
	s_and_b32 s16, s16, exec_lo
	s_or_saveexec_b32 s62, s62
	v_mov_b32_e32 v1, 0x7f800001
	s_xor_b32 exec_lo, exec_lo, s62
	s_cbranch_execnz .LBB6_1753
.LBB6_942:                              ;   in Loop: Header=BB6_358 Depth=4
	s_or_b32 exec_lo, exec_lo, s62
	s_and_saveexec_b32 s62, s16
	s_cbranch_execz .LBB6_944
.LBB6_943:                              ;   in Loop: Header=BB6_358 Depth=4
	v_and_b32_sdwa v1, v61, v35 dst_sel:DWORD dst_unused:UNUSED_PAD src0_sel:DWORD src1_sel:BYTE_1
	v_and_b32_e32 v31, 3, v1
	v_bfe_u32 v86, v1, 2, 5
	v_ffbh_u32_e32 v82, v31
	v_cmp_eq_u32_e32 vcc_lo, 0, v86
	v_min_u32_e32 v82, 32, v82
	v_subrev_nc_u32_e32 v83, 29, v82
	v_sub_nc_u32_e32 v82, 30, v82
	v_lshlrev_b32_e32 v1, v83, v1
	v_lshlrev_b32_sdwa v83, v62, v35 dst_sel:DWORD dst_unused:UNUSED_PAD src0_sel:DWORD src1_sel:BYTE_1
	v_cndmask_b32_e32 v82, v86, v82, vcc_lo
	v_and_b32_e32 v1, 3, v1
	v_lshl_add_u32 v82, v82, 23, 0x37800000
	v_cndmask_b32_e32 v1, v31, v1, vcc_lo
	v_and_b32_e32 v31, 0x80000000, v83
	v_lshlrev_b32_e32 v1, 21, v1
	v_or3_b32 v1, v31, v82, v1
.LBB6_944:                              ;   in Loop: Header=BB6_358 Depth=4
	s_or_b32 exec_lo, exec_lo, s62
	v_cmp_gt_i16_sdwa s62, v27, v59 src0_sel:BYTE_1 src1_sel:DWORD
	s_mov_b32 s16, 0
	s_and_saveexec_b32 s63, s62
	s_xor_b32 s62, exec_lo, s63
	s_cbranch_execz .LBB6_1754
; %bb.945:                              ;   in Loop: Header=BB6_358 Depth=4
	v_cmp_eq_u16_sdwa s72, v27, v60 src0_sel:BYTE_1 src1_sel:DWORD
	s_mov_b32 s16, -1
	s_and_saveexec_b32 s63, s72
; %bb.946:                              ;   in Loop: Header=BB6_358 Depth=4
	s_xor_b32 s16, exec_lo, -1
; %bb.947:                              ;   in Loop: Header=BB6_358 Depth=4
	s_or_b32 exec_lo, exec_lo, s63
	s_and_b32 s16, s16, exec_lo
	s_or_saveexec_b32 s62, s62
	v_mov_b32_e32 v31, 0x7f800001
	s_xor_b32 exec_lo, exec_lo, s62
	s_cbranch_execnz .LBB6_1755
.LBB6_948:                              ;   in Loop: Header=BB6_358 Depth=4
	s_or_b32 exec_lo, exec_lo, s62
	s_and_saveexec_b32 s62, s16
	s_cbranch_execz .LBB6_950
.LBB6_949:                              ;   in Loop: Header=BB6_358 Depth=4
	v_and_b32_sdwa v31, v61, v27 dst_sel:DWORD dst_unused:UNUSED_PAD src0_sel:DWORD src1_sel:BYTE_1
	v_and_b32_e32 v82, 3, v31
	v_bfe_u32 v87, v31, 2, 5
	v_ffbh_u32_e32 v83, v82
	v_cmp_eq_u32_e32 vcc_lo, 0, v87
	v_min_u32_e32 v83, 32, v83
	v_subrev_nc_u32_e32 v86, 29, v83
	v_sub_nc_u32_e32 v83, 30, v83
	v_lshlrev_b32_e32 v31, v86, v31
	v_lshlrev_b32_sdwa v86, v62, v27 dst_sel:DWORD dst_unused:UNUSED_PAD src0_sel:DWORD src1_sel:BYTE_1
	v_cndmask_b32_e32 v83, v87, v83, vcc_lo
	v_and_b32_e32 v31, 3, v31
	v_lshl_add_u32 v83, v83, 23, 0x37800000
	v_cndmask_b32_e32 v31, v82, v31, vcc_lo
	v_and_b32_e32 v82, 0x80000000, v86
	v_lshlrev_b32_e32 v31, 21, v31
	v_or3_b32 v31, v82, v83, v31
.LBB6_950:                              ;   in Loop: Header=BB6_358 Depth=4
	s_or_b32 exec_lo, exec_lo, s62
	v_mul_f32_e32 v1, v1, v31
	v_mov_b32_e32 v82, 0x8000
	s_mov_b32 s62, exec_lo
	v_and_b32_e32 v31, 0x7f800000, v1
	v_cmpx_ne_u32_e32 0x7f800000, v31
	s_cbranch_execz .LBB6_958
; %bb.951:                              ;   in Loop: Header=BB6_358 Depth=4
	v_mov_b32_e32 v82, 0
	s_mov_b32 s63, exec_lo
	v_cmpx_ne_u32_e32 0, v1
	s_cbranch_execz .LBB6_957
; %bb.952:                              ;   in Loop: Header=BB6_358 Depth=4
	v_bfe_u32 v82, v1, 23, 8
	v_and_b32_e32 v31, 0x7fffff, v1
	v_cmp_gt_u32_e64 s16, 0x71, v82
	v_sub_nc_u32_e32 v83, 0x70, v82
	v_cmp_eq_u32_e32 vcc_lo, 0, v82
	v_or_b32_e32 v86, 0x800000, v31
	v_cndmask_b32_e64 v83, 0, v83, s16
	v_cndmask_b32_e32 v31, v86, v31, vcc_lo
	v_cndmask_b32_e64 v83, v83, 0x6f, vcc_lo
	v_lshl_add_u32 v86, 0x200000, v83, -1
	v_lshlrev_b32_e64 v87, v83, 0x100000
	v_and_b32_e32 v86, v86, v31
	v_cmp_eq_u32_e64 s16, v86, v87
	v_lshrrev_b32_e32 v86, v83, v31
	v_add_nc_u32_e32 v31, 0xffffff91, v82
	v_lshrrev_b32_e32 v82, 23, v86
	v_cndmask_b32_e64 v31, v31, 0xffffff92, vcc_lo
	v_xor_b32_e32 v82, 1, v82
	v_add_nc_u32_e32 v31, v83, v31
	v_bfe_u32 v83, v86, 21, 1
	v_add_nc_u32_e32 v83, -1, v83
	v_cndmask_b32_e64 v83, 0, v83, s16
	s_mov_b32 s16, exec_lo
	v_add_nc_u32_e32 v83, v83, v86
	v_and_b32_e32 v83, 0x1fffff, v83
	v_add_nc_u32_e32 v83, v83, v86
                                        ; implicit-def: $vgpr86
	v_cmpx_ne_u32_e64 v31, v82
	s_xor_b32 s16, exec_lo, s16
; %bb.953:                              ;   in Loop: Header=BB6_358 Depth=4
	v_cmp_lt_u32_e32 vcc_lo, 0xffffff, v83
	v_sub_nc_u32_e32 v31, v31, v82
	v_cndmask_b32_e64 v82, 0, 1, vcc_lo
	v_add_co_ci_u32_e64 v86, null, 0, v31, vcc_lo
	v_lshrrev_b32_e32 v83, v82, v83
; %bb.954:                              ;   in Loop: Header=BB6_358 Depth=4
	s_andn2_saveexec_b32 s16, s16
; %bb.955:                              ;   in Loop: Header=BB6_358 Depth=4
	v_bfe_u32 v86, v83, 23, 1
; %bb.956:                              ;   in Loop: Header=BB6_358 Depth=4
	s_or_b32 exec_lo, exec_lo, s16
	v_lshrrev_b32_e32 v31, 21, v83
	v_min_i32_e32 v82, 31, v86
	v_cmp_gt_i32_e32 vcc_lo, 32, v86
	v_and_b32_sdwa v1, v1, v60 dst_sel:DWORD dst_unused:UNUSED_PAD src0_sel:BYTE_3 src1_sel:DWORD
	v_lshlrev_b32_e32 v82, 2, v82
	v_cndmask_b32_e32 v31, 3, v31, vcc_lo
	v_and_b32_e32 v82, 0xfc, v82
	v_or_b32_e32 v83, v86, v31
	v_and_b32_e32 v31, 3, v31
	v_cmp_ne_u32_e32 vcc_lo, 0, v83
	v_or3_b32 v1, v1, v82, v31
	v_lshlrev_b32_e32 v1, 8, v1
	v_cndmask_b32_e32 v82, 0, v1, vcc_lo
.LBB6_957:                              ;   in Loop: Header=BB6_358 Depth=4
	s_or_b32 exec_lo, exec_lo, s63
.LBB6_958:                              ;   in Loop: Header=BB6_358 Depth=4
	s_or_b32 exec_lo, exec_lo, s62
	v_and_b32_sdwa v31, v35, v63 dst_sel:DWORD dst_unused:UNUSED_PAD src0_sel:WORD_1 src1_sel:DWORD
	s_mov_b32 s62, 0
	s_mov_b32 s16, exec_lo
	v_cmpx_lt_i16_e32 0x7f, v31
	s_xor_b32 s16, exec_lo, s16
	s_cbranch_execz .LBB6_1756
; %bb.959:                              ;   in Loop: Header=BB6_358 Depth=4
	s_mov_b32 s62, -1
	s_mov_b32 s63, exec_lo
	v_cmpx_eq_u16_e32 0x80, v31
; %bb.960:                              ;   in Loop: Header=BB6_358 Depth=4
	s_xor_b32 s62, exec_lo, -1
; %bb.961:                              ;   in Loop: Header=BB6_358 Depth=4
	s_or_b32 exec_lo, exec_lo, s63
	s_and_b32 s62, s62, exec_lo
                                        ; implicit-def: $vgpr31
	s_or_saveexec_b32 s16, s16
	v_mov_b32_e32 v1, 0x7f800001
	s_xor_b32 exec_lo, exec_lo, s16
	s_cbranch_execnz .LBB6_1757
.LBB6_962:                              ;   in Loop: Header=BB6_358 Depth=4
	s_or_b32 exec_lo, exec_lo, s16
	s_and_saveexec_b32 s16, s62
	s_cbranch_execz .LBB6_964
.LBB6_963:                              ;   in Loop: Header=BB6_358 Depth=4
	v_bfe_u32 v1, v35, 16, 2
	v_bfe_u32 v31, v35, 18, 5
	v_ffbh_u32_e32 v83, v1
	v_cmp_eq_u32_e32 vcc_lo, 0, v31
	v_min_u32_e32 v83, 32, v83
	v_subrev_nc_u32_e32 v86, 29, v83
	v_sub_nc_u32_e32 v83, 30, v83
	v_lshlrev_b32_sdwa v86, v86, v35 dst_sel:DWORD dst_unused:UNUSED_PAD src0_sel:DWORD src1_sel:WORD_1
	v_cndmask_b32_e32 v31, v31, v83, vcc_lo
	v_lshlrev_b32_e32 v83, 8, v35
	v_and_b32_e32 v86, 3, v86
	v_lshl_add_u32 v31, v31, 23, 0x37800000
	v_and_b32_e32 v83, 0x80000000, v83
	v_cndmask_b32_e32 v1, v1, v86, vcc_lo
	v_lshlrev_b32_e32 v1, 21, v1
	v_or3_b32 v1, v83, v31, v1
.LBB6_964:                              ;   in Loop: Header=BB6_358 Depth=4
	s_or_b32 exec_lo, exec_lo, s16
	v_and_b32_sdwa v83, v27, v63 dst_sel:DWORD dst_unused:UNUSED_PAD src0_sel:WORD_1 src1_sel:DWORD
	s_mov_b32 s62, 0
	s_mov_b32 s16, exec_lo
	v_cmpx_lt_i16_e32 0x7f, v83
	s_xor_b32 s16, exec_lo, s16
	s_cbranch_execz .LBB6_1758
; %bb.965:                              ;   in Loop: Header=BB6_358 Depth=4
	s_mov_b32 s62, -1
	s_mov_b32 s63, exec_lo
	v_cmpx_eq_u16_e32 0x80, v83
; %bb.966:                              ;   in Loop: Header=BB6_358 Depth=4
	s_xor_b32 s62, exec_lo, -1
; %bb.967:                              ;   in Loop: Header=BB6_358 Depth=4
	s_or_b32 exec_lo, exec_lo, s63
	s_and_b32 s62, s62, exec_lo
                                        ; implicit-def: $vgpr83
	s_or_saveexec_b32 s16, s16
	v_mov_b32_e32 v31, 0x7f800001
	s_xor_b32 exec_lo, exec_lo, s16
	s_cbranch_execnz .LBB6_1759
.LBB6_968:                              ;   in Loop: Header=BB6_358 Depth=4
	s_or_b32 exec_lo, exec_lo, s16
	s_and_saveexec_b32 s16, s62
	s_cbranch_execz .LBB6_970
.LBB6_969:                              ;   in Loop: Header=BB6_358 Depth=4
	v_bfe_u32 v31, v27, 16, 2
	v_bfe_u32 v83, v27, 18, 5
	v_ffbh_u32_e32 v86, v31
	v_cmp_eq_u32_e32 vcc_lo, 0, v83
	v_min_u32_e32 v86, 32, v86
	v_subrev_nc_u32_e32 v87, 29, v86
	v_sub_nc_u32_e32 v86, 30, v86
	v_lshlrev_b32_sdwa v87, v87, v27 dst_sel:DWORD dst_unused:UNUSED_PAD src0_sel:DWORD src1_sel:WORD_1
	v_cndmask_b32_e32 v83, v83, v86, vcc_lo
	v_lshlrev_b32_e32 v86, 8, v27
	v_and_b32_e32 v87, 3, v87
	v_lshl_add_u32 v83, v83, 23, 0x37800000
	v_and_b32_e32 v86, 0x80000000, v86
	v_cndmask_b32_e32 v31, v31, v87, vcc_lo
	v_lshlrev_b32_e32 v31, 21, v31
	v_or3_b32 v31, v86, v83, v31
.LBB6_970:                              ;   in Loop: Header=BB6_358 Depth=4
	s_or_b32 exec_lo, exec_lo, s16
	v_mul_f32_e32 v1, v1, v31
	v_mov_b32_e32 v83, 0x80
	s_mov_b32 s62, exec_lo
	v_and_b32_e32 v31, 0x7f800000, v1
	v_cmpx_ne_u32_e32 0x7f800000, v31
	s_cbranch_execz .LBB6_978
; %bb.971:                              ;   in Loop: Header=BB6_358 Depth=4
	v_mov_b32_e32 v83, 0
	s_mov_b32 s63, exec_lo
	v_cmpx_ne_u32_e32 0, v1
	s_cbranch_execz .LBB6_977
; %bb.972:                              ;   in Loop: Header=BB6_358 Depth=4
	v_bfe_u32 v83, v1, 23, 8
	v_and_b32_e32 v31, 0x7fffff, v1
	v_cmp_gt_u32_e64 s16, 0x71, v83
	v_sub_nc_u32_e32 v86, 0x70, v83
	v_cmp_eq_u32_e32 vcc_lo, 0, v83
	v_or_b32_e32 v87, 0x800000, v31
	v_cndmask_b32_e64 v86, 0, v86, s16
	v_cndmask_b32_e32 v31, v87, v31, vcc_lo
	v_cndmask_b32_e64 v86, v86, 0x6f, vcc_lo
	v_lshl_add_u32 v87, 0x200000, v86, -1
	v_lshlrev_b32_e64 v98, v86, 0x100000
	v_and_b32_e32 v87, v87, v31
	v_cmp_eq_u32_e64 s16, v87, v98
	v_lshrrev_b32_e32 v87, v86, v31
	v_add_nc_u32_e32 v31, 0xffffff91, v83
	v_lshrrev_b32_e32 v83, 23, v87
	v_cndmask_b32_e64 v31, v31, 0xffffff92, vcc_lo
	v_xor_b32_e32 v83, 1, v83
	v_add_nc_u32_e32 v31, v86, v31
	v_bfe_u32 v86, v87, 21, 1
	v_add_nc_u32_e32 v86, -1, v86
	v_cndmask_b32_e64 v86, 0, v86, s16
	s_mov_b32 s16, exec_lo
	v_add_nc_u32_e32 v86, v86, v87
	v_and_b32_e32 v86, 0x1fffff, v86
	v_add_nc_u32_e32 v86, v86, v87
                                        ; implicit-def: $vgpr87
	v_cmpx_ne_u32_e64 v31, v83
	s_xor_b32 s16, exec_lo, s16
; %bb.973:                              ;   in Loop: Header=BB6_358 Depth=4
	v_cmp_lt_u32_e32 vcc_lo, 0xffffff, v86
	v_sub_nc_u32_e32 v31, v31, v83
	v_cndmask_b32_e64 v83, 0, 1, vcc_lo
	v_add_co_ci_u32_e64 v87, null, 0, v31, vcc_lo
	v_lshrrev_b32_e32 v86, v83, v86
; %bb.974:                              ;   in Loop: Header=BB6_358 Depth=4
	s_andn2_saveexec_b32 s16, s16
; %bb.975:                              ;   in Loop: Header=BB6_358 Depth=4
	v_bfe_u32 v87, v86, 23, 1
; %bb.976:                              ;   in Loop: Header=BB6_358 Depth=4
	s_or_b32 exec_lo, exec_lo, s16
	v_lshrrev_b32_e32 v31, 21, v86
	v_min_i32_e32 v83, 31, v87
	v_cmp_gt_i32_e32 vcc_lo, 32, v87
	v_and_b32_sdwa v1, v1, v60 dst_sel:DWORD dst_unused:UNUSED_PAD src0_sel:BYTE_3 src1_sel:DWORD
	v_lshlrev_b32_e32 v83, 2, v83
	v_cndmask_b32_e32 v31, 3, v31, vcc_lo
	v_and_b32_e32 v83, 0xfc, v83
	v_or_b32_e32 v86, v87, v31
	v_and_b32_e32 v31, 3, v31
	v_cmp_ne_u32_e32 vcc_lo, 0, v86
	v_or3_b32 v1, v83, v1, v31
	v_cndmask_b32_e32 v83, 0, v1, vcc_lo
.LBB6_977:                              ;   in Loop: Header=BB6_358 Depth=4
	s_or_b32 exec_lo, exec_lo, s63
.LBB6_978:                              ;   in Loop: Header=BB6_358 Depth=4
	s_or_b32 exec_lo, exec_lo, s62
	v_cmp_gt_i16_sdwa s62, v35, v59 src0_sel:BYTE_3 src1_sel:DWORD
	s_mov_b32 s16, 0
	s_and_saveexec_b32 s63, s62
	s_xor_b32 s62, exec_lo, s63
	s_cbranch_execz .LBB6_1760
; %bb.979:                              ;   in Loop: Header=BB6_358 Depth=4
	v_cmp_eq_u16_sdwa s72, v35, v60 src0_sel:BYTE_3 src1_sel:DWORD
	s_mov_b32 s16, -1
	s_and_saveexec_b32 s63, s72
; %bb.980:                              ;   in Loop: Header=BB6_358 Depth=4
	s_xor_b32 s16, exec_lo, -1
; %bb.981:                              ;   in Loop: Header=BB6_358 Depth=4
	s_or_b32 exec_lo, exec_lo, s63
	s_and_b32 s16, s16, exec_lo
	s_or_saveexec_b32 s62, s62
	v_mov_b32_e32 v1, 0x7f800001
	s_xor_b32 exec_lo, exec_lo, s62
	s_cbranch_execnz .LBB6_1761
.LBB6_982:                              ;   in Loop: Header=BB6_358 Depth=4
	s_or_b32 exec_lo, exec_lo, s62
	s_and_saveexec_b32 s62, s16
	s_cbranch_execz .LBB6_984
.LBB6_983:                              ;   in Loop: Header=BB6_358 Depth=4
	v_bfe_u32 v1, v35, 24, 2
	v_bfe_u32 v87, v35, 26, 5
	v_ffbh_u32_e32 v31, v1
	v_cmp_eq_u32_e32 vcc_lo, 0, v87
	v_min_u32_e32 v31, 32, v31
	v_subrev_nc_u32_e32 v86, 29, v31
	v_sub_nc_u32_e32 v31, 30, v31
	v_lshlrev_b32_sdwa v86, v86, v35 dst_sel:DWORD dst_unused:UNUSED_PAD src0_sel:DWORD src1_sel:BYTE_3
	v_cndmask_b32_e32 v31, v87, v31, vcc_lo
	v_and_b32_e32 v35, 0x80000000, v35
	v_and_b32_e32 v86, 3, v86
	v_lshl_add_u32 v31, v31, 23, 0x37800000
	v_cndmask_b32_e32 v1, v1, v86, vcc_lo
	v_lshlrev_b32_e32 v1, 21, v1
	v_or3_b32 v1, v35, v31, v1
.LBB6_984:                              ;   in Loop: Header=BB6_358 Depth=4
	s_or_b32 exec_lo, exec_lo, s62
	v_cmp_gt_i16_sdwa s62, v27, v59 src0_sel:BYTE_3 src1_sel:DWORD
	s_mov_b32 s16, 0
	s_and_saveexec_b32 s63, s62
	s_xor_b32 s62, exec_lo, s63
	s_cbranch_execz .LBB6_1762
; %bb.985:                              ;   in Loop: Header=BB6_358 Depth=4
	v_cmp_eq_u16_sdwa s72, v27, v60 src0_sel:BYTE_3 src1_sel:DWORD
	s_mov_b32 s16, -1
	s_and_saveexec_b32 s63, s72
; %bb.986:                              ;   in Loop: Header=BB6_358 Depth=4
	s_xor_b32 s16, exec_lo, -1
; %bb.987:                              ;   in Loop: Header=BB6_358 Depth=4
	s_or_b32 exec_lo, exec_lo, s63
	s_and_b32 s16, s16, exec_lo
	s_or_saveexec_b32 s62, s62
	v_mov_b32_e32 v31, 0x7f800001
	s_xor_b32 exec_lo, exec_lo, s62
	s_cbranch_execnz .LBB6_1763
.LBB6_988:                              ;   in Loop: Header=BB6_358 Depth=4
	s_or_b32 exec_lo, exec_lo, s62
	s_and_saveexec_b32 s62, s16
	s_cbranch_execz .LBB6_990
.LBB6_989:                              ;   in Loop: Header=BB6_358 Depth=4
	v_bfe_u32 v31, v27, 24, 2
	v_bfe_u32 v87, v27, 26, 5
	v_ffbh_u32_e32 v35, v31
	v_cmp_eq_u32_e32 vcc_lo, 0, v87
	v_min_u32_e32 v35, 32, v35
	v_subrev_nc_u32_e32 v86, 29, v35
	v_sub_nc_u32_e32 v35, 30, v35
	v_lshlrev_b32_sdwa v86, v86, v27 dst_sel:DWORD dst_unused:UNUSED_PAD src0_sel:DWORD src1_sel:BYTE_3
	v_cndmask_b32_e32 v35, v87, v35, vcc_lo
	v_and_b32_e32 v27, 0x80000000, v27
	v_and_b32_e32 v86, 3, v86
	v_lshl_add_u32 v35, v35, 23, 0x37800000
	v_cndmask_b32_e32 v31, v31, v86, vcc_lo
	v_lshlrev_b32_e32 v31, 21, v31
	v_or3_b32 v31, v27, v35, v31
.LBB6_990:                              ;   in Loop: Header=BB6_358 Depth=4
	s_or_b32 exec_lo, exec_lo, s62
	v_mul_f32_e32 v1, v1, v31
	v_and_b32_e32 v27, 0x7f800000, v1
	v_cmp_ne_u32_e32 vcc_lo, 0x7f800000, v27
	v_mov_b32_e32 v27, 0x8000
	s_and_saveexec_b32 s62, vcc_lo
	s_cbranch_execz .LBB6_998
; %bb.991:                              ;   in Loop: Header=BB6_358 Depth=4
	v_mov_b32_e32 v27, 0
	s_mov_b32 s63, exec_lo
	v_cmpx_ne_u32_e32 0, v1
	s_cbranch_execz .LBB6_997
; %bb.992:                              ;   in Loop: Header=BB6_358 Depth=4
	v_bfe_u32 v31, v1, 23, 8
	v_and_b32_e32 v27, 0x7fffff, v1
	v_cmp_gt_u32_e64 s16, 0x71, v31
	v_sub_nc_u32_e32 v35, 0x70, v31
	v_cmp_eq_u32_e32 vcc_lo, 0, v31
	v_or_b32_e32 v86, 0x800000, v27
	v_cndmask_b32_e64 v35, 0, v35, s16
	v_cndmask_b32_e32 v27, v86, v27, vcc_lo
	v_cndmask_b32_e64 v35, v35, 0x6f, vcc_lo
	v_lshl_add_u32 v86, 0x200000, v35, -1
	v_lshlrev_b32_e64 v87, v35, 0x100000
	v_and_b32_e32 v86, v86, v27
	v_cmp_eq_u32_e64 s16, v86, v87
	v_lshrrev_b32_e32 v86, v35, v27
	v_add_nc_u32_e32 v27, 0xffffff91, v31
	v_lshrrev_b32_e32 v31, 23, v86
	v_cndmask_b32_e64 v27, v27, 0xffffff92, vcc_lo
	v_xor_b32_e32 v31, 1, v31
	v_add_nc_u32_e32 v27, v35, v27
	v_bfe_u32 v35, v86, 21, 1
	v_add_nc_u32_e32 v35, -1, v35
	v_cndmask_b32_e64 v35, 0, v35, s16
	s_mov_b32 s16, exec_lo
	v_add_nc_u32_e32 v35, v35, v86
	v_and_b32_e32 v35, 0x1fffff, v35
	v_add_nc_u32_e32 v35, v35, v86
                                        ; implicit-def: $vgpr86
	v_cmpx_ne_u32_e64 v27, v31
	s_xor_b32 s16, exec_lo, s16
; %bb.993:                              ;   in Loop: Header=BB6_358 Depth=4
	v_cmp_lt_u32_e32 vcc_lo, 0xffffff, v35
	v_sub_nc_u32_e32 v27, v27, v31
	v_cndmask_b32_e64 v31, 0, 1, vcc_lo
	v_add_co_ci_u32_e64 v86, null, 0, v27, vcc_lo
	v_lshrrev_b32_e32 v35, v31, v35
; %bb.994:                              ;   in Loop: Header=BB6_358 Depth=4
	s_andn2_saveexec_b32 s16, s16
; %bb.995:                              ;   in Loop: Header=BB6_358 Depth=4
	v_bfe_u32 v86, v35, 23, 1
; %bb.996:                              ;   in Loop: Header=BB6_358 Depth=4
	s_or_b32 exec_lo, exec_lo, s16
	v_lshrrev_b32_e32 v27, 21, v35
	v_min_i32_e32 v31, 31, v86
	v_cmp_gt_i32_e32 vcc_lo, 32, v86
	v_and_b32_sdwa v1, v1, v60 dst_sel:DWORD dst_unused:UNUSED_PAD src0_sel:BYTE_3 src1_sel:DWORD
	v_lshlrev_b32_e32 v31, 2, v31
	v_cndmask_b32_e32 v27, 3, v27, vcc_lo
	v_and_b32_e32 v31, 0xfc, v31
	v_or_b32_e32 v35, v86, v27
	v_and_b32_e32 v27, 3, v27
	v_cmp_ne_u32_e32 vcc_lo, 0, v35
	v_or3_b32 v1, v1, v31, v27
	v_lshlrev_b32_e32 v1, 8, v1
	v_cndmask_b32_e32 v27, 0, v1, vcc_lo
.LBB6_997:                              ;   in Loop: Header=BB6_358 Depth=4
	s_or_b32 exec_lo, exec_lo, s63
.LBB6_998:                              ;   in Loop: Header=BB6_358 Depth=4
	s_or_b32 exec_lo, exec_lo, s62
	v_cmp_gt_i16_sdwa s16, v20, v59 src0_sel:BYTE_0 src1_sel:DWORD
	s_mov_b32 s62, 0
	s_and_saveexec_b32 s63, s16
	s_xor_b32 s16, exec_lo, s63
	s_cbranch_execz .LBB6_1764
; %bb.999:                              ;   in Loop: Header=BB6_358 Depth=4
	v_cmp_eq_u16_sdwa s72, v20, v60 src0_sel:BYTE_0 src1_sel:DWORD
	s_mov_b32 s62, -1
	s_and_saveexec_b32 s63, s72
; %bb.1000:                             ;   in Loop: Header=BB6_358 Depth=4
	s_xor_b32 s62, exec_lo, -1
; %bb.1001:                             ;   in Loop: Header=BB6_358 Depth=4
	s_or_b32 exec_lo, exec_lo, s63
	s_and_b32 s62, s62, exec_lo
	s_or_saveexec_b32 s16, s16
	v_mov_b32_e32 v1, 0x7f800001
	s_xor_b32 exec_lo, exec_lo, s16
	s_cbranch_execnz .LBB6_1765
.LBB6_1002:                             ;   in Loop: Header=BB6_358 Depth=4
	s_or_b32 exec_lo, exec_lo, s16
	s_and_saveexec_b32 s16, s62
	s_cbranch_execz .LBB6_1004
.LBB6_1003:                             ;   in Loop: Header=BB6_358 Depth=4
	v_and_b32_e32 v1, 3, v20
	v_bfe_u32 v31, v20, 2, 5
	v_ffbh_u32_e32 v35, v1
	v_cmp_eq_u32_e32 vcc_lo, 0, v31
	v_min_u32_e32 v35, 32, v35
	v_subrev_nc_u32_e32 v86, 29, v35
	v_sub_nc_u32_e32 v35, 30, v35
	v_lshlrev_b32_e32 v86, v86, v20
	v_cndmask_b32_e32 v31, v31, v35, vcc_lo
	v_lshlrev_b32_e32 v35, 24, v20
	v_and_b32_e32 v86, 3, v86
	v_lshl_add_u32 v31, v31, 23, 0x37800000
	v_and_b32_e32 v35, 0x80000000, v35
	v_cndmask_b32_e32 v1, v1, v86, vcc_lo
	v_lshlrev_b32_e32 v1, 21, v1
	v_or3_b32 v1, v35, v31, v1
.LBB6_1004:                             ;   in Loop: Header=BB6_358 Depth=4
	s_or_b32 exec_lo, exec_lo, s16
	s_waitcnt vmcnt(1)
	v_cmp_gt_i16_sdwa s16, v16, v59 src0_sel:BYTE_0 src1_sel:DWORD
	s_mov_b32 s62, 0
	s_and_saveexec_b32 s63, s16
	s_xor_b32 s16, exec_lo, s63
	s_cbranch_execz .LBB6_1766
; %bb.1005:                             ;   in Loop: Header=BB6_358 Depth=4
	v_cmp_eq_u16_sdwa s72, v16, v60 src0_sel:BYTE_0 src1_sel:DWORD
	s_mov_b32 s62, -1
	s_and_saveexec_b32 s63, s72
; %bb.1006:                             ;   in Loop: Header=BB6_358 Depth=4
	s_xor_b32 s62, exec_lo, -1
; %bb.1007:                             ;   in Loop: Header=BB6_358 Depth=4
	s_or_b32 exec_lo, exec_lo, s63
	s_and_b32 s62, s62, exec_lo
	s_or_saveexec_b32 s16, s16
	v_mov_b32_e32 v31, 0x7f800001
	s_xor_b32 exec_lo, exec_lo, s16
	s_cbranch_execnz .LBB6_1767
.LBB6_1008:                             ;   in Loop: Header=BB6_358 Depth=4
	s_or_b32 exec_lo, exec_lo, s16
	s_and_saveexec_b32 s16, s62
	s_cbranch_execz .LBB6_1010
.LBB6_1009:                             ;   in Loop: Header=BB6_358 Depth=4
	v_and_b32_e32 v31, 3, v16
	v_bfe_u32 v35, v16, 2, 5
	v_ffbh_u32_e32 v86, v31
	v_cmp_eq_u32_e32 vcc_lo, 0, v35
	v_min_u32_e32 v86, 32, v86
	v_subrev_nc_u32_e32 v87, 29, v86
	v_sub_nc_u32_e32 v86, 30, v86
	v_lshlrev_b32_e32 v87, v87, v16
	v_cndmask_b32_e32 v35, v35, v86, vcc_lo
	v_lshlrev_b32_e32 v86, 24, v16
	v_and_b32_e32 v87, 3, v87
	v_lshl_add_u32 v35, v35, 23, 0x37800000
	v_and_b32_e32 v86, 0x80000000, v86
	v_cndmask_b32_e32 v31, v31, v87, vcc_lo
	v_lshlrev_b32_e32 v31, 21, v31
	v_or3_b32 v31, v86, v35, v31
.LBB6_1010:                             ;   in Loop: Header=BB6_358 Depth=4
	s_or_b32 exec_lo, exec_lo, s16
	v_mul_f32_e32 v1, v1, v31
	v_mov_b32_e32 v35, 0x80
	s_mov_b32 s62, exec_lo
	v_and_b32_e32 v31, 0x7f800000, v1
	v_cmpx_ne_u32_e32 0x7f800000, v31
	s_cbranch_execz .LBB6_1018
; %bb.1011:                             ;   in Loop: Header=BB6_358 Depth=4
	v_mov_b32_e32 v35, 0
	s_mov_b32 s63, exec_lo
	v_cmpx_ne_u32_e32 0, v1
	s_cbranch_execz .LBB6_1017
; %bb.1012:                             ;   in Loop: Header=BB6_358 Depth=4
	v_bfe_u32 v35, v1, 23, 8
	v_and_b32_e32 v31, 0x7fffff, v1
	v_cmp_gt_u32_e64 s16, 0x71, v35
	v_sub_nc_u32_e32 v86, 0x70, v35
	v_cmp_eq_u32_e32 vcc_lo, 0, v35
	v_or_b32_e32 v87, 0x800000, v31
	v_cndmask_b32_e64 v86, 0, v86, s16
	v_cndmask_b32_e32 v31, v87, v31, vcc_lo
	v_cndmask_b32_e64 v86, v86, 0x6f, vcc_lo
	v_lshl_add_u32 v87, 0x200000, v86, -1
	v_lshlrev_b32_e64 v98, v86, 0x100000
	v_and_b32_e32 v87, v87, v31
	v_cmp_eq_u32_e64 s16, v87, v98
	v_lshrrev_b32_e32 v87, v86, v31
	v_add_nc_u32_e32 v31, 0xffffff91, v35
	v_lshrrev_b32_e32 v35, 23, v87
	v_cndmask_b32_e64 v31, v31, 0xffffff92, vcc_lo
	v_xor_b32_e32 v35, 1, v35
	v_add_nc_u32_e32 v31, v86, v31
	v_bfe_u32 v86, v87, 21, 1
	v_add_nc_u32_e32 v86, -1, v86
	v_cndmask_b32_e64 v86, 0, v86, s16
	s_mov_b32 s16, exec_lo
	v_add_nc_u32_e32 v86, v86, v87
	v_and_b32_e32 v86, 0x1fffff, v86
	v_add_nc_u32_e32 v86, v86, v87
                                        ; implicit-def: $vgpr87
	v_cmpx_ne_u32_e64 v31, v35
	s_xor_b32 s16, exec_lo, s16
; %bb.1013:                             ;   in Loop: Header=BB6_358 Depth=4
	v_cmp_lt_u32_e32 vcc_lo, 0xffffff, v86
	v_sub_nc_u32_e32 v31, v31, v35
	v_cndmask_b32_e64 v35, 0, 1, vcc_lo
	v_add_co_ci_u32_e64 v87, null, 0, v31, vcc_lo
	v_lshrrev_b32_e32 v86, v35, v86
; %bb.1014:                             ;   in Loop: Header=BB6_358 Depth=4
	s_andn2_saveexec_b32 s16, s16
; %bb.1015:                             ;   in Loop: Header=BB6_358 Depth=4
	v_bfe_u32 v87, v86, 23, 1
; %bb.1016:                             ;   in Loop: Header=BB6_358 Depth=4
	s_or_b32 exec_lo, exec_lo, s16
	v_lshrrev_b32_e32 v31, 21, v86
	v_min_i32_e32 v35, 31, v87
	v_cmp_gt_i32_e32 vcc_lo, 32, v87
	v_and_b32_sdwa v1, v1, v60 dst_sel:DWORD dst_unused:UNUSED_PAD src0_sel:BYTE_3 src1_sel:DWORD
	v_lshlrev_b32_e32 v35, 2, v35
	v_cndmask_b32_e32 v31, 3, v31, vcc_lo
	v_and_b32_e32 v35, 0xfc, v35
	v_or_b32_e32 v86, v87, v31
	v_and_b32_e32 v31, 3, v31
	v_cmp_ne_u32_e32 vcc_lo, 0, v86
	v_or3_b32 v1, v35, v1, v31
	v_cndmask_b32_e32 v35, 0, v1, vcc_lo
.LBB6_1017:                             ;   in Loop: Header=BB6_358 Depth=4
	s_or_b32 exec_lo, exec_lo, s63
.LBB6_1018:                             ;   in Loop: Header=BB6_358 Depth=4
	s_or_b32 exec_lo, exec_lo, s62
	v_cmp_gt_i16_sdwa s62, v20, v59 src0_sel:BYTE_1 src1_sel:DWORD
	s_mov_b32 s16, 0
	s_and_saveexec_b32 s63, s62
	s_xor_b32 s62, exec_lo, s63
	s_cbranch_execz .LBB6_1768
; %bb.1019:                             ;   in Loop: Header=BB6_358 Depth=4
	v_cmp_eq_u16_sdwa s72, v20, v60 src0_sel:BYTE_1 src1_sel:DWORD
	s_mov_b32 s16, -1
	s_and_saveexec_b32 s63, s72
; %bb.1020:                             ;   in Loop: Header=BB6_358 Depth=4
	s_xor_b32 s16, exec_lo, -1
; %bb.1021:                             ;   in Loop: Header=BB6_358 Depth=4
	s_or_b32 exec_lo, exec_lo, s63
	s_and_b32 s16, s16, exec_lo
	s_or_saveexec_b32 s62, s62
	v_mov_b32_e32 v1, 0x7f800001
	s_xor_b32 exec_lo, exec_lo, s62
	s_cbranch_execnz .LBB6_1769
.LBB6_1022:                             ;   in Loop: Header=BB6_358 Depth=4
	s_or_b32 exec_lo, exec_lo, s62
	s_and_saveexec_b32 s62, s16
	s_cbranch_execz .LBB6_1024
.LBB6_1023:                             ;   in Loop: Header=BB6_358 Depth=4
	v_and_b32_sdwa v1, v61, v20 dst_sel:DWORD dst_unused:UNUSED_PAD src0_sel:DWORD src1_sel:BYTE_1
	v_and_b32_e32 v31, 3, v1
	v_bfe_u32 v98, v1, 2, 5
	v_ffbh_u32_e32 v86, v31
	v_cmp_eq_u32_e32 vcc_lo, 0, v98
	v_min_u32_e32 v86, 32, v86
	v_subrev_nc_u32_e32 v87, 29, v86
	v_sub_nc_u32_e32 v86, 30, v86
	v_lshlrev_b32_e32 v1, v87, v1
	v_lshlrev_b32_sdwa v87, v62, v20 dst_sel:DWORD dst_unused:UNUSED_PAD src0_sel:DWORD src1_sel:BYTE_1
	v_cndmask_b32_e32 v86, v98, v86, vcc_lo
	v_and_b32_e32 v1, 3, v1
	v_lshl_add_u32 v86, v86, 23, 0x37800000
	v_cndmask_b32_e32 v1, v31, v1, vcc_lo
	v_and_b32_e32 v31, 0x80000000, v87
	v_lshlrev_b32_e32 v1, 21, v1
	v_or3_b32 v1, v31, v86, v1
.LBB6_1024:                             ;   in Loop: Header=BB6_358 Depth=4
	s_or_b32 exec_lo, exec_lo, s62
	v_cmp_gt_i16_sdwa s62, v16, v59 src0_sel:BYTE_1 src1_sel:DWORD
	s_mov_b32 s16, 0
	s_and_saveexec_b32 s63, s62
	s_xor_b32 s62, exec_lo, s63
	s_cbranch_execz .LBB6_1770
; %bb.1025:                             ;   in Loop: Header=BB6_358 Depth=4
	v_cmp_eq_u16_sdwa s72, v16, v60 src0_sel:BYTE_1 src1_sel:DWORD
	s_mov_b32 s16, -1
	s_and_saveexec_b32 s63, s72
; %bb.1026:                             ;   in Loop: Header=BB6_358 Depth=4
	s_xor_b32 s16, exec_lo, -1
; %bb.1027:                             ;   in Loop: Header=BB6_358 Depth=4
	s_or_b32 exec_lo, exec_lo, s63
	s_and_b32 s16, s16, exec_lo
	s_or_saveexec_b32 s62, s62
	v_mov_b32_e32 v31, 0x7f800001
	s_xor_b32 exec_lo, exec_lo, s62
	s_cbranch_execnz .LBB6_1771
.LBB6_1028:                             ;   in Loop: Header=BB6_358 Depth=4
	s_or_b32 exec_lo, exec_lo, s62
	s_and_saveexec_b32 s62, s16
	s_cbranch_execz .LBB6_1030
.LBB6_1029:                             ;   in Loop: Header=BB6_358 Depth=4
	v_and_b32_sdwa v31, v61, v16 dst_sel:DWORD dst_unused:UNUSED_PAD src0_sel:DWORD src1_sel:BYTE_1
	v_and_b32_e32 v86, 3, v31
	v_bfe_u32 v99, v31, 2, 5
	v_ffbh_u32_e32 v87, v86
	v_cmp_eq_u32_e32 vcc_lo, 0, v99
	v_min_u32_e32 v87, 32, v87
	v_subrev_nc_u32_e32 v98, 29, v87
	v_sub_nc_u32_e32 v87, 30, v87
	v_lshlrev_b32_e32 v31, v98, v31
	v_lshlrev_b32_sdwa v98, v62, v16 dst_sel:DWORD dst_unused:UNUSED_PAD src0_sel:DWORD src1_sel:BYTE_1
	v_cndmask_b32_e32 v87, v99, v87, vcc_lo
	v_and_b32_e32 v31, 3, v31
	v_lshl_add_u32 v87, v87, 23, 0x37800000
	v_cndmask_b32_e32 v31, v86, v31, vcc_lo
	v_and_b32_e32 v86, 0x80000000, v98
	v_lshlrev_b32_e32 v31, 21, v31
	v_or3_b32 v31, v86, v87, v31
.LBB6_1030:                             ;   in Loop: Header=BB6_358 Depth=4
	s_or_b32 exec_lo, exec_lo, s62
	v_mul_f32_e32 v1, v1, v31
	v_and_b32_e32 v31, 0x7f800000, v1
	v_cmp_ne_u32_e32 vcc_lo, 0x7f800000, v31
	v_mov_b32_e32 v31, 0x8000
	s_and_saveexec_b32 s62, vcc_lo
	s_cbranch_execz .LBB6_1038
; %bb.1031:                             ;   in Loop: Header=BB6_358 Depth=4
	v_mov_b32_e32 v31, 0
	s_mov_b32 s63, exec_lo
	v_cmpx_ne_u32_e32 0, v1
	s_cbranch_execz .LBB6_1037
; %bb.1032:                             ;   in Loop: Header=BB6_358 Depth=4
	v_bfe_u32 v86, v1, 23, 8
	v_and_b32_e32 v31, 0x7fffff, v1
	v_cmp_gt_u32_e64 s16, 0x71, v86
	v_sub_nc_u32_e32 v87, 0x70, v86
	v_cmp_eq_u32_e32 vcc_lo, 0, v86
	v_or_b32_e32 v98, 0x800000, v31
	v_cndmask_b32_e64 v87, 0, v87, s16
	v_cndmask_b32_e32 v31, v98, v31, vcc_lo
	v_cndmask_b32_e64 v87, v87, 0x6f, vcc_lo
	v_lshl_add_u32 v98, 0x200000, v87, -1
	v_lshlrev_b32_e64 v99, v87, 0x100000
	v_and_b32_e32 v98, v98, v31
	v_cmp_eq_u32_e64 s16, v98, v99
	v_lshrrev_b32_e32 v98, v87, v31
	v_add_nc_u32_e32 v31, 0xffffff91, v86
	v_lshrrev_b32_e32 v86, 23, v98
	v_cndmask_b32_e64 v31, v31, 0xffffff92, vcc_lo
	v_xor_b32_e32 v86, 1, v86
	v_add_nc_u32_e32 v31, v87, v31
	v_bfe_u32 v87, v98, 21, 1
	v_add_nc_u32_e32 v87, -1, v87
	v_cndmask_b32_e64 v87, 0, v87, s16
	s_mov_b32 s16, exec_lo
	v_add_nc_u32_e32 v87, v87, v98
	v_and_b32_e32 v87, 0x1fffff, v87
	v_add_nc_u32_e32 v87, v87, v98
                                        ; implicit-def: $vgpr98
	v_cmpx_ne_u32_e64 v31, v86
	s_xor_b32 s16, exec_lo, s16
; %bb.1033:                             ;   in Loop: Header=BB6_358 Depth=4
	v_cmp_lt_u32_e32 vcc_lo, 0xffffff, v87
	v_sub_nc_u32_e32 v31, v31, v86
	v_cndmask_b32_e64 v86, 0, 1, vcc_lo
	v_add_co_ci_u32_e64 v98, null, 0, v31, vcc_lo
	v_lshrrev_b32_e32 v87, v86, v87
; %bb.1034:                             ;   in Loop: Header=BB6_358 Depth=4
	s_andn2_saveexec_b32 s16, s16
; %bb.1035:                             ;   in Loop: Header=BB6_358 Depth=4
	v_bfe_u32 v98, v87, 23, 1
; %bb.1036:                             ;   in Loop: Header=BB6_358 Depth=4
	s_or_b32 exec_lo, exec_lo, s16
	v_lshrrev_b32_e32 v31, 21, v87
	v_min_i32_e32 v86, 31, v98
	v_cmp_gt_i32_e32 vcc_lo, 32, v98
	v_and_b32_sdwa v1, v1, v60 dst_sel:DWORD dst_unused:UNUSED_PAD src0_sel:BYTE_3 src1_sel:DWORD
	v_lshlrev_b32_e32 v86, 2, v86
	v_cndmask_b32_e32 v31, 3, v31, vcc_lo
	v_and_b32_e32 v86, 0xfc, v86
	v_or_b32_e32 v87, v98, v31
	v_and_b32_e32 v31, 3, v31
	v_cmp_ne_u32_e32 vcc_lo, 0, v87
	v_or3_b32 v1, v1, v86, v31
	v_lshlrev_b32_e32 v1, 8, v1
	v_cndmask_b32_e32 v31, 0, v1, vcc_lo
.LBB6_1037:                             ;   in Loop: Header=BB6_358 Depth=4
	s_or_b32 exec_lo, exec_lo, s63
.LBB6_1038:                             ;   in Loop: Header=BB6_358 Depth=4
	s_or_b32 exec_lo, exec_lo, s62
	v_and_b32_sdwa v86, v20, v63 dst_sel:DWORD dst_unused:UNUSED_PAD src0_sel:WORD_1 src1_sel:DWORD
	s_mov_b32 s62, 0
	s_mov_b32 s16, exec_lo
	v_cmpx_lt_i16_e32 0x7f, v86
	s_xor_b32 s16, exec_lo, s16
	s_cbranch_execz .LBB6_1772
; %bb.1039:                             ;   in Loop: Header=BB6_358 Depth=4
	s_mov_b32 s62, -1
	s_mov_b32 s63, exec_lo
	v_cmpx_eq_u16_e32 0x80, v86
; %bb.1040:                             ;   in Loop: Header=BB6_358 Depth=4
	s_xor_b32 s62, exec_lo, -1
; %bb.1041:                             ;   in Loop: Header=BB6_358 Depth=4
	s_or_b32 exec_lo, exec_lo, s63
	s_and_b32 s62, s62, exec_lo
                                        ; implicit-def: $vgpr86
	s_or_saveexec_b32 s16, s16
	v_mov_b32_e32 v1, 0x7f800001
	s_xor_b32 exec_lo, exec_lo, s16
	s_cbranch_execnz .LBB6_1773
.LBB6_1042:                             ;   in Loop: Header=BB6_358 Depth=4
	s_or_b32 exec_lo, exec_lo, s16
	s_and_saveexec_b32 s16, s62
	s_cbranch_execz .LBB6_1044
.LBB6_1043:                             ;   in Loop: Header=BB6_358 Depth=4
	v_bfe_u32 v1, v20, 16, 2
	v_bfe_u32 v86, v20, 18, 5
	v_ffbh_u32_e32 v87, v1
	v_cmp_eq_u32_e32 vcc_lo, 0, v86
	v_min_u32_e32 v87, 32, v87
	v_subrev_nc_u32_e32 v98, 29, v87
	v_sub_nc_u32_e32 v87, 30, v87
	v_lshlrev_b32_sdwa v98, v98, v20 dst_sel:DWORD dst_unused:UNUSED_PAD src0_sel:DWORD src1_sel:WORD_1
	v_cndmask_b32_e32 v86, v86, v87, vcc_lo
	v_lshlrev_b32_e32 v87, 8, v20
	v_and_b32_e32 v98, 3, v98
	v_lshl_add_u32 v86, v86, 23, 0x37800000
	v_and_b32_e32 v87, 0x80000000, v87
	v_cndmask_b32_e32 v1, v1, v98, vcc_lo
	v_lshlrev_b32_e32 v1, 21, v1
	v_or3_b32 v1, v87, v86, v1
.LBB6_1044:                             ;   in Loop: Header=BB6_358 Depth=4
	s_or_b32 exec_lo, exec_lo, s16
	v_and_b32_sdwa v87, v16, v63 dst_sel:DWORD dst_unused:UNUSED_PAD src0_sel:WORD_1 src1_sel:DWORD
	s_mov_b32 s62, 0
	s_mov_b32 s16, exec_lo
	v_cmpx_lt_i16_e32 0x7f, v87
	s_xor_b32 s16, exec_lo, s16
	s_cbranch_execz .LBB6_1774
; %bb.1045:                             ;   in Loop: Header=BB6_358 Depth=4
	s_mov_b32 s62, -1
	s_mov_b32 s63, exec_lo
	v_cmpx_eq_u16_e32 0x80, v87
; %bb.1046:                             ;   in Loop: Header=BB6_358 Depth=4
	s_xor_b32 s62, exec_lo, -1
; %bb.1047:                             ;   in Loop: Header=BB6_358 Depth=4
	s_or_b32 exec_lo, exec_lo, s63
	s_and_b32 s62, s62, exec_lo
                                        ; implicit-def: $vgpr87
	s_or_saveexec_b32 s16, s16
	v_mov_b32_e32 v86, 0x7f800001
	s_xor_b32 exec_lo, exec_lo, s16
	s_cbranch_execnz .LBB6_1775
.LBB6_1048:                             ;   in Loop: Header=BB6_358 Depth=4
	s_or_b32 exec_lo, exec_lo, s16
	s_and_saveexec_b32 s16, s62
	s_cbranch_execz .LBB6_1050
.LBB6_1049:                             ;   in Loop: Header=BB6_358 Depth=4
	v_bfe_u32 v86, v16, 16, 2
	v_bfe_u32 v87, v16, 18, 5
	v_ffbh_u32_e32 v98, v86
	v_cmp_eq_u32_e32 vcc_lo, 0, v87
	v_min_u32_e32 v98, 32, v98
	v_subrev_nc_u32_e32 v99, 29, v98
	v_sub_nc_u32_e32 v98, 30, v98
	v_lshlrev_b32_sdwa v99, v99, v16 dst_sel:DWORD dst_unused:UNUSED_PAD src0_sel:DWORD src1_sel:WORD_1
	v_cndmask_b32_e32 v87, v87, v98, vcc_lo
	v_lshlrev_b32_e32 v98, 8, v16
	v_and_b32_e32 v99, 3, v99
	v_lshl_add_u32 v87, v87, 23, 0x37800000
	v_and_b32_e32 v98, 0x80000000, v98
	v_cndmask_b32_e32 v86, v86, v99, vcc_lo
	v_lshlrev_b32_e32 v86, 21, v86
	v_or3_b32 v86, v98, v87, v86
.LBB6_1050:                             ;   in Loop: Header=BB6_358 Depth=4
	s_or_b32 exec_lo, exec_lo, s16
	v_mul_f32_e32 v98, v1, v86
	v_and_b32_e32 v1, 0x7f800000, v98
	v_cmp_ne_u32_e32 vcc_lo, 0x7f800000, v1
	v_mov_b32_e32 v1, 0x80
	s_and_saveexec_b32 s62, vcc_lo
	s_cbranch_execz .LBB6_1058
; %bb.1051:                             ;   in Loop: Header=BB6_358 Depth=4
	v_mov_b32_e32 v1, 0
	s_mov_b32 s63, exec_lo
	v_cmpx_ne_u32_e32 0, v98
	s_cbranch_execz .LBB6_1057
; %bb.1052:                             ;   in Loop: Header=BB6_358 Depth=4
	v_bfe_u32 v86, v98, 23, 8
	v_and_b32_e32 v1, 0x7fffff, v98
	v_cmp_gt_u32_e64 s16, 0x71, v86
	v_sub_nc_u32_e32 v87, 0x70, v86
	v_cmp_eq_u32_e32 vcc_lo, 0, v86
	v_or_b32_e32 v99, 0x800000, v1
	v_cndmask_b32_e64 v87, 0, v87, s16
	v_cndmask_b32_e32 v1, v99, v1, vcc_lo
	v_cndmask_b32_e64 v87, v87, 0x6f, vcc_lo
	v_lshl_add_u32 v99, 0x200000, v87, -1
	v_lshlrev_b32_e64 v46, v87, 0x100000
	v_and_b32_e32 v99, v99, v1
	v_cmp_eq_u32_e64 s16, v99, v46
	v_lshrrev_b32_e32 v99, v87, v1
	v_add_nc_u32_e32 v1, 0xffffff91, v86
	v_lshrrev_b32_e32 v86, 23, v99
	v_cndmask_b32_e64 v1, v1, 0xffffff92, vcc_lo
	v_xor_b32_e32 v86, 1, v86
	v_add_nc_u32_e32 v1, v87, v1
	v_bfe_u32 v87, v99, 21, 1
	v_add_nc_u32_e32 v87, -1, v87
	v_cndmask_b32_e64 v87, 0, v87, s16
	s_mov_b32 s16, exec_lo
	v_add_nc_u32_e32 v87, v87, v99
	v_and_b32_e32 v87, 0x1fffff, v87
	v_add_nc_u32_e32 v87, v87, v99
                                        ; implicit-def: $vgpr99
	v_cmpx_ne_u32_e64 v1, v86
	s_xor_b32 s16, exec_lo, s16
; %bb.1053:                             ;   in Loop: Header=BB6_358 Depth=4
	v_cmp_lt_u32_e32 vcc_lo, 0xffffff, v87
	v_sub_nc_u32_e32 v1, v1, v86
	v_cndmask_b32_e64 v86, 0, 1, vcc_lo
	v_add_co_ci_u32_e64 v99, null, 0, v1, vcc_lo
	v_lshrrev_b32_e32 v87, v86, v87
; %bb.1054:                             ;   in Loop: Header=BB6_358 Depth=4
	s_andn2_saveexec_b32 s16, s16
; %bb.1055:                             ;   in Loop: Header=BB6_358 Depth=4
	v_bfe_u32 v99, v87, 23, 1
; %bb.1056:                             ;   in Loop: Header=BB6_358 Depth=4
	s_or_b32 exec_lo, exec_lo, s16
	v_lshrrev_b32_e32 v86, 21, v87
	v_min_i32_e32 v87, 31, v99
	v_cmp_gt_i32_e32 vcc_lo, 32, v99
	v_and_b32_sdwa v1, v98, v60 dst_sel:DWORD dst_unused:UNUSED_PAD src0_sel:BYTE_3 src1_sel:DWORD
	v_lshlrev_b32_e32 v87, 2, v87
	v_cndmask_b32_e32 v86, 3, v86, vcc_lo
	v_and_b32_e32 v87, 0xfc, v87
	v_or_b32_e32 v98, v99, v86
	v_and_b32_e32 v86, 3, v86
	v_cmp_ne_u32_e32 vcc_lo, 0, v98
	v_or3_b32 v1, v87, v1, v86
	v_cndmask_b32_e32 v1, 0, v1, vcc_lo
.LBB6_1057:                             ;   in Loop: Header=BB6_358 Depth=4
	s_or_b32 exec_lo, exec_lo, s63
.LBB6_1058:                             ;   in Loop: Header=BB6_358 Depth=4
	s_or_b32 exec_lo, exec_lo, s62
	v_cmp_gt_i16_sdwa s62, v20, v59 src0_sel:BYTE_3 src1_sel:DWORD
	s_mov_b32 s16, 0
	s_and_saveexec_b32 s63, s62
	s_xor_b32 s62, exec_lo, s63
	s_cbranch_execz .LBB6_1776
; %bb.1059:                             ;   in Loop: Header=BB6_358 Depth=4
	v_cmp_eq_u16_sdwa s72, v20, v60 src0_sel:BYTE_3 src1_sel:DWORD
	s_mov_b32 s16, -1
	s_and_saveexec_b32 s63, s72
; %bb.1060:                             ;   in Loop: Header=BB6_358 Depth=4
	s_xor_b32 s16, exec_lo, -1
; %bb.1061:                             ;   in Loop: Header=BB6_358 Depth=4
	s_or_b32 exec_lo, exec_lo, s63
	s_and_b32 s16, s16, exec_lo
	s_or_saveexec_b32 s62, s62
	v_mov_b32_e32 v86, 0x7f800001
	s_xor_b32 exec_lo, exec_lo, s62
	s_cbranch_execnz .LBB6_1777
.LBB6_1062:                             ;   in Loop: Header=BB6_358 Depth=4
	s_or_b32 exec_lo, exec_lo, s62
	s_and_saveexec_b32 s62, s16
	s_cbranch_execz .LBB6_1064
.LBB6_1063:                             ;   in Loop: Header=BB6_358 Depth=4
	v_bfe_u32 v86, v20, 24, 2
	v_bfe_u32 v99, v20, 26, 5
	v_ffbh_u32_e32 v87, v86
	v_cmp_eq_u32_e32 vcc_lo, 0, v99
	v_min_u32_e32 v87, 32, v87
	v_subrev_nc_u32_e32 v98, 29, v87
	v_sub_nc_u32_e32 v87, 30, v87
	v_lshlrev_b32_sdwa v98, v98, v20 dst_sel:DWORD dst_unused:UNUSED_PAD src0_sel:DWORD src1_sel:BYTE_3
	v_cndmask_b32_e32 v87, v99, v87, vcc_lo
	v_and_b32_e32 v20, 0x80000000, v20
	v_and_b32_e32 v98, 3, v98
	v_lshl_add_u32 v87, v87, 23, 0x37800000
	v_cndmask_b32_e32 v86, v86, v98, vcc_lo
	v_lshlrev_b32_e32 v86, 21, v86
	v_or3_b32 v86, v20, v87, v86
.LBB6_1064:                             ;   in Loop: Header=BB6_358 Depth=4
	s_or_b32 exec_lo, exec_lo, s62
	v_cmp_gt_i16_sdwa s62, v16, v59 src0_sel:BYTE_3 src1_sel:DWORD
	s_mov_b32 s16, 0
	s_and_saveexec_b32 s63, s62
	s_xor_b32 s62, exec_lo, s63
	s_cbranch_execz .LBB6_1778
; %bb.1065:                             ;   in Loop: Header=BB6_358 Depth=4
	v_cmp_eq_u16_sdwa s72, v16, v60 src0_sel:BYTE_3 src1_sel:DWORD
	s_mov_b32 s16, -1
	s_and_saveexec_b32 s63, s72
; %bb.1066:                             ;   in Loop: Header=BB6_358 Depth=4
	s_xor_b32 s16, exec_lo, -1
; %bb.1067:                             ;   in Loop: Header=BB6_358 Depth=4
	s_or_b32 exec_lo, exec_lo, s63
	s_and_b32 s16, s16, exec_lo
	s_or_saveexec_b32 s62, s62
	v_mov_b32_e32 v20, 0x7f800001
	s_xor_b32 exec_lo, exec_lo, s62
	s_cbranch_execnz .LBB6_1779
.LBB6_1068:                             ;   in Loop: Header=BB6_358 Depth=4
	s_or_b32 exec_lo, exec_lo, s62
	s_and_saveexec_b32 s62, s16
	s_cbranch_execz .LBB6_1070
.LBB6_1069:                             ;   in Loop: Header=BB6_358 Depth=4
	v_bfe_u32 v20, v16, 24, 2
	v_bfe_u32 v99, v16, 26, 5
	v_ffbh_u32_e32 v87, v20
	v_cmp_eq_u32_e32 vcc_lo, 0, v99
	v_min_u32_e32 v87, 32, v87
	v_subrev_nc_u32_e32 v98, 29, v87
	v_sub_nc_u32_e32 v87, 30, v87
	v_lshlrev_b32_sdwa v98, v98, v16 dst_sel:DWORD dst_unused:UNUSED_PAD src0_sel:DWORD src1_sel:BYTE_3
	v_cndmask_b32_e32 v87, v99, v87, vcc_lo
	v_and_b32_e32 v16, 0x80000000, v16
	v_and_b32_e32 v98, 3, v98
	v_lshl_add_u32 v87, v87, 23, 0x37800000
	v_cndmask_b32_e32 v20, v20, v98, vcc_lo
	v_lshlrev_b32_e32 v20, 21, v20
	v_or3_b32 v20, v16, v87, v20
.LBB6_1070:                             ;   in Loop: Header=BB6_358 Depth=4
	s_or_b32 exec_lo, exec_lo, s62
	v_mul_f32_e32 v20, v86, v20
	v_and_b32_e32 v16, 0x7f800000, v20
	v_cmp_ne_u32_e32 vcc_lo, 0x7f800000, v16
	v_mov_b32_e32 v16, 0x8000
	s_and_saveexec_b32 s62, vcc_lo
	s_cbranch_execz .LBB6_1078
; %bb.1071:                             ;   in Loop: Header=BB6_358 Depth=4
	v_mov_b32_e32 v16, 0
	s_mov_b32 s63, exec_lo
	v_cmpx_ne_u32_e32 0, v20
	s_cbranch_execz .LBB6_1077
; %bb.1072:                             ;   in Loop: Header=BB6_358 Depth=4
	v_bfe_u32 v86, v20, 23, 8
	v_and_b32_e32 v16, 0x7fffff, v20
	v_cmp_gt_u32_e64 s16, 0x71, v86
	v_sub_nc_u32_e32 v87, 0x70, v86
	v_cmp_eq_u32_e32 vcc_lo, 0, v86
	v_or_b32_e32 v98, 0x800000, v16
	v_cndmask_b32_e64 v87, 0, v87, s16
	v_cndmask_b32_e32 v16, v98, v16, vcc_lo
	v_cndmask_b32_e64 v87, v87, 0x6f, vcc_lo
	v_lshl_add_u32 v98, 0x200000, v87, -1
	v_lshlrev_b32_e64 v99, v87, 0x100000
	v_and_b32_e32 v98, v98, v16
	v_cmp_eq_u32_e64 s16, v98, v99
	v_lshrrev_b32_e32 v98, v87, v16
	v_add_nc_u32_e32 v16, 0xffffff91, v86
	v_lshrrev_b32_e32 v86, 23, v98
	v_cndmask_b32_e64 v16, v16, 0xffffff92, vcc_lo
	v_xor_b32_e32 v86, 1, v86
	v_add_nc_u32_e32 v16, v87, v16
	v_bfe_u32 v87, v98, 21, 1
	v_add_nc_u32_e32 v87, -1, v87
	v_cndmask_b32_e64 v87, 0, v87, s16
	s_mov_b32 s16, exec_lo
	v_add_nc_u32_e32 v87, v87, v98
	v_and_b32_e32 v87, 0x1fffff, v87
	v_add_nc_u32_e32 v87, v87, v98
                                        ; implicit-def: $vgpr98
	v_cmpx_ne_u32_e64 v16, v86
	s_xor_b32 s16, exec_lo, s16
; %bb.1073:                             ;   in Loop: Header=BB6_358 Depth=4
	v_cmp_lt_u32_e32 vcc_lo, 0xffffff, v87
	v_sub_nc_u32_e32 v16, v16, v86
	v_cndmask_b32_e64 v86, 0, 1, vcc_lo
	v_add_co_ci_u32_e64 v98, null, 0, v16, vcc_lo
	v_lshrrev_b32_e32 v87, v86, v87
; %bb.1074:                             ;   in Loop: Header=BB6_358 Depth=4
	s_andn2_saveexec_b32 s16, s16
; %bb.1075:                             ;   in Loop: Header=BB6_358 Depth=4
	v_bfe_u32 v98, v87, 23, 1
; %bb.1076:                             ;   in Loop: Header=BB6_358 Depth=4
	s_or_b32 exec_lo, exec_lo, s16
	v_and_b32_sdwa v16, v20, v60 dst_sel:DWORD dst_unused:UNUSED_PAD src0_sel:BYTE_3 src1_sel:DWORD
	v_lshrrev_b32_e32 v20, 21, v87
	v_min_i32_e32 v86, 31, v98
	v_cmp_gt_i32_e32 vcc_lo, 32, v98
	v_lshlrev_b32_e32 v86, 2, v86
	v_cndmask_b32_e32 v20, 3, v20, vcc_lo
	v_and_b32_e32 v86, 0xfc, v86
	v_or_b32_e32 v87, v98, v20
	v_and_b32_e32 v20, 3, v20
	v_cmp_ne_u32_e32 vcc_lo, 0, v87
	v_or3_b32 v16, v16, v86, v20
	v_lshlrev_b32_e32 v16, 8, v16
	v_cndmask_b32_e32 v16, 0, v16, vcc_lo
.LBB6_1077:                             ;   in Loop: Header=BB6_358 Depth=4
	s_or_b32 exec_lo, exec_lo, s63
.LBB6_1078:                             ;   in Loop: Header=BB6_358 Depth=4
	s_or_b32 exec_lo, exec_lo, s62
	v_cmp_gt_i16_sdwa s16, v21, v59 src0_sel:BYTE_0 src1_sel:DWORD
	s_mov_b32 s62, 0
	s_and_saveexec_b32 s63, s16
	s_xor_b32 s16, exec_lo, s63
	s_cbranch_execz .LBB6_1780
; %bb.1079:                             ;   in Loop: Header=BB6_358 Depth=4
	v_cmp_eq_u16_sdwa s72, v21, v60 src0_sel:BYTE_0 src1_sel:DWORD
	s_mov_b32 s62, -1
	s_and_saveexec_b32 s63, s72
; %bb.1080:                             ;   in Loop: Header=BB6_358 Depth=4
	s_xor_b32 s62, exec_lo, -1
; %bb.1081:                             ;   in Loop: Header=BB6_358 Depth=4
	s_or_b32 exec_lo, exec_lo, s63
	s_and_b32 s62, s62, exec_lo
	s_or_saveexec_b32 s16, s16
	v_mov_b32_e32 v20, 0x7f800001
	s_xor_b32 exec_lo, exec_lo, s16
	s_cbranch_execnz .LBB6_1781
.LBB6_1082:                             ;   in Loop: Header=BB6_358 Depth=4
	s_or_b32 exec_lo, exec_lo, s16
	s_and_saveexec_b32 s16, s62
	s_cbranch_execz .LBB6_1084
.LBB6_1083:                             ;   in Loop: Header=BB6_358 Depth=4
	v_and_b32_e32 v20, 3, v21
	v_bfe_u32 v86, v21, 2, 5
	v_ffbh_u32_e32 v87, v20
	v_cmp_eq_u32_e32 vcc_lo, 0, v86
	v_min_u32_e32 v87, 32, v87
	v_subrev_nc_u32_e32 v98, 29, v87
	v_sub_nc_u32_e32 v87, 30, v87
	v_lshlrev_b32_e32 v98, v98, v21
	v_cndmask_b32_e32 v86, v86, v87, vcc_lo
	v_lshlrev_b32_e32 v87, 24, v21
	v_and_b32_e32 v98, 3, v98
	v_lshl_add_u32 v86, v86, 23, 0x37800000
	v_and_b32_e32 v87, 0x80000000, v87
	v_cndmask_b32_e32 v20, v20, v98, vcc_lo
	v_lshlrev_b32_e32 v20, 21, v20
	v_or3_b32 v20, v87, v86, v20
.LBB6_1084:                             ;   in Loop: Header=BB6_358 Depth=4
	s_or_b32 exec_lo, exec_lo, s16
	v_cmp_gt_i16_sdwa s16, v17, v59 src0_sel:BYTE_0 src1_sel:DWORD
	s_mov_b32 s62, 0
	s_and_saveexec_b32 s63, s16
	s_xor_b32 s16, exec_lo, s63
	s_cbranch_execz .LBB6_1782
; %bb.1085:                             ;   in Loop: Header=BB6_358 Depth=4
	v_cmp_eq_u16_sdwa s72, v17, v60 src0_sel:BYTE_0 src1_sel:DWORD
	s_mov_b32 s62, -1
	s_and_saveexec_b32 s63, s72
; %bb.1086:                             ;   in Loop: Header=BB6_358 Depth=4
	s_xor_b32 s62, exec_lo, -1
; %bb.1087:                             ;   in Loop: Header=BB6_358 Depth=4
	s_or_b32 exec_lo, exec_lo, s63
	s_and_b32 s62, s62, exec_lo
	s_or_saveexec_b32 s16, s16
	v_mov_b32_e32 v86, 0x7f800001
	s_xor_b32 exec_lo, exec_lo, s16
	s_cbranch_execnz .LBB6_1783
.LBB6_1088:                             ;   in Loop: Header=BB6_358 Depth=4
	s_or_b32 exec_lo, exec_lo, s16
	s_and_saveexec_b32 s16, s62
	s_cbranch_execz .LBB6_1090
.LBB6_1089:                             ;   in Loop: Header=BB6_358 Depth=4
	v_and_b32_e32 v86, 3, v17
	v_bfe_u32 v87, v17, 2, 5
	v_ffbh_u32_e32 v98, v86
	v_cmp_eq_u32_e32 vcc_lo, 0, v87
	v_min_u32_e32 v98, 32, v98
	v_subrev_nc_u32_e32 v99, 29, v98
	v_sub_nc_u32_e32 v98, 30, v98
	v_lshlrev_b32_e32 v99, v99, v17
	v_cndmask_b32_e32 v87, v87, v98, vcc_lo
	v_lshlrev_b32_e32 v98, 24, v17
	v_and_b32_e32 v99, 3, v99
	v_lshl_add_u32 v87, v87, 23, 0x37800000
	v_and_b32_e32 v98, 0x80000000, v98
	v_cndmask_b32_e32 v86, v86, v99, vcc_lo
	v_lshlrev_b32_e32 v86, 21, v86
	v_or3_b32 v86, v98, v87, v86
.LBB6_1090:                             ;   in Loop: Header=BB6_358 Depth=4
	s_or_b32 exec_lo, exec_lo, s16
	v_mul_f32_e32 v98, v20, v86
	v_and_b32_e32 v20, 0x7f800000, v98
	v_cmp_ne_u32_e32 vcc_lo, 0x7f800000, v20
	v_mov_b32_e32 v20, 0x80
	s_and_saveexec_b32 s62, vcc_lo
	s_cbranch_execz .LBB6_1098
; %bb.1091:                             ;   in Loop: Header=BB6_358 Depth=4
	v_mov_b32_e32 v20, 0
	s_mov_b32 s63, exec_lo
	v_cmpx_ne_u32_e32 0, v98
	s_cbranch_execz .LBB6_1097
; %bb.1092:                             ;   in Loop: Header=BB6_358 Depth=4
	v_bfe_u32 v86, v98, 23, 8
	v_and_b32_e32 v20, 0x7fffff, v98
	v_cmp_gt_u32_e64 s16, 0x71, v86
	v_sub_nc_u32_e32 v87, 0x70, v86
	v_cmp_eq_u32_e32 vcc_lo, 0, v86
	v_or_b32_e32 v99, 0x800000, v20
	v_cndmask_b32_e64 v87, 0, v87, s16
	v_cndmask_b32_e32 v20, v99, v20, vcc_lo
	v_cndmask_b32_e64 v87, v87, 0x6f, vcc_lo
	v_lshl_add_u32 v99, 0x200000, v87, -1
	v_lshlrev_b32_e64 v46, v87, 0x100000
	v_and_b32_e32 v99, v99, v20
	v_cmp_eq_u32_e64 s16, v99, v46
	v_lshrrev_b32_e32 v99, v87, v20
	v_add_nc_u32_e32 v20, 0xffffff91, v86
	v_lshrrev_b32_e32 v86, 23, v99
	v_cndmask_b32_e64 v20, v20, 0xffffff92, vcc_lo
	v_xor_b32_e32 v86, 1, v86
	v_add_nc_u32_e32 v20, v87, v20
	v_bfe_u32 v87, v99, 21, 1
	v_add_nc_u32_e32 v87, -1, v87
	v_cndmask_b32_e64 v87, 0, v87, s16
	s_mov_b32 s16, exec_lo
	v_add_nc_u32_e32 v87, v87, v99
	v_and_b32_e32 v87, 0x1fffff, v87
	v_add_nc_u32_e32 v87, v87, v99
                                        ; implicit-def: $vgpr99
	v_cmpx_ne_u32_e64 v20, v86
	s_xor_b32 s16, exec_lo, s16
; %bb.1093:                             ;   in Loop: Header=BB6_358 Depth=4
	v_cmp_lt_u32_e32 vcc_lo, 0xffffff, v87
	v_sub_nc_u32_e32 v20, v20, v86
	v_cndmask_b32_e64 v86, 0, 1, vcc_lo
	v_add_co_ci_u32_e64 v99, null, 0, v20, vcc_lo
	v_lshrrev_b32_e32 v87, v86, v87
; %bb.1094:                             ;   in Loop: Header=BB6_358 Depth=4
	s_andn2_saveexec_b32 s16, s16
; %bb.1095:                             ;   in Loop: Header=BB6_358 Depth=4
	v_bfe_u32 v99, v87, 23, 1
; %bb.1096:                             ;   in Loop: Header=BB6_358 Depth=4
	s_or_b32 exec_lo, exec_lo, s16
	v_lshrrev_b32_e32 v86, 21, v87
	v_min_i32_e32 v87, 31, v99
	v_cmp_gt_i32_e32 vcc_lo, 32, v99
	v_and_b32_sdwa v20, v98, v60 dst_sel:DWORD dst_unused:UNUSED_PAD src0_sel:BYTE_3 src1_sel:DWORD
	v_lshlrev_b32_e32 v87, 2, v87
	v_cndmask_b32_e32 v86, 3, v86, vcc_lo
	v_and_b32_e32 v87, 0xfc, v87
	v_or_b32_e32 v98, v99, v86
	v_and_b32_e32 v86, 3, v86
	v_cmp_ne_u32_e32 vcc_lo, 0, v98
	v_or3_b32 v20, v87, v20, v86
	v_cndmask_b32_e32 v20, 0, v20, vcc_lo
.LBB6_1097:                             ;   in Loop: Header=BB6_358 Depth=4
	s_or_b32 exec_lo, exec_lo, s63
.LBB6_1098:                             ;   in Loop: Header=BB6_358 Depth=4
	s_or_b32 exec_lo, exec_lo, s62
	v_cmp_gt_i16_sdwa s62, v21, v59 src0_sel:BYTE_1 src1_sel:DWORD
	s_mov_b32 s16, 0
	s_and_saveexec_b32 s63, s62
	s_xor_b32 s62, exec_lo, s63
	s_cbranch_execz .LBB6_1784
; %bb.1099:                             ;   in Loop: Header=BB6_358 Depth=4
	v_cmp_eq_u16_sdwa s72, v21, v60 src0_sel:BYTE_1 src1_sel:DWORD
	s_mov_b32 s16, -1
	s_and_saveexec_b32 s63, s72
; %bb.1100:                             ;   in Loop: Header=BB6_358 Depth=4
	s_xor_b32 s16, exec_lo, -1
; %bb.1101:                             ;   in Loop: Header=BB6_358 Depth=4
	s_or_b32 exec_lo, exec_lo, s63
	s_and_b32 s16, s16, exec_lo
	s_or_saveexec_b32 s62, s62
	v_mov_b32_e32 v86, 0x7f800001
	s_xor_b32 exec_lo, exec_lo, s62
	s_cbranch_execnz .LBB6_1785
.LBB6_1102:                             ;   in Loop: Header=BB6_358 Depth=4
	s_or_b32 exec_lo, exec_lo, s62
	s_and_saveexec_b32 s62, s16
	s_cbranch_execz .LBB6_1104
.LBB6_1103:                             ;   in Loop: Header=BB6_358 Depth=4
	v_and_b32_sdwa v86, v61, v21 dst_sel:DWORD dst_unused:UNUSED_PAD src0_sel:DWORD src1_sel:BYTE_1
	v_and_b32_e32 v87, 3, v86
	v_bfe_u32 v46, v86, 2, 5
	v_ffbh_u32_e32 v98, v87
	v_cmp_eq_u32_e32 vcc_lo, 0, v46
	v_min_u32_e32 v98, 32, v98
	v_subrev_nc_u32_e32 v99, 29, v98
	v_sub_nc_u32_e32 v98, 30, v98
	v_lshlrev_b32_e32 v86, v99, v86
	v_lshlrev_b32_sdwa v99, v62, v21 dst_sel:DWORD dst_unused:UNUSED_PAD src0_sel:DWORD src1_sel:BYTE_1
	v_cndmask_b32_e32 v98, v46, v98, vcc_lo
	v_and_b32_e32 v86, 3, v86
	v_lshl_add_u32 v98, v98, 23, 0x37800000
	v_cndmask_b32_e32 v86, v87, v86, vcc_lo
	v_and_b32_e32 v87, 0x80000000, v99
	v_lshlrev_b32_e32 v86, 21, v86
	v_or3_b32 v86, v87, v98, v86
.LBB6_1104:                             ;   in Loop: Header=BB6_358 Depth=4
	s_or_b32 exec_lo, exec_lo, s62
	v_cmp_gt_i16_sdwa s62, v17, v59 src0_sel:BYTE_1 src1_sel:DWORD
	s_mov_b32 s16, 0
	s_and_saveexec_b32 s63, s62
	s_xor_b32 s62, exec_lo, s63
	s_cbranch_execz .LBB6_1786
; %bb.1105:                             ;   in Loop: Header=BB6_358 Depth=4
	v_cmp_eq_u16_sdwa s72, v17, v60 src0_sel:BYTE_1 src1_sel:DWORD
	s_mov_b32 s16, -1
	s_and_saveexec_b32 s63, s72
; %bb.1106:                             ;   in Loop: Header=BB6_358 Depth=4
	s_xor_b32 s16, exec_lo, -1
; %bb.1107:                             ;   in Loop: Header=BB6_358 Depth=4
	s_or_b32 exec_lo, exec_lo, s63
	s_and_b32 s16, s16, exec_lo
	s_or_saveexec_b32 s62, s62
	v_mov_b32_e32 v87, 0x7f800001
	s_xor_b32 exec_lo, exec_lo, s62
	s_cbranch_execnz .LBB6_1787
.LBB6_1108:                             ;   in Loop: Header=BB6_358 Depth=4
	s_or_b32 exec_lo, exec_lo, s62
	s_and_saveexec_b32 s62, s16
	s_cbranch_execz .LBB6_1110
.LBB6_1109:                             ;   in Loop: Header=BB6_358 Depth=4
	v_and_b32_sdwa v87, v61, v17 dst_sel:DWORD dst_unused:UNUSED_PAD src0_sel:DWORD src1_sel:BYTE_1
	v_and_b32_e32 v98, 3, v87
	v_bfe_u32 v58, v87, 2, 5
	v_ffbh_u32_e32 v99, v98
	v_cmp_eq_u32_e32 vcc_lo, 0, v58
	v_min_u32_e32 v99, 32, v99
	v_subrev_nc_u32_e32 v46, 29, v99
	v_sub_nc_u32_e32 v99, 30, v99
	v_lshlrev_b32_e32 v87, v46, v87
	v_lshlrev_b32_sdwa v46, v62, v17 dst_sel:DWORD dst_unused:UNUSED_PAD src0_sel:DWORD src1_sel:BYTE_1
	v_cndmask_b32_e32 v99, v58, v99, vcc_lo
	v_and_b32_e32 v87, 3, v87
	v_lshl_add_u32 v99, v99, 23, 0x37800000
	v_cndmask_b32_e32 v87, v98, v87, vcc_lo
	v_and_b32_e32 v98, 0x80000000, v46
	v_lshlrev_b32_e32 v87, 21, v87
	v_or3_b32 v87, v98, v99, v87
.LBB6_1110:                             ;   in Loop: Header=BB6_358 Depth=4
	s_or_b32 exec_lo, exec_lo, s62
	v_mul_f32_e32 v98, v86, v87
	v_mov_b32_e32 v123, 0x8000
	s_mov_b32 s62, exec_lo
	v_and_b32_e32 v86, 0x7f800000, v98
	v_cmpx_ne_u32_e32 0x7f800000, v86
	s_cbranch_execz .LBB6_1118
; %bb.1111:                             ;   in Loop: Header=BB6_358 Depth=4
	v_mov_b32_e32 v123, 0
	s_mov_b32 s63, exec_lo
	v_cmpx_ne_u32_e32 0, v98
	s_cbranch_execz .LBB6_1117
; %bb.1112:                             ;   in Loop: Header=BB6_358 Depth=4
	v_bfe_u32 v87, v98, 23, 8
	v_and_b32_e32 v86, 0x7fffff, v98
	v_cmp_gt_u32_e64 s16, 0x71, v87
	v_sub_nc_u32_e32 v99, 0x70, v87
	v_cmp_eq_u32_e32 vcc_lo, 0, v87
	v_or_b32_e32 v46, 0x800000, v86
	v_cndmask_b32_e64 v99, 0, v99, s16
	v_cndmask_b32_e32 v86, v46, v86, vcc_lo
	v_cndmask_b32_e64 v99, v99, 0x6f, vcc_lo
	v_lshl_add_u32 v46, 0x200000, v99, -1
	v_lshlrev_b32_e64 v58, v99, 0x100000
	v_and_b32_e32 v46, v46, v86
	v_cmp_eq_u32_e64 s16, v46, v58
	v_lshrrev_b32_e32 v46, v99, v86
	v_add_nc_u32_e32 v86, 0xffffff91, v87
	v_lshrrev_b32_e32 v87, 23, v46
	v_cndmask_b32_e64 v86, v86, 0xffffff92, vcc_lo
	v_xor_b32_e32 v87, 1, v87
	v_add_nc_u32_e32 v86, v99, v86
	v_bfe_u32 v99, v46, 21, 1
	v_add_nc_u32_e32 v99, -1, v99
	v_cndmask_b32_e64 v99, 0, v99, s16
	s_mov_b32 s16, exec_lo
	v_add_nc_u32_e32 v99, v99, v46
	v_and_b32_e32 v99, 0x1fffff, v99
	v_add_nc_u32_e32 v99, v99, v46
                                        ; implicit-def: $vgpr46
	v_cmpx_ne_u32_e64 v86, v87
	s_xor_b32 s16, exec_lo, s16
; %bb.1113:                             ;   in Loop: Header=BB6_358 Depth=4
	v_cmp_lt_u32_e32 vcc_lo, 0xffffff, v99
	v_sub_nc_u32_e32 v86, v86, v87
	v_cndmask_b32_e64 v87, 0, 1, vcc_lo
	v_add_co_ci_u32_e64 v46, null, 0, v86, vcc_lo
	v_lshrrev_b32_e32 v99, v87, v99
; %bb.1114:                             ;   in Loop: Header=BB6_358 Depth=4
	s_andn2_saveexec_b32 s16, s16
; %bb.1115:                             ;   in Loop: Header=BB6_358 Depth=4
	v_bfe_u32 v46, v99, 23, 1
; %bb.1116:                             ;   in Loop: Header=BB6_358 Depth=4
	s_or_b32 exec_lo, exec_lo, s16
	v_and_b32_sdwa v86, v98, v60 dst_sel:DWORD dst_unused:UNUSED_PAD src0_sel:BYTE_3 src1_sel:DWORD
	v_lshrrev_b32_e32 v87, 21, v99
	v_min_i32_e32 v98, 31, v46
	v_cmp_gt_i32_e32 vcc_lo, 32, v46
	v_lshlrev_b32_e32 v98, 2, v98
	v_cndmask_b32_e32 v87, 3, v87, vcc_lo
	v_and_b32_e32 v98, 0xfc, v98
	v_or_b32_e32 v99, v46, v87
	v_and_b32_e32 v87, 3, v87
	v_cmp_ne_u32_e32 vcc_lo, 0, v99
	v_or3_b32 v86, v86, v98, v87
	v_lshlrev_b32_e32 v86, 8, v86
	v_cndmask_b32_e32 v123, 0, v86, vcc_lo
.LBB6_1117:                             ;   in Loop: Header=BB6_358 Depth=4
	s_or_b32 exec_lo, exec_lo, s63
.LBB6_1118:                             ;   in Loop: Header=BB6_358 Depth=4
	s_or_b32 exec_lo, exec_lo, s62
	v_and_b32_sdwa v87, v21, v63 dst_sel:DWORD dst_unused:UNUSED_PAD src0_sel:WORD_1 src1_sel:DWORD
	s_mov_b32 s62, 0
	s_mov_b32 s16, exec_lo
	v_cmpx_lt_i16_e32 0x7f, v87
	s_xor_b32 s16, exec_lo, s16
	s_cbranch_execz .LBB6_1788
; %bb.1119:                             ;   in Loop: Header=BB6_358 Depth=4
	s_mov_b32 s62, -1
	s_mov_b32 s63, exec_lo
	v_cmpx_eq_u16_e32 0x80, v87
; %bb.1120:                             ;   in Loop: Header=BB6_358 Depth=4
	s_xor_b32 s62, exec_lo, -1
; %bb.1121:                             ;   in Loop: Header=BB6_358 Depth=4
	s_or_b32 exec_lo, exec_lo, s63
	s_and_b32 s62, s62, exec_lo
                                        ; implicit-def: $vgpr87
	s_or_saveexec_b32 s16, s16
	v_mov_b32_e32 v86, 0x7f800001
	s_xor_b32 exec_lo, exec_lo, s16
	s_cbranch_execnz .LBB6_1789
.LBB6_1122:                             ;   in Loop: Header=BB6_358 Depth=4
	s_or_b32 exec_lo, exec_lo, s16
	s_and_saveexec_b32 s16, s62
	s_cbranch_execz .LBB6_1124
.LBB6_1123:                             ;   in Loop: Header=BB6_358 Depth=4
	v_bfe_u32 v86, v21, 16, 2
	v_bfe_u32 v87, v21, 18, 5
	v_ffbh_u32_e32 v98, v86
	v_cmp_eq_u32_e32 vcc_lo, 0, v87
	v_min_u32_e32 v98, 32, v98
	v_subrev_nc_u32_e32 v99, 29, v98
	v_sub_nc_u32_e32 v98, 30, v98
	v_lshlrev_b32_sdwa v99, v99, v21 dst_sel:DWORD dst_unused:UNUSED_PAD src0_sel:DWORD src1_sel:WORD_1
	v_cndmask_b32_e32 v87, v87, v98, vcc_lo
	v_lshlrev_b32_e32 v98, 8, v21
	v_and_b32_e32 v99, 3, v99
	v_lshl_add_u32 v87, v87, 23, 0x37800000
	v_and_b32_e32 v98, 0x80000000, v98
	v_cndmask_b32_e32 v86, v86, v99, vcc_lo
	v_lshlrev_b32_e32 v86, 21, v86
	v_or3_b32 v86, v98, v87, v86
.LBB6_1124:                             ;   in Loop: Header=BB6_358 Depth=4
	s_or_b32 exec_lo, exec_lo, s16
	v_and_b32_sdwa v98, v17, v63 dst_sel:DWORD dst_unused:UNUSED_PAD src0_sel:WORD_1 src1_sel:DWORD
	s_mov_b32 s62, 0
	s_mov_b32 s16, exec_lo
	v_cmpx_lt_i16_e32 0x7f, v98
	s_xor_b32 s16, exec_lo, s16
	s_cbranch_execz .LBB6_1790
; %bb.1125:                             ;   in Loop: Header=BB6_358 Depth=4
	s_mov_b32 s62, -1
	s_mov_b32 s63, exec_lo
	v_cmpx_eq_u16_e32 0x80, v98
; %bb.1126:                             ;   in Loop: Header=BB6_358 Depth=4
	s_xor_b32 s62, exec_lo, -1
; %bb.1127:                             ;   in Loop: Header=BB6_358 Depth=4
	s_or_b32 exec_lo, exec_lo, s63
	s_and_b32 s62, s62, exec_lo
                                        ; implicit-def: $vgpr98
	s_or_saveexec_b32 s16, s16
	v_mov_b32_e32 v87, 0x7f800001
	s_xor_b32 exec_lo, exec_lo, s16
	s_cbranch_execnz .LBB6_1791
.LBB6_1128:                             ;   in Loop: Header=BB6_358 Depth=4
	s_or_b32 exec_lo, exec_lo, s16
	s_and_saveexec_b32 s16, s62
	s_cbranch_execz .LBB6_1130
.LBB6_1129:                             ;   in Loop: Header=BB6_358 Depth=4
	v_bfe_u32 v87, v17, 16, 2
	v_bfe_u32 v98, v17, 18, 5
	v_ffbh_u32_e32 v99, v87
	v_cmp_eq_u32_e32 vcc_lo, 0, v98
	v_min_u32_e32 v99, 32, v99
	v_subrev_nc_u32_e32 v46, 29, v99
	v_sub_nc_u32_e32 v99, 30, v99
	v_lshlrev_b32_sdwa v46, v46, v17 dst_sel:DWORD dst_unused:UNUSED_PAD src0_sel:DWORD src1_sel:WORD_1
	v_cndmask_b32_e32 v98, v98, v99, vcc_lo
	v_lshlrev_b32_e32 v99, 8, v17
	v_and_b32_e32 v46, 3, v46
	v_lshl_add_u32 v98, v98, 23, 0x37800000
	v_and_b32_e32 v99, 0x80000000, v99
	v_cndmask_b32_e32 v87, v87, v46, vcc_lo
	v_lshlrev_b32_e32 v87, 21, v87
	v_or3_b32 v87, v99, v98, v87
.LBB6_1130:                             ;   in Loop: Header=BB6_358 Depth=4
	s_or_b32 exec_lo, exec_lo, s16
	v_mul_f32_e32 v98, v86, v87
	v_mov_b32_e32 v124, 0x80
	s_mov_b32 s62, exec_lo
	v_and_b32_e32 v86, 0x7f800000, v98
	v_cmpx_ne_u32_e32 0x7f800000, v86
	s_cbranch_execz .LBB6_1138
; %bb.1131:                             ;   in Loop: Header=BB6_358 Depth=4
	v_mov_b32_e32 v124, 0
	s_mov_b32 s63, exec_lo
	v_cmpx_ne_u32_e32 0, v98
	s_cbranch_execz .LBB6_1137
; %bb.1132:                             ;   in Loop: Header=BB6_358 Depth=4
	v_bfe_u32 v87, v98, 23, 8
	v_and_b32_e32 v86, 0x7fffff, v98
	v_cmp_gt_u32_e64 s16, 0x71, v87
	v_sub_nc_u32_e32 v99, 0x70, v87
	v_cmp_eq_u32_e32 vcc_lo, 0, v87
	v_or_b32_e32 v46, 0x800000, v86
	v_cndmask_b32_e64 v99, 0, v99, s16
	v_cndmask_b32_e32 v86, v46, v86, vcc_lo
	v_cndmask_b32_e64 v99, v99, 0x6f, vcc_lo
	v_lshl_add_u32 v46, 0x200000, v99, -1
	v_lshlrev_b32_e64 v58, v99, 0x100000
	v_and_b32_e32 v46, v46, v86
	v_cmp_eq_u32_e64 s16, v46, v58
	v_lshrrev_b32_e32 v46, v99, v86
	v_add_nc_u32_e32 v86, 0xffffff91, v87
	v_lshrrev_b32_e32 v87, 23, v46
	v_cndmask_b32_e64 v86, v86, 0xffffff92, vcc_lo
	v_xor_b32_e32 v87, 1, v87
	v_add_nc_u32_e32 v86, v99, v86
	v_bfe_u32 v99, v46, 21, 1
	v_add_nc_u32_e32 v99, -1, v99
	v_cndmask_b32_e64 v99, 0, v99, s16
	s_mov_b32 s16, exec_lo
	v_add_nc_u32_e32 v99, v99, v46
	v_and_b32_e32 v99, 0x1fffff, v99
	v_add_nc_u32_e32 v99, v99, v46
                                        ; implicit-def: $vgpr46
	v_cmpx_ne_u32_e64 v86, v87
	s_xor_b32 s16, exec_lo, s16
; %bb.1133:                             ;   in Loop: Header=BB6_358 Depth=4
	v_cmp_lt_u32_e32 vcc_lo, 0xffffff, v99
	v_sub_nc_u32_e32 v86, v86, v87
	v_cndmask_b32_e64 v87, 0, 1, vcc_lo
	v_add_co_ci_u32_e64 v46, null, 0, v86, vcc_lo
	v_lshrrev_b32_e32 v99, v87, v99
; %bb.1134:                             ;   in Loop: Header=BB6_358 Depth=4
	s_andn2_saveexec_b32 s16, s16
; %bb.1135:                             ;   in Loop: Header=BB6_358 Depth=4
	v_bfe_u32 v46, v99, 23, 1
; %bb.1136:                             ;   in Loop: Header=BB6_358 Depth=4
	s_or_b32 exec_lo, exec_lo, s16
	v_and_b32_sdwa v86, v98, v60 dst_sel:DWORD dst_unused:UNUSED_PAD src0_sel:BYTE_3 src1_sel:DWORD
	v_lshrrev_b32_e32 v87, 21, v99
	v_min_i32_e32 v98, 31, v46
	v_cmp_gt_i32_e32 vcc_lo, 32, v46
	v_lshlrev_b32_e32 v98, 2, v98
	v_cndmask_b32_e32 v87, 3, v87, vcc_lo
	v_and_b32_e32 v98, 0xfc, v98
	v_or_b32_e32 v99, v46, v87
	v_and_b32_e32 v87, 3, v87
	v_cmp_ne_u32_e32 vcc_lo, 0, v99
	v_or3_b32 v86, v98, v86, v87
	v_cndmask_b32_e32 v124, 0, v86, vcc_lo
.LBB6_1137:                             ;   in Loop: Header=BB6_358 Depth=4
	s_or_b32 exec_lo, exec_lo, s63
.LBB6_1138:                             ;   in Loop: Header=BB6_358 Depth=4
	s_or_b32 exec_lo, exec_lo, s62
	v_cmp_gt_i16_sdwa s62, v21, v59 src0_sel:BYTE_3 src1_sel:DWORD
	s_mov_b32 s16, 0
	s_and_saveexec_b32 s63, s62
	s_xor_b32 s62, exec_lo, s63
	s_cbranch_execz .LBB6_1792
; %bb.1139:                             ;   in Loop: Header=BB6_358 Depth=4
	v_cmp_eq_u16_sdwa s72, v21, v60 src0_sel:BYTE_3 src1_sel:DWORD
	s_mov_b32 s16, -1
	s_and_saveexec_b32 s63, s72
; %bb.1140:                             ;   in Loop: Header=BB6_358 Depth=4
	s_xor_b32 s16, exec_lo, -1
; %bb.1141:                             ;   in Loop: Header=BB6_358 Depth=4
	s_or_b32 exec_lo, exec_lo, s63
	s_and_b32 s16, s16, exec_lo
	s_or_saveexec_b32 s62, s62
	v_mov_b32_e32 v86, 0x7f800001
	s_xor_b32 exec_lo, exec_lo, s62
	s_cbranch_execnz .LBB6_1793
.LBB6_1142:                             ;   in Loop: Header=BB6_358 Depth=4
	s_or_b32 exec_lo, exec_lo, s62
	s_and_saveexec_b32 s62, s16
	s_cbranch_execz .LBB6_1144
.LBB6_1143:                             ;   in Loop: Header=BB6_358 Depth=4
	v_bfe_u32 v86, v21, 24, 2
	v_bfe_u32 v99, v21, 26, 5
	v_ffbh_u32_e32 v87, v86
	v_cmp_eq_u32_e32 vcc_lo, 0, v99
	v_min_u32_e32 v87, 32, v87
	v_subrev_nc_u32_e32 v98, 29, v87
	v_sub_nc_u32_e32 v87, 30, v87
	v_lshlrev_b32_sdwa v98, v98, v21 dst_sel:DWORD dst_unused:UNUSED_PAD src0_sel:DWORD src1_sel:BYTE_3
	v_cndmask_b32_e32 v87, v99, v87, vcc_lo
	v_and_b32_e32 v21, 0x80000000, v21
	v_and_b32_e32 v98, 3, v98
	v_lshl_add_u32 v87, v87, 23, 0x37800000
	v_cndmask_b32_e32 v86, v86, v98, vcc_lo
	v_lshlrev_b32_e32 v86, 21, v86
	v_or3_b32 v86, v21, v87, v86
.LBB6_1144:                             ;   in Loop: Header=BB6_358 Depth=4
	s_or_b32 exec_lo, exec_lo, s62
	v_cmp_gt_i16_sdwa s62, v17, v59 src0_sel:BYTE_3 src1_sel:DWORD
	s_mov_b32 s16, 0
	s_and_saveexec_b32 s63, s62
	s_xor_b32 s62, exec_lo, s63
	s_cbranch_execz .LBB6_1794
; %bb.1145:                             ;   in Loop: Header=BB6_358 Depth=4
	v_cmp_eq_u16_sdwa s72, v17, v60 src0_sel:BYTE_3 src1_sel:DWORD
	s_mov_b32 s16, -1
	s_and_saveexec_b32 s63, s72
; %bb.1146:                             ;   in Loop: Header=BB6_358 Depth=4
	s_xor_b32 s16, exec_lo, -1
; %bb.1147:                             ;   in Loop: Header=BB6_358 Depth=4
	s_or_b32 exec_lo, exec_lo, s63
	s_and_b32 s16, s16, exec_lo
	s_or_saveexec_b32 s62, s62
	v_mov_b32_e32 v21, 0x7f800001
	s_xor_b32 exec_lo, exec_lo, s62
	s_cbranch_execnz .LBB6_1795
.LBB6_1148:                             ;   in Loop: Header=BB6_358 Depth=4
	s_or_b32 exec_lo, exec_lo, s62
	s_and_saveexec_b32 s62, s16
	s_cbranch_execz .LBB6_1150
.LBB6_1149:                             ;   in Loop: Header=BB6_358 Depth=4
	v_bfe_u32 v21, v17, 24, 2
	v_bfe_u32 v99, v17, 26, 5
	v_ffbh_u32_e32 v87, v21
	v_cmp_eq_u32_e32 vcc_lo, 0, v99
	v_min_u32_e32 v87, 32, v87
	v_subrev_nc_u32_e32 v98, 29, v87
	v_sub_nc_u32_e32 v87, 30, v87
	v_lshlrev_b32_sdwa v98, v98, v17 dst_sel:DWORD dst_unused:UNUSED_PAD src0_sel:DWORD src1_sel:BYTE_3
	v_cndmask_b32_e32 v87, v99, v87, vcc_lo
	v_and_b32_e32 v17, 0x80000000, v17
	v_and_b32_e32 v98, 3, v98
	v_lshl_add_u32 v87, v87, 23, 0x37800000
	v_cndmask_b32_e32 v21, v21, v98, vcc_lo
	v_lshlrev_b32_e32 v21, 21, v21
	v_or3_b32 v21, v17, v87, v21
.LBB6_1150:                             ;   in Loop: Header=BB6_358 Depth=4
	s_or_b32 exec_lo, exec_lo, s62
	v_mul_f32_e32 v21, v86, v21
	v_and_b32_e32 v17, 0x7f800000, v21
	v_cmp_ne_u32_e32 vcc_lo, 0x7f800000, v17
	v_mov_b32_e32 v17, 0x8000
	s_and_saveexec_b32 s62, vcc_lo
	s_cbranch_execz .LBB6_1158
; %bb.1151:                             ;   in Loop: Header=BB6_358 Depth=4
	v_mov_b32_e32 v17, 0
	s_mov_b32 s63, exec_lo
	v_cmpx_ne_u32_e32 0, v21
	s_cbranch_execz .LBB6_1157
; %bb.1152:                             ;   in Loop: Header=BB6_358 Depth=4
	v_bfe_u32 v86, v21, 23, 8
	v_and_b32_e32 v17, 0x7fffff, v21
	v_cmp_gt_u32_e64 s16, 0x71, v86
	v_sub_nc_u32_e32 v87, 0x70, v86
	v_cmp_eq_u32_e32 vcc_lo, 0, v86
	v_or_b32_e32 v98, 0x800000, v17
	v_cndmask_b32_e64 v87, 0, v87, s16
	v_cndmask_b32_e32 v17, v98, v17, vcc_lo
	v_cndmask_b32_e64 v87, v87, 0x6f, vcc_lo
	v_lshl_add_u32 v98, 0x200000, v87, -1
	v_lshlrev_b32_e64 v99, v87, 0x100000
	v_and_b32_e32 v98, v98, v17
	v_cmp_eq_u32_e64 s16, v98, v99
	v_lshrrev_b32_e32 v98, v87, v17
	v_add_nc_u32_e32 v17, 0xffffff91, v86
	v_lshrrev_b32_e32 v86, 23, v98
	v_cndmask_b32_e64 v17, v17, 0xffffff92, vcc_lo
	v_xor_b32_e32 v86, 1, v86
	v_add_nc_u32_e32 v17, v87, v17
	v_bfe_u32 v87, v98, 21, 1
	v_add_nc_u32_e32 v87, -1, v87
	v_cndmask_b32_e64 v87, 0, v87, s16
	s_mov_b32 s16, exec_lo
	v_add_nc_u32_e32 v87, v87, v98
	v_and_b32_e32 v87, 0x1fffff, v87
	v_add_nc_u32_e32 v87, v87, v98
                                        ; implicit-def: $vgpr98
	v_cmpx_ne_u32_e64 v17, v86
	s_xor_b32 s16, exec_lo, s16
; %bb.1153:                             ;   in Loop: Header=BB6_358 Depth=4
	v_cmp_lt_u32_e32 vcc_lo, 0xffffff, v87
	v_sub_nc_u32_e32 v17, v17, v86
	v_cndmask_b32_e64 v86, 0, 1, vcc_lo
	v_add_co_ci_u32_e64 v98, null, 0, v17, vcc_lo
	v_lshrrev_b32_e32 v87, v86, v87
; %bb.1154:                             ;   in Loop: Header=BB6_358 Depth=4
	s_andn2_saveexec_b32 s16, s16
; %bb.1155:                             ;   in Loop: Header=BB6_358 Depth=4
	v_bfe_u32 v98, v87, 23, 1
; %bb.1156:                             ;   in Loop: Header=BB6_358 Depth=4
	s_or_b32 exec_lo, exec_lo, s16
	v_and_b32_sdwa v17, v21, v60 dst_sel:DWORD dst_unused:UNUSED_PAD src0_sel:BYTE_3 src1_sel:DWORD
	v_lshrrev_b32_e32 v21, 21, v87
	v_min_i32_e32 v86, 31, v98
	v_cmp_gt_i32_e32 vcc_lo, 32, v98
	v_lshlrev_b32_e32 v86, 2, v86
	v_cndmask_b32_e32 v21, 3, v21, vcc_lo
	v_and_b32_e32 v86, 0xfc, v86
	v_or_b32_e32 v87, v98, v21
	v_and_b32_e32 v21, 3, v21
	v_cmp_ne_u32_e32 vcc_lo, 0, v87
	v_or3_b32 v17, v17, v86, v21
	v_lshlrev_b32_e32 v17, 8, v17
	v_cndmask_b32_e32 v17, 0, v17, vcc_lo
.LBB6_1157:                             ;   in Loop: Header=BB6_358 Depth=4
	s_or_b32 exec_lo, exec_lo, s63
.LBB6_1158:                             ;   in Loop: Header=BB6_358 Depth=4
	s_or_b32 exec_lo, exec_lo, s62
	v_cmp_gt_i16_sdwa s16, v22, v59 src0_sel:BYTE_0 src1_sel:DWORD
	s_mov_b32 s62, 0
	s_and_saveexec_b32 s63, s16
	s_xor_b32 s16, exec_lo, s63
	s_cbranch_execz .LBB6_1796
; %bb.1159:                             ;   in Loop: Header=BB6_358 Depth=4
	v_cmp_eq_u16_sdwa s72, v22, v60 src0_sel:BYTE_0 src1_sel:DWORD
	s_mov_b32 s62, -1
	s_and_saveexec_b32 s63, s72
; %bb.1160:                             ;   in Loop: Header=BB6_358 Depth=4
	s_xor_b32 s62, exec_lo, -1
; %bb.1161:                             ;   in Loop: Header=BB6_358 Depth=4
	s_or_b32 exec_lo, exec_lo, s63
	s_and_b32 s62, s62, exec_lo
	s_or_saveexec_b32 s16, s16
	v_mov_b32_e32 v21, 0x7f800001
	s_xor_b32 exec_lo, exec_lo, s16
	s_cbranch_execnz .LBB6_1797
.LBB6_1162:                             ;   in Loop: Header=BB6_358 Depth=4
	s_or_b32 exec_lo, exec_lo, s16
	s_and_saveexec_b32 s16, s62
	s_cbranch_execz .LBB6_1164
.LBB6_1163:                             ;   in Loop: Header=BB6_358 Depth=4
	v_and_b32_e32 v21, 3, v22
	v_bfe_u32 v86, v22, 2, 5
	v_ffbh_u32_e32 v87, v21
	v_cmp_eq_u32_e32 vcc_lo, 0, v86
	v_min_u32_e32 v87, 32, v87
	v_subrev_nc_u32_e32 v98, 29, v87
	v_sub_nc_u32_e32 v87, 30, v87
	v_lshlrev_b32_e32 v98, v98, v22
	v_cndmask_b32_e32 v86, v86, v87, vcc_lo
	v_lshlrev_b32_e32 v87, 24, v22
	v_and_b32_e32 v98, 3, v98
	v_lshl_add_u32 v86, v86, 23, 0x37800000
	v_and_b32_e32 v87, 0x80000000, v87
	v_cndmask_b32_e32 v21, v21, v98, vcc_lo
	v_lshlrev_b32_e32 v21, 21, v21
	v_or3_b32 v21, v87, v86, v21
.LBB6_1164:                             ;   in Loop: Header=BB6_358 Depth=4
	s_or_b32 exec_lo, exec_lo, s16
	v_cmp_gt_i16_sdwa s16, v18, v59 src0_sel:BYTE_0 src1_sel:DWORD
	s_mov_b32 s62, 0
	s_and_saveexec_b32 s63, s16
	s_xor_b32 s16, exec_lo, s63
	s_cbranch_execz .LBB6_1798
; %bb.1165:                             ;   in Loop: Header=BB6_358 Depth=4
	v_cmp_eq_u16_sdwa s72, v18, v60 src0_sel:BYTE_0 src1_sel:DWORD
	s_mov_b32 s62, -1
	s_and_saveexec_b32 s63, s72
; %bb.1166:                             ;   in Loop: Header=BB6_358 Depth=4
	s_xor_b32 s62, exec_lo, -1
; %bb.1167:                             ;   in Loop: Header=BB6_358 Depth=4
	s_or_b32 exec_lo, exec_lo, s63
	s_and_b32 s62, s62, exec_lo
	s_or_saveexec_b32 s16, s16
	v_mov_b32_e32 v86, 0x7f800001
	s_xor_b32 exec_lo, exec_lo, s16
	s_cbranch_execnz .LBB6_1799
.LBB6_1168:                             ;   in Loop: Header=BB6_358 Depth=4
	s_or_b32 exec_lo, exec_lo, s16
	s_and_saveexec_b32 s16, s62
	s_cbranch_execz .LBB6_1170
.LBB6_1169:                             ;   in Loop: Header=BB6_358 Depth=4
	v_and_b32_e32 v86, 3, v18
	v_bfe_u32 v87, v18, 2, 5
	v_ffbh_u32_e32 v98, v86
	v_cmp_eq_u32_e32 vcc_lo, 0, v87
	v_min_u32_e32 v98, 32, v98
	v_subrev_nc_u32_e32 v99, 29, v98
	v_sub_nc_u32_e32 v98, 30, v98
	v_lshlrev_b32_e32 v99, v99, v18
	v_cndmask_b32_e32 v87, v87, v98, vcc_lo
	v_lshlrev_b32_e32 v98, 24, v18
	v_and_b32_e32 v99, 3, v99
	v_lshl_add_u32 v87, v87, 23, 0x37800000
	v_and_b32_e32 v98, 0x80000000, v98
	v_cndmask_b32_e32 v86, v86, v99, vcc_lo
	v_lshlrev_b32_e32 v86, 21, v86
	v_or3_b32 v86, v98, v87, v86
.LBB6_1170:                             ;   in Loop: Header=BB6_358 Depth=4
	s_or_b32 exec_lo, exec_lo, s16
	v_mul_f32_e32 v98, v21, v86
	v_and_b32_e32 v21, 0x7f800000, v98
	v_cmp_ne_u32_e32 vcc_lo, 0x7f800000, v21
	v_mov_b32_e32 v21, 0x80
	s_and_saveexec_b32 s62, vcc_lo
	s_cbranch_execz .LBB6_1178
; %bb.1171:                             ;   in Loop: Header=BB6_358 Depth=4
	v_mov_b32_e32 v21, 0
	s_mov_b32 s63, exec_lo
	v_cmpx_ne_u32_e32 0, v98
	s_cbranch_execz .LBB6_1177
; %bb.1172:                             ;   in Loop: Header=BB6_358 Depth=4
	v_bfe_u32 v86, v98, 23, 8
	v_and_b32_e32 v21, 0x7fffff, v98
	v_cmp_gt_u32_e64 s16, 0x71, v86
	v_sub_nc_u32_e32 v87, 0x70, v86
	v_cmp_eq_u32_e32 vcc_lo, 0, v86
	v_or_b32_e32 v99, 0x800000, v21
	v_cndmask_b32_e64 v87, 0, v87, s16
	v_cndmask_b32_e32 v21, v99, v21, vcc_lo
	v_cndmask_b32_e64 v87, v87, 0x6f, vcc_lo
	v_lshl_add_u32 v99, 0x200000, v87, -1
	v_lshlrev_b32_e64 v46, v87, 0x100000
	v_and_b32_e32 v99, v99, v21
	v_cmp_eq_u32_e64 s16, v99, v46
	v_lshrrev_b32_e32 v99, v87, v21
	v_add_nc_u32_e32 v21, 0xffffff91, v86
	v_lshrrev_b32_e32 v86, 23, v99
	v_cndmask_b32_e64 v21, v21, 0xffffff92, vcc_lo
	v_xor_b32_e32 v86, 1, v86
	v_add_nc_u32_e32 v21, v87, v21
	v_bfe_u32 v87, v99, 21, 1
	v_add_nc_u32_e32 v87, -1, v87
	v_cndmask_b32_e64 v87, 0, v87, s16
	s_mov_b32 s16, exec_lo
	v_add_nc_u32_e32 v87, v87, v99
	v_and_b32_e32 v87, 0x1fffff, v87
	v_add_nc_u32_e32 v87, v87, v99
                                        ; implicit-def: $vgpr99
	v_cmpx_ne_u32_e64 v21, v86
	s_xor_b32 s16, exec_lo, s16
; %bb.1173:                             ;   in Loop: Header=BB6_358 Depth=4
	v_cmp_lt_u32_e32 vcc_lo, 0xffffff, v87
	v_sub_nc_u32_e32 v21, v21, v86
	v_cndmask_b32_e64 v86, 0, 1, vcc_lo
	v_add_co_ci_u32_e64 v99, null, 0, v21, vcc_lo
	v_lshrrev_b32_e32 v87, v86, v87
; %bb.1174:                             ;   in Loop: Header=BB6_358 Depth=4
	s_andn2_saveexec_b32 s16, s16
; %bb.1175:                             ;   in Loop: Header=BB6_358 Depth=4
	v_bfe_u32 v99, v87, 23, 1
; %bb.1176:                             ;   in Loop: Header=BB6_358 Depth=4
	s_or_b32 exec_lo, exec_lo, s16
	v_lshrrev_b32_e32 v86, 21, v87
	v_min_i32_e32 v87, 31, v99
	v_cmp_gt_i32_e32 vcc_lo, 32, v99
	v_and_b32_sdwa v21, v98, v60 dst_sel:DWORD dst_unused:UNUSED_PAD src0_sel:BYTE_3 src1_sel:DWORD
	v_lshlrev_b32_e32 v87, 2, v87
	v_cndmask_b32_e32 v86, 3, v86, vcc_lo
	v_and_b32_e32 v87, 0xfc, v87
	v_or_b32_e32 v98, v99, v86
	v_and_b32_e32 v86, 3, v86
	v_cmp_ne_u32_e32 vcc_lo, 0, v98
	v_or3_b32 v21, v87, v21, v86
	v_cndmask_b32_e32 v21, 0, v21, vcc_lo
.LBB6_1177:                             ;   in Loop: Header=BB6_358 Depth=4
	s_or_b32 exec_lo, exec_lo, s63
.LBB6_1178:                             ;   in Loop: Header=BB6_358 Depth=4
	s_or_b32 exec_lo, exec_lo, s62
	v_cmp_gt_i16_sdwa s62, v22, v59 src0_sel:BYTE_1 src1_sel:DWORD
	s_mov_b32 s16, 0
	s_and_saveexec_b32 s63, s62
	s_xor_b32 s62, exec_lo, s63
	s_cbranch_execz .LBB6_1800
; %bb.1179:                             ;   in Loop: Header=BB6_358 Depth=4
	v_cmp_eq_u16_sdwa s72, v22, v60 src0_sel:BYTE_1 src1_sel:DWORD
	s_mov_b32 s16, -1
	s_and_saveexec_b32 s63, s72
; %bb.1180:                             ;   in Loop: Header=BB6_358 Depth=4
	s_xor_b32 s16, exec_lo, -1
; %bb.1181:                             ;   in Loop: Header=BB6_358 Depth=4
	s_or_b32 exec_lo, exec_lo, s63
	s_and_b32 s16, s16, exec_lo
	s_or_saveexec_b32 s62, s62
	v_mov_b32_e32 v86, 0x7f800001
	s_xor_b32 exec_lo, exec_lo, s62
	s_cbranch_execnz .LBB6_1801
.LBB6_1182:                             ;   in Loop: Header=BB6_358 Depth=4
	s_or_b32 exec_lo, exec_lo, s62
	s_and_saveexec_b32 s62, s16
	s_cbranch_execz .LBB6_1184
.LBB6_1183:                             ;   in Loop: Header=BB6_358 Depth=4
	v_and_b32_sdwa v86, v61, v22 dst_sel:DWORD dst_unused:UNUSED_PAD src0_sel:DWORD src1_sel:BYTE_1
	v_and_b32_e32 v87, 3, v86
	v_bfe_u32 v46, v86, 2, 5
	v_ffbh_u32_e32 v98, v87
	v_cmp_eq_u32_e32 vcc_lo, 0, v46
	v_min_u32_e32 v98, 32, v98
	v_subrev_nc_u32_e32 v99, 29, v98
	v_sub_nc_u32_e32 v98, 30, v98
	v_lshlrev_b32_e32 v86, v99, v86
	v_lshlrev_b32_sdwa v99, v62, v22 dst_sel:DWORD dst_unused:UNUSED_PAD src0_sel:DWORD src1_sel:BYTE_1
	v_cndmask_b32_e32 v98, v46, v98, vcc_lo
	v_and_b32_e32 v86, 3, v86
	v_lshl_add_u32 v98, v98, 23, 0x37800000
	v_cndmask_b32_e32 v86, v87, v86, vcc_lo
	v_and_b32_e32 v87, 0x80000000, v99
	v_lshlrev_b32_e32 v86, 21, v86
	v_or3_b32 v86, v87, v98, v86
.LBB6_1184:                             ;   in Loop: Header=BB6_358 Depth=4
	s_or_b32 exec_lo, exec_lo, s62
	v_cmp_gt_i16_sdwa s62, v18, v59 src0_sel:BYTE_1 src1_sel:DWORD
	s_mov_b32 s16, 0
	s_and_saveexec_b32 s63, s62
	s_xor_b32 s62, exec_lo, s63
	s_cbranch_execz .LBB6_1802
; %bb.1185:                             ;   in Loop: Header=BB6_358 Depth=4
	v_cmp_eq_u16_sdwa s72, v18, v60 src0_sel:BYTE_1 src1_sel:DWORD
	s_mov_b32 s16, -1
	s_and_saveexec_b32 s63, s72
; %bb.1186:                             ;   in Loop: Header=BB6_358 Depth=4
	s_xor_b32 s16, exec_lo, -1
; %bb.1187:                             ;   in Loop: Header=BB6_358 Depth=4
	s_or_b32 exec_lo, exec_lo, s63
	s_and_b32 s16, s16, exec_lo
	s_or_saveexec_b32 s62, s62
	v_mov_b32_e32 v87, 0x7f800001
	s_xor_b32 exec_lo, exec_lo, s62
	s_cbranch_execnz .LBB6_1803
.LBB6_1188:                             ;   in Loop: Header=BB6_358 Depth=4
	s_or_b32 exec_lo, exec_lo, s62
	s_and_saveexec_b32 s62, s16
	s_cbranch_execz .LBB6_1190
.LBB6_1189:                             ;   in Loop: Header=BB6_358 Depth=4
	v_and_b32_sdwa v87, v61, v18 dst_sel:DWORD dst_unused:UNUSED_PAD src0_sel:DWORD src1_sel:BYTE_1
	v_and_b32_e32 v98, 3, v87
	v_bfe_u32 v58, v87, 2, 5
	v_ffbh_u32_e32 v99, v98
	v_cmp_eq_u32_e32 vcc_lo, 0, v58
	v_min_u32_e32 v99, 32, v99
	v_subrev_nc_u32_e32 v46, 29, v99
	v_sub_nc_u32_e32 v99, 30, v99
	v_lshlrev_b32_e32 v87, v46, v87
	v_lshlrev_b32_sdwa v46, v62, v18 dst_sel:DWORD dst_unused:UNUSED_PAD src0_sel:DWORD src1_sel:BYTE_1
	v_cndmask_b32_e32 v99, v58, v99, vcc_lo
	v_and_b32_e32 v87, 3, v87
	v_lshl_add_u32 v99, v99, 23, 0x37800000
	v_cndmask_b32_e32 v87, v98, v87, vcc_lo
	v_and_b32_e32 v98, 0x80000000, v46
	v_lshlrev_b32_e32 v87, 21, v87
	v_or3_b32 v87, v98, v99, v87
.LBB6_1190:                             ;   in Loop: Header=BB6_358 Depth=4
	s_or_b32 exec_lo, exec_lo, s62
	v_mul_f32_e32 v98, v86, v87
	v_mov_b32_e32 v125, 0x8000
	s_mov_b32 s62, exec_lo
	v_and_b32_e32 v86, 0x7f800000, v98
	v_cmpx_ne_u32_e32 0x7f800000, v86
	s_cbranch_execz .LBB6_1198
; %bb.1191:                             ;   in Loop: Header=BB6_358 Depth=4
	v_mov_b32_e32 v125, 0
	s_mov_b32 s63, exec_lo
	v_cmpx_ne_u32_e32 0, v98
	s_cbranch_execz .LBB6_1197
; %bb.1192:                             ;   in Loop: Header=BB6_358 Depth=4
	v_bfe_u32 v87, v98, 23, 8
	v_and_b32_e32 v86, 0x7fffff, v98
	v_cmp_gt_u32_e64 s16, 0x71, v87
	v_sub_nc_u32_e32 v99, 0x70, v87
	v_cmp_eq_u32_e32 vcc_lo, 0, v87
	v_or_b32_e32 v46, 0x800000, v86
	v_cndmask_b32_e64 v99, 0, v99, s16
	v_cndmask_b32_e32 v86, v46, v86, vcc_lo
	v_cndmask_b32_e64 v99, v99, 0x6f, vcc_lo
	v_lshl_add_u32 v46, 0x200000, v99, -1
	v_lshlrev_b32_e64 v58, v99, 0x100000
	v_and_b32_e32 v46, v46, v86
	v_cmp_eq_u32_e64 s16, v46, v58
	v_lshrrev_b32_e32 v46, v99, v86
	v_add_nc_u32_e32 v86, 0xffffff91, v87
	v_lshrrev_b32_e32 v87, 23, v46
	v_cndmask_b32_e64 v86, v86, 0xffffff92, vcc_lo
	v_xor_b32_e32 v87, 1, v87
	v_add_nc_u32_e32 v86, v99, v86
	v_bfe_u32 v99, v46, 21, 1
	v_add_nc_u32_e32 v99, -1, v99
	v_cndmask_b32_e64 v99, 0, v99, s16
	s_mov_b32 s16, exec_lo
	v_add_nc_u32_e32 v99, v99, v46
	v_and_b32_e32 v99, 0x1fffff, v99
	v_add_nc_u32_e32 v99, v99, v46
                                        ; implicit-def: $vgpr46
	v_cmpx_ne_u32_e64 v86, v87
	s_xor_b32 s16, exec_lo, s16
; %bb.1193:                             ;   in Loop: Header=BB6_358 Depth=4
	v_cmp_lt_u32_e32 vcc_lo, 0xffffff, v99
	v_sub_nc_u32_e32 v86, v86, v87
	v_cndmask_b32_e64 v87, 0, 1, vcc_lo
	v_add_co_ci_u32_e64 v46, null, 0, v86, vcc_lo
	v_lshrrev_b32_e32 v99, v87, v99
; %bb.1194:                             ;   in Loop: Header=BB6_358 Depth=4
	s_andn2_saveexec_b32 s16, s16
; %bb.1195:                             ;   in Loop: Header=BB6_358 Depth=4
	v_bfe_u32 v46, v99, 23, 1
; %bb.1196:                             ;   in Loop: Header=BB6_358 Depth=4
	s_or_b32 exec_lo, exec_lo, s16
	v_and_b32_sdwa v86, v98, v60 dst_sel:DWORD dst_unused:UNUSED_PAD src0_sel:BYTE_3 src1_sel:DWORD
	v_lshrrev_b32_e32 v87, 21, v99
	v_min_i32_e32 v98, 31, v46
	v_cmp_gt_i32_e32 vcc_lo, 32, v46
	v_lshlrev_b32_e32 v98, 2, v98
	v_cndmask_b32_e32 v87, 3, v87, vcc_lo
	v_and_b32_e32 v98, 0xfc, v98
	v_or_b32_e32 v99, v46, v87
	v_and_b32_e32 v87, 3, v87
	v_cmp_ne_u32_e32 vcc_lo, 0, v99
	v_or3_b32 v86, v86, v98, v87
	v_lshlrev_b32_e32 v86, 8, v86
	v_cndmask_b32_e32 v125, 0, v86, vcc_lo
.LBB6_1197:                             ;   in Loop: Header=BB6_358 Depth=4
	s_or_b32 exec_lo, exec_lo, s63
.LBB6_1198:                             ;   in Loop: Header=BB6_358 Depth=4
	s_or_b32 exec_lo, exec_lo, s62
	v_and_b32_sdwa v87, v22, v63 dst_sel:DWORD dst_unused:UNUSED_PAD src0_sel:WORD_1 src1_sel:DWORD
	s_mov_b32 s62, 0
	s_mov_b32 s16, exec_lo
	v_cmpx_lt_i16_e32 0x7f, v87
	s_xor_b32 s16, exec_lo, s16
	s_cbranch_execz .LBB6_1804
; %bb.1199:                             ;   in Loop: Header=BB6_358 Depth=4
	s_mov_b32 s62, -1
	s_mov_b32 s63, exec_lo
	v_cmpx_eq_u16_e32 0x80, v87
; %bb.1200:                             ;   in Loop: Header=BB6_358 Depth=4
	s_xor_b32 s62, exec_lo, -1
; %bb.1201:                             ;   in Loop: Header=BB6_358 Depth=4
	s_or_b32 exec_lo, exec_lo, s63
	s_and_b32 s62, s62, exec_lo
                                        ; implicit-def: $vgpr87
	s_or_saveexec_b32 s16, s16
	v_mov_b32_e32 v86, 0x7f800001
	s_xor_b32 exec_lo, exec_lo, s16
	s_cbranch_execnz .LBB6_1805
.LBB6_1202:                             ;   in Loop: Header=BB6_358 Depth=4
	s_or_b32 exec_lo, exec_lo, s16
	s_and_saveexec_b32 s16, s62
	s_cbranch_execz .LBB6_1204
.LBB6_1203:                             ;   in Loop: Header=BB6_358 Depth=4
	v_bfe_u32 v86, v22, 16, 2
	v_bfe_u32 v87, v22, 18, 5
	v_ffbh_u32_e32 v98, v86
	v_cmp_eq_u32_e32 vcc_lo, 0, v87
	v_min_u32_e32 v98, 32, v98
	v_subrev_nc_u32_e32 v99, 29, v98
	v_sub_nc_u32_e32 v98, 30, v98
	v_lshlrev_b32_sdwa v99, v99, v22 dst_sel:DWORD dst_unused:UNUSED_PAD src0_sel:DWORD src1_sel:WORD_1
	v_cndmask_b32_e32 v87, v87, v98, vcc_lo
	v_lshlrev_b32_e32 v98, 8, v22
	v_and_b32_e32 v99, 3, v99
	v_lshl_add_u32 v87, v87, 23, 0x37800000
	v_and_b32_e32 v98, 0x80000000, v98
	v_cndmask_b32_e32 v86, v86, v99, vcc_lo
	v_lshlrev_b32_e32 v86, 21, v86
	v_or3_b32 v86, v98, v87, v86
.LBB6_1204:                             ;   in Loop: Header=BB6_358 Depth=4
	s_or_b32 exec_lo, exec_lo, s16
	v_and_b32_sdwa v98, v18, v63 dst_sel:DWORD dst_unused:UNUSED_PAD src0_sel:WORD_1 src1_sel:DWORD
	s_mov_b32 s62, 0
	s_mov_b32 s16, exec_lo
	v_cmpx_lt_i16_e32 0x7f, v98
	s_xor_b32 s16, exec_lo, s16
	s_cbranch_execz .LBB6_1806
; %bb.1205:                             ;   in Loop: Header=BB6_358 Depth=4
	s_mov_b32 s62, -1
	s_mov_b32 s63, exec_lo
	v_cmpx_eq_u16_e32 0x80, v98
; %bb.1206:                             ;   in Loop: Header=BB6_358 Depth=4
	s_xor_b32 s62, exec_lo, -1
; %bb.1207:                             ;   in Loop: Header=BB6_358 Depth=4
	s_or_b32 exec_lo, exec_lo, s63
	s_and_b32 s62, s62, exec_lo
                                        ; implicit-def: $vgpr98
	s_or_saveexec_b32 s16, s16
	v_mov_b32_e32 v87, 0x7f800001
	s_xor_b32 exec_lo, exec_lo, s16
	s_cbranch_execnz .LBB6_1807
.LBB6_1208:                             ;   in Loop: Header=BB6_358 Depth=4
	s_or_b32 exec_lo, exec_lo, s16
	s_and_saveexec_b32 s16, s62
	s_cbranch_execz .LBB6_1210
.LBB6_1209:                             ;   in Loop: Header=BB6_358 Depth=4
	v_bfe_u32 v87, v18, 16, 2
	v_bfe_u32 v98, v18, 18, 5
	v_ffbh_u32_e32 v99, v87
	v_cmp_eq_u32_e32 vcc_lo, 0, v98
	v_min_u32_e32 v99, 32, v99
	v_subrev_nc_u32_e32 v46, 29, v99
	v_sub_nc_u32_e32 v99, 30, v99
	v_lshlrev_b32_sdwa v46, v46, v18 dst_sel:DWORD dst_unused:UNUSED_PAD src0_sel:DWORD src1_sel:WORD_1
	v_cndmask_b32_e32 v98, v98, v99, vcc_lo
	v_lshlrev_b32_e32 v99, 8, v18
	v_and_b32_e32 v46, 3, v46
	v_lshl_add_u32 v98, v98, 23, 0x37800000
	v_and_b32_e32 v99, 0x80000000, v99
	v_cndmask_b32_e32 v87, v87, v46, vcc_lo
	v_lshlrev_b32_e32 v87, 21, v87
	v_or3_b32 v87, v99, v98, v87
.LBB6_1210:                             ;   in Loop: Header=BB6_358 Depth=4
	s_or_b32 exec_lo, exec_lo, s16
	v_mul_f32_e32 v98, v86, v87
	v_mov_b32_e32 v91, 0x80
	s_mov_b32 s62, exec_lo
	v_and_b32_e32 v86, 0x7f800000, v98
	v_cmpx_ne_u32_e32 0x7f800000, v86
	s_cbranch_execz .LBB6_1218
; %bb.1211:                             ;   in Loop: Header=BB6_358 Depth=4
	v_mov_b32_e32 v91, 0
	s_mov_b32 s63, exec_lo
	v_cmpx_ne_u32_e32 0, v98
	s_cbranch_execz .LBB6_1217
; %bb.1212:                             ;   in Loop: Header=BB6_358 Depth=4
	v_bfe_u32 v87, v98, 23, 8
	v_and_b32_e32 v86, 0x7fffff, v98
	v_cmp_gt_u32_e64 s16, 0x71, v87
	v_sub_nc_u32_e32 v99, 0x70, v87
	v_cmp_eq_u32_e32 vcc_lo, 0, v87
	v_or_b32_e32 v46, 0x800000, v86
	v_cndmask_b32_e64 v99, 0, v99, s16
	v_cndmask_b32_e32 v86, v46, v86, vcc_lo
	v_cndmask_b32_e64 v99, v99, 0x6f, vcc_lo
	v_lshl_add_u32 v46, 0x200000, v99, -1
	v_lshlrev_b32_e64 v58, v99, 0x100000
	v_and_b32_e32 v46, v46, v86
	v_cmp_eq_u32_e64 s16, v46, v58
	v_lshrrev_b32_e32 v46, v99, v86
	v_add_nc_u32_e32 v86, 0xffffff91, v87
	v_lshrrev_b32_e32 v87, 23, v46
	v_cndmask_b32_e64 v86, v86, 0xffffff92, vcc_lo
	v_xor_b32_e32 v87, 1, v87
	v_add_nc_u32_e32 v86, v99, v86
	v_bfe_u32 v99, v46, 21, 1
	v_add_nc_u32_e32 v99, -1, v99
	v_cndmask_b32_e64 v99, 0, v99, s16
	s_mov_b32 s16, exec_lo
	v_add_nc_u32_e32 v99, v99, v46
	v_and_b32_e32 v99, 0x1fffff, v99
	v_add_nc_u32_e32 v99, v99, v46
                                        ; implicit-def: $vgpr46
	v_cmpx_ne_u32_e64 v86, v87
	s_xor_b32 s16, exec_lo, s16
; %bb.1213:                             ;   in Loop: Header=BB6_358 Depth=4
	v_cmp_lt_u32_e32 vcc_lo, 0xffffff, v99
	v_sub_nc_u32_e32 v86, v86, v87
	v_cndmask_b32_e64 v87, 0, 1, vcc_lo
	v_add_co_ci_u32_e64 v46, null, 0, v86, vcc_lo
	v_lshrrev_b32_e32 v99, v87, v99
; %bb.1214:                             ;   in Loop: Header=BB6_358 Depth=4
	s_andn2_saveexec_b32 s16, s16
; %bb.1215:                             ;   in Loop: Header=BB6_358 Depth=4
	v_bfe_u32 v46, v99, 23, 1
; %bb.1216:                             ;   in Loop: Header=BB6_358 Depth=4
	s_or_b32 exec_lo, exec_lo, s16
	v_and_b32_sdwa v86, v98, v60 dst_sel:DWORD dst_unused:UNUSED_PAD src0_sel:BYTE_3 src1_sel:DWORD
	v_lshrrev_b32_e32 v87, 21, v99
	v_min_i32_e32 v98, 31, v46
	v_cmp_gt_i32_e32 vcc_lo, 32, v46
	v_lshlrev_b32_e32 v98, 2, v98
	v_cndmask_b32_e32 v87, 3, v87, vcc_lo
	v_and_b32_e32 v98, 0xfc, v98
	v_or_b32_e32 v99, v46, v87
	v_and_b32_e32 v87, 3, v87
	v_cmp_ne_u32_e32 vcc_lo, 0, v99
	v_or3_b32 v86, v98, v86, v87
	v_cndmask_b32_e32 v91, 0, v86, vcc_lo
.LBB6_1217:                             ;   in Loop: Header=BB6_358 Depth=4
	s_or_b32 exec_lo, exec_lo, s63
.LBB6_1218:                             ;   in Loop: Header=BB6_358 Depth=4
	s_or_b32 exec_lo, exec_lo, s62
	v_cmp_gt_i16_sdwa s62, v22, v59 src0_sel:BYTE_3 src1_sel:DWORD
	s_mov_b32 s16, 0
	s_and_saveexec_b32 s63, s62
	s_xor_b32 s62, exec_lo, s63
	s_cbranch_execz .LBB6_1808
; %bb.1219:                             ;   in Loop: Header=BB6_358 Depth=4
	v_cmp_eq_u16_sdwa s72, v22, v60 src0_sel:BYTE_3 src1_sel:DWORD
	s_mov_b32 s16, -1
	s_and_saveexec_b32 s63, s72
; %bb.1220:                             ;   in Loop: Header=BB6_358 Depth=4
	s_xor_b32 s16, exec_lo, -1
; %bb.1221:                             ;   in Loop: Header=BB6_358 Depth=4
	s_or_b32 exec_lo, exec_lo, s63
	s_and_b32 s16, s16, exec_lo
	s_or_saveexec_b32 s62, s62
	v_mov_b32_e32 v86, 0x7f800001
	s_xor_b32 exec_lo, exec_lo, s62
	s_cbranch_execnz .LBB6_1809
.LBB6_1222:                             ;   in Loop: Header=BB6_358 Depth=4
	s_or_b32 exec_lo, exec_lo, s62
	s_and_saveexec_b32 s62, s16
	s_cbranch_execz .LBB6_1224
.LBB6_1223:                             ;   in Loop: Header=BB6_358 Depth=4
	v_bfe_u32 v86, v22, 24, 2
	v_bfe_u32 v99, v22, 26, 5
	v_ffbh_u32_e32 v87, v86
	v_cmp_eq_u32_e32 vcc_lo, 0, v99
	v_min_u32_e32 v87, 32, v87
	v_subrev_nc_u32_e32 v98, 29, v87
	v_sub_nc_u32_e32 v87, 30, v87
	v_lshlrev_b32_sdwa v98, v98, v22 dst_sel:DWORD dst_unused:UNUSED_PAD src0_sel:DWORD src1_sel:BYTE_3
	v_cndmask_b32_e32 v87, v99, v87, vcc_lo
	v_and_b32_e32 v22, 0x80000000, v22
	v_and_b32_e32 v98, 3, v98
	v_lshl_add_u32 v87, v87, 23, 0x37800000
	v_cndmask_b32_e32 v86, v86, v98, vcc_lo
	v_lshlrev_b32_e32 v86, 21, v86
	v_or3_b32 v86, v22, v87, v86
.LBB6_1224:                             ;   in Loop: Header=BB6_358 Depth=4
	s_or_b32 exec_lo, exec_lo, s62
	v_cmp_gt_i16_sdwa s62, v18, v59 src0_sel:BYTE_3 src1_sel:DWORD
	s_mov_b32 s16, 0
	s_and_saveexec_b32 s63, s62
	s_xor_b32 s62, exec_lo, s63
	s_cbranch_execz .LBB6_1810
; %bb.1225:                             ;   in Loop: Header=BB6_358 Depth=4
	v_cmp_eq_u16_sdwa s72, v18, v60 src0_sel:BYTE_3 src1_sel:DWORD
	s_mov_b32 s16, -1
	s_and_saveexec_b32 s63, s72
; %bb.1226:                             ;   in Loop: Header=BB6_358 Depth=4
	s_xor_b32 s16, exec_lo, -1
; %bb.1227:                             ;   in Loop: Header=BB6_358 Depth=4
	s_or_b32 exec_lo, exec_lo, s63
	s_and_b32 s16, s16, exec_lo
	s_or_saveexec_b32 s62, s62
	v_mov_b32_e32 v22, 0x7f800001
	s_xor_b32 exec_lo, exec_lo, s62
	s_cbranch_execnz .LBB6_1811
.LBB6_1228:                             ;   in Loop: Header=BB6_358 Depth=4
	s_or_b32 exec_lo, exec_lo, s62
	s_and_saveexec_b32 s62, s16
	s_cbranch_execz .LBB6_1230
.LBB6_1229:                             ;   in Loop: Header=BB6_358 Depth=4
	v_bfe_u32 v22, v18, 24, 2
	v_bfe_u32 v99, v18, 26, 5
	v_ffbh_u32_e32 v87, v22
	v_cmp_eq_u32_e32 vcc_lo, 0, v99
	v_min_u32_e32 v87, 32, v87
	v_subrev_nc_u32_e32 v98, 29, v87
	v_sub_nc_u32_e32 v87, 30, v87
	v_lshlrev_b32_sdwa v98, v98, v18 dst_sel:DWORD dst_unused:UNUSED_PAD src0_sel:DWORD src1_sel:BYTE_3
	v_cndmask_b32_e32 v87, v99, v87, vcc_lo
	v_and_b32_e32 v18, 0x80000000, v18
	v_and_b32_e32 v98, 3, v98
	v_lshl_add_u32 v87, v87, 23, 0x37800000
	v_cndmask_b32_e32 v22, v22, v98, vcc_lo
	v_lshlrev_b32_e32 v22, 21, v22
	v_or3_b32 v22, v18, v87, v22
.LBB6_1230:                             ;   in Loop: Header=BB6_358 Depth=4
	s_or_b32 exec_lo, exec_lo, s62
	v_mul_f32_e32 v22, v86, v22
	v_and_b32_e32 v18, 0x7f800000, v22
	v_cmp_ne_u32_e32 vcc_lo, 0x7f800000, v18
	v_mov_b32_e32 v18, 0x8000
	s_and_saveexec_b32 s62, vcc_lo
	s_cbranch_execz .LBB6_1238
; %bb.1231:                             ;   in Loop: Header=BB6_358 Depth=4
	v_mov_b32_e32 v18, 0
	s_mov_b32 s63, exec_lo
	v_cmpx_ne_u32_e32 0, v22
	s_cbranch_execz .LBB6_1237
; %bb.1232:                             ;   in Loop: Header=BB6_358 Depth=4
	v_bfe_u32 v86, v22, 23, 8
	v_and_b32_e32 v18, 0x7fffff, v22
	v_cmp_gt_u32_e64 s16, 0x71, v86
	v_sub_nc_u32_e32 v87, 0x70, v86
	v_cmp_eq_u32_e32 vcc_lo, 0, v86
	v_or_b32_e32 v98, 0x800000, v18
	v_cndmask_b32_e64 v87, 0, v87, s16
	v_cndmask_b32_e32 v18, v98, v18, vcc_lo
	v_cndmask_b32_e64 v87, v87, 0x6f, vcc_lo
	v_lshl_add_u32 v98, 0x200000, v87, -1
	v_lshlrev_b32_e64 v99, v87, 0x100000
	v_and_b32_e32 v98, v98, v18
	v_cmp_eq_u32_e64 s16, v98, v99
	v_lshrrev_b32_e32 v98, v87, v18
	v_add_nc_u32_e32 v18, 0xffffff91, v86
	v_lshrrev_b32_e32 v86, 23, v98
	v_cndmask_b32_e64 v18, v18, 0xffffff92, vcc_lo
	v_xor_b32_e32 v86, 1, v86
	v_add_nc_u32_e32 v18, v87, v18
	v_bfe_u32 v87, v98, 21, 1
	v_add_nc_u32_e32 v87, -1, v87
	v_cndmask_b32_e64 v87, 0, v87, s16
	s_mov_b32 s16, exec_lo
	v_add_nc_u32_e32 v87, v87, v98
	v_and_b32_e32 v87, 0x1fffff, v87
	v_add_nc_u32_e32 v87, v87, v98
                                        ; implicit-def: $vgpr98
	v_cmpx_ne_u32_e64 v18, v86
	s_xor_b32 s16, exec_lo, s16
; %bb.1233:                             ;   in Loop: Header=BB6_358 Depth=4
	v_cmp_lt_u32_e32 vcc_lo, 0xffffff, v87
	v_sub_nc_u32_e32 v18, v18, v86
	v_cndmask_b32_e64 v86, 0, 1, vcc_lo
	v_add_co_ci_u32_e64 v98, null, 0, v18, vcc_lo
	v_lshrrev_b32_e32 v87, v86, v87
; %bb.1234:                             ;   in Loop: Header=BB6_358 Depth=4
	s_andn2_saveexec_b32 s16, s16
; %bb.1235:                             ;   in Loop: Header=BB6_358 Depth=4
	v_bfe_u32 v98, v87, 23, 1
; %bb.1236:                             ;   in Loop: Header=BB6_358 Depth=4
	s_or_b32 exec_lo, exec_lo, s16
	v_and_b32_sdwa v18, v22, v60 dst_sel:DWORD dst_unused:UNUSED_PAD src0_sel:BYTE_3 src1_sel:DWORD
	v_lshrrev_b32_e32 v22, 21, v87
	v_min_i32_e32 v86, 31, v98
	v_cmp_gt_i32_e32 vcc_lo, 32, v98
	v_lshlrev_b32_e32 v86, 2, v86
	v_cndmask_b32_e32 v22, 3, v22, vcc_lo
	v_and_b32_e32 v86, 0xfc, v86
	v_or_b32_e32 v87, v98, v22
	v_and_b32_e32 v22, 3, v22
	v_cmp_ne_u32_e32 vcc_lo, 0, v87
	v_or3_b32 v18, v18, v86, v22
	v_lshlrev_b32_e32 v18, 8, v18
	v_cndmask_b32_e32 v18, 0, v18, vcc_lo
.LBB6_1237:                             ;   in Loop: Header=BB6_358 Depth=4
	s_or_b32 exec_lo, exec_lo, s63
.LBB6_1238:                             ;   in Loop: Header=BB6_358 Depth=4
	s_or_b32 exec_lo, exec_lo, s62
	v_cmp_gt_i16_sdwa s16, v23, v59 src0_sel:BYTE_0 src1_sel:DWORD
	s_mov_b32 s62, 0
	s_and_saveexec_b32 s63, s16
	s_xor_b32 s16, exec_lo, s63
	s_cbranch_execz .LBB6_1812
; %bb.1239:                             ;   in Loop: Header=BB6_358 Depth=4
	v_cmp_eq_u16_sdwa s72, v23, v60 src0_sel:BYTE_0 src1_sel:DWORD
	s_mov_b32 s62, -1
	s_and_saveexec_b32 s63, s72
; %bb.1240:                             ;   in Loop: Header=BB6_358 Depth=4
	s_xor_b32 s62, exec_lo, -1
; %bb.1241:                             ;   in Loop: Header=BB6_358 Depth=4
	s_or_b32 exec_lo, exec_lo, s63
	s_and_b32 s62, s62, exec_lo
	s_or_saveexec_b32 s16, s16
	v_mov_b32_e32 v22, 0x7f800001
	s_xor_b32 exec_lo, exec_lo, s16
	s_cbranch_execnz .LBB6_1813
.LBB6_1242:                             ;   in Loop: Header=BB6_358 Depth=4
	s_or_b32 exec_lo, exec_lo, s16
	s_and_saveexec_b32 s16, s62
	s_cbranch_execz .LBB6_1244
.LBB6_1243:                             ;   in Loop: Header=BB6_358 Depth=4
	v_and_b32_e32 v22, 3, v23
	v_bfe_u32 v86, v23, 2, 5
	v_ffbh_u32_e32 v87, v22
	v_cmp_eq_u32_e32 vcc_lo, 0, v86
	v_min_u32_e32 v87, 32, v87
	v_subrev_nc_u32_e32 v98, 29, v87
	v_sub_nc_u32_e32 v87, 30, v87
	v_lshlrev_b32_e32 v98, v98, v23
	v_cndmask_b32_e32 v86, v86, v87, vcc_lo
	v_lshlrev_b32_e32 v87, 24, v23
	v_and_b32_e32 v98, 3, v98
	v_lshl_add_u32 v86, v86, 23, 0x37800000
	v_and_b32_e32 v87, 0x80000000, v87
	v_cndmask_b32_e32 v22, v22, v98, vcc_lo
	v_lshlrev_b32_e32 v22, 21, v22
	v_or3_b32 v22, v87, v86, v22
.LBB6_1244:                             ;   in Loop: Header=BB6_358 Depth=4
	s_or_b32 exec_lo, exec_lo, s16
	v_cmp_gt_i16_sdwa s16, v19, v59 src0_sel:BYTE_0 src1_sel:DWORD
	s_mov_b32 s62, 0
	s_and_saveexec_b32 s63, s16
	s_xor_b32 s16, exec_lo, s63
	s_cbranch_execz .LBB6_1814
; %bb.1245:                             ;   in Loop: Header=BB6_358 Depth=4
	v_cmp_eq_u16_sdwa s72, v19, v60 src0_sel:BYTE_0 src1_sel:DWORD
	s_mov_b32 s62, -1
	s_and_saveexec_b32 s63, s72
; %bb.1246:                             ;   in Loop: Header=BB6_358 Depth=4
	s_xor_b32 s62, exec_lo, -1
; %bb.1247:                             ;   in Loop: Header=BB6_358 Depth=4
	s_or_b32 exec_lo, exec_lo, s63
	s_and_b32 s62, s62, exec_lo
	s_or_saveexec_b32 s16, s16
	v_mov_b32_e32 v86, 0x7f800001
	s_xor_b32 exec_lo, exec_lo, s16
	s_cbranch_execnz .LBB6_1815
.LBB6_1248:                             ;   in Loop: Header=BB6_358 Depth=4
	s_or_b32 exec_lo, exec_lo, s16
	s_and_saveexec_b32 s16, s62
	s_cbranch_execz .LBB6_1250
.LBB6_1249:                             ;   in Loop: Header=BB6_358 Depth=4
	v_and_b32_e32 v86, 3, v19
	v_bfe_u32 v87, v19, 2, 5
	v_ffbh_u32_e32 v98, v86
	v_cmp_eq_u32_e32 vcc_lo, 0, v87
	v_min_u32_e32 v98, 32, v98
	v_subrev_nc_u32_e32 v99, 29, v98
	v_sub_nc_u32_e32 v98, 30, v98
	v_lshlrev_b32_e32 v99, v99, v19
	v_cndmask_b32_e32 v87, v87, v98, vcc_lo
	v_lshlrev_b32_e32 v98, 24, v19
	v_and_b32_e32 v99, 3, v99
	v_lshl_add_u32 v87, v87, 23, 0x37800000
	v_and_b32_e32 v98, 0x80000000, v98
	v_cndmask_b32_e32 v86, v86, v99, vcc_lo
	v_lshlrev_b32_e32 v86, 21, v86
	v_or3_b32 v86, v98, v87, v86
.LBB6_1250:                             ;   in Loop: Header=BB6_358 Depth=4
	s_or_b32 exec_lo, exec_lo, s16
	v_mul_f32_e32 v98, v22, v86
	v_and_b32_e32 v22, 0x7f800000, v98
	v_cmp_ne_u32_e32 vcc_lo, 0x7f800000, v22
	v_mov_b32_e32 v22, 0x80
	s_and_saveexec_b32 s62, vcc_lo
	s_cbranch_execz .LBB6_1258
; %bb.1251:                             ;   in Loop: Header=BB6_358 Depth=4
	v_mov_b32_e32 v22, 0
	s_mov_b32 s63, exec_lo
	v_cmpx_ne_u32_e32 0, v98
	s_cbranch_execz .LBB6_1257
; %bb.1252:                             ;   in Loop: Header=BB6_358 Depth=4
	v_bfe_u32 v86, v98, 23, 8
	v_and_b32_e32 v22, 0x7fffff, v98
	v_cmp_gt_u32_e64 s16, 0x71, v86
	v_sub_nc_u32_e32 v87, 0x70, v86
	v_cmp_eq_u32_e32 vcc_lo, 0, v86
	v_or_b32_e32 v99, 0x800000, v22
	v_cndmask_b32_e64 v87, 0, v87, s16
	v_cndmask_b32_e32 v22, v99, v22, vcc_lo
	v_cndmask_b32_e64 v87, v87, 0x6f, vcc_lo
	v_lshl_add_u32 v99, 0x200000, v87, -1
	v_lshlrev_b32_e64 v46, v87, 0x100000
	v_and_b32_e32 v99, v99, v22
	v_cmp_eq_u32_e64 s16, v99, v46
	v_lshrrev_b32_e32 v99, v87, v22
	v_add_nc_u32_e32 v22, 0xffffff91, v86
	v_lshrrev_b32_e32 v86, 23, v99
	v_cndmask_b32_e64 v22, v22, 0xffffff92, vcc_lo
	v_xor_b32_e32 v86, 1, v86
	v_add_nc_u32_e32 v22, v87, v22
	v_bfe_u32 v87, v99, 21, 1
	v_add_nc_u32_e32 v87, -1, v87
	v_cndmask_b32_e64 v87, 0, v87, s16
	s_mov_b32 s16, exec_lo
	v_add_nc_u32_e32 v87, v87, v99
	v_and_b32_e32 v87, 0x1fffff, v87
	v_add_nc_u32_e32 v87, v87, v99
                                        ; implicit-def: $vgpr99
	v_cmpx_ne_u32_e64 v22, v86
	s_xor_b32 s16, exec_lo, s16
; %bb.1253:                             ;   in Loop: Header=BB6_358 Depth=4
	v_cmp_lt_u32_e32 vcc_lo, 0xffffff, v87
	v_sub_nc_u32_e32 v22, v22, v86
	v_cndmask_b32_e64 v86, 0, 1, vcc_lo
	v_add_co_ci_u32_e64 v99, null, 0, v22, vcc_lo
	v_lshrrev_b32_e32 v87, v86, v87
; %bb.1254:                             ;   in Loop: Header=BB6_358 Depth=4
	s_andn2_saveexec_b32 s16, s16
; %bb.1255:                             ;   in Loop: Header=BB6_358 Depth=4
	v_bfe_u32 v99, v87, 23, 1
; %bb.1256:                             ;   in Loop: Header=BB6_358 Depth=4
	s_or_b32 exec_lo, exec_lo, s16
	v_lshrrev_b32_e32 v86, 21, v87
	v_min_i32_e32 v87, 31, v99
	v_cmp_gt_i32_e32 vcc_lo, 32, v99
	v_and_b32_sdwa v22, v98, v60 dst_sel:DWORD dst_unused:UNUSED_PAD src0_sel:BYTE_3 src1_sel:DWORD
	v_lshlrev_b32_e32 v87, 2, v87
	v_cndmask_b32_e32 v86, 3, v86, vcc_lo
	v_and_b32_e32 v87, 0xfc, v87
	v_or_b32_e32 v98, v99, v86
	v_and_b32_e32 v86, 3, v86
	v_cmp_ne_u32_e32 vcc_lo, 0, v98
	v_or3_b32 v22, v87, v22, v86
	v_cndmask_b32_e32 v22, 0, v22, vcc_lo
.LBB6_1257:                             ;   in Loop: Header=BB6_358 Depth=4
	s_or_b32 exec_lo, exec_lo, s63
.LBB6_1258:                             ;   in Loop: Header=BB6_358 Depth=4
	s_or_b32 exec_lo, exec_lo, s62
	v_cmp_gt_i16_sdwa s62, v23, v59 src0_sel:BYTE_1 src1_sel:DWORD
	s_mov_b32 s16, 0
	s_and_saveexec_b32 s63, s62
	s_xor_b32 s62, exec_lo, s63
	s_cbranch_execz .LBB6_1816
; %bb.1259:                             ;   in Loop: Header=BB6_358 Depth=4
	v_cmp_eq_u16_sdwa s72, v23, v60 src0_sel:BYTE_1 src1_sel:DWORD
	s_mov_b32 s16, -1
	s_and_saveexec_b32 s63, s72
; %bb.1260:                             ;   in Loop: Header=BB6_358 Depth=4
	s_xor_b32 s16, exec_lo, -1
; %bb.1261:                             ;   in Loop: Header=BB6_358 Depth=4
	s_or_b32 exec_lo, exec_lo, s63
	s_and_b32 s16, s16, exec_lo
	s_or_saveexec_b32 s62, s62
	v_mov_b32_e32 v86, 0x7f800001
	s_xor_b32 exec_lo, exec_lo, s62
	s_cbranch_execnz .LBB6_1817
.LBB6_1262:                             ;   in Loop: Header=BB6_358 Depth=4
	s_or_b32 exec_lo, exec_lo, s62
	s_and_saveexec_b32 s62, s16
	s_cbranch_execz .LBB6_1264
.LBB6_1263:                             ;   in Loop: Header=BB6_358 Depth=4
	v_and_b32_sdwa v86, v61, v23 dst_sel:DWORD dst_unused:UNUSED_PAD src0_sel:DWORD src1_sel:BYTE_1
	v_and_b32_e32 v87, 3, v86
	v_bfe_u32 v46, v86, 2, 5
	v_ffbh_u32_e32 v98, v87
	v_cmp_eq_u32_e32 vcc_lo, 0, v46
	v_min_u32_e32 v98, 32, v98
	v_subrev_nc_u32_e32 v99, 29, v98
	v_sub_nc_u32_e32 v98, 30, v98
	v_lshlrev_b32_e32 v86, v99, v86
	v_lshlrev_b32_sdwa v99, v62, v23 dst_sel:DWORD dst_unused:UNUSED_PAD src0_sel:DWORD src1_sel:BYTE_1
	v_cndmask_b32_e32 v98, v46, v98, vcc_lo
	v_and_b32_e32 v86, 3, v86
	v_lshl_add_u32 v98, v98, 23, 0x37800000
	v_cndmask_b32_e32 v86, v87, v86, vcc_lo
	v_and_b32_e32 v87, 0x80000000, v99
	v_lshlrev_b32_e32 v86, 21, v86
	v_or3_b32 v86, v87, v98, v86
.LBB6_1264:                             ;   in Loop: Header=BB6_358 Depth=4
	s_or_b32 exec_lo, exec_lo, s62
	v_cmp_gt_i16_sdwa s62, v19, v59 src0_sel:BYTE_1 src1_sel:DWORD
	s_mov_b32 s16, 0
	s_and_saveexec_b32 s63, s62
	s_xor_b32 s62, exec_lo, s63
	s_cbranch_execz .LBB6_1818
; %bb.1265:                             ;   in Loop: Header=BB6_358 Depth=4
	v_cmp_eq_u16_sdwa s72, v19, v60 src0_sel:BYTE_1 src1_sel:DWORD
	s_mov_b32 s16, -1
	s_and_saveexec_b32 s63, s72
; %bb.1266:                             ;   in Loop: Header=BB6_358 Depth=4
	s_xor_b32 s16, exec_lo, -1
; %bb.1267:                             ;   in Loop: Header=BB6_358 Depth=4
	s_or_b32 exec_lo, exec_lo, s63
	s_and_b32 s16, s16, exec_lo
	s_or_saveexec_b32 s62, s62
	v_mov_b32_e32 v87, 0x7f800001
	s_xor_b32 exec_lo, exec_lo, s62
	s_cbranch_execnz .LBB6_1819
.LBB6_1268:                             ;   in Loop: Header=BB6_358 Depth=4
	s_or_b32 exec_lo, exec_lo, s62
	s_and_saveexec_b32 s62, s16
	s_cbranch_execz .LBB6_1270
.LBB6_1269:                             ;   in Loop: Header=BB6_358 Depth=4
	v_and_b32_sdwa v87, v61, v19 dst_sel:DWORD dst_unused:UNUSED_PAD src0_sel:DWORD src1_sel:BYTE_1
	v_and_b32_e32 v98, 3, v87
	v_bfe_u32 v58, v87, 2, 5
	v_ffbh_u32_e32 v99, v98
	v_cmp_eq_u32_e32 vcc_lo, 0, v58
	v_min_u32_e32 v99, 32, v99
	v_subrev_nc_u32_e32 v46, 29, v99
	v_sub_nc_u32_e32 v99, 30, v99
	v_lshlrev_b32_e32 v87, v46, v87
	v_lshlrev_b32_sdwa v46, v62, v19 dst_sel:DWORD dst_unused:UNUSED_PAD src0_sel:DWORD src1_sel:BYTE_1
	v_cndmask_b32_e32 v99, v58, v99, vcc_lo
	v_and_b32_e32 v87, 3, v87
	v_lshl_add_u32 v99, v99, 23, 0x37800000
	v_cndmask_b32_e32 v87, v98, v87, vcc_lo
	v_and_b32_e32 v98, 0x80000000, v46
	v_lshlrev_b32_e32 v87, 21, v87
	v_or3_b32 v87, v98, v99, v87
.LBB6_1270:                             ;   in Loop: Header=BB6_358 Depth=4
	s_or_b32 exec_lo, exec_lo, s62
	v_mul_f32_e32 v98, v86, v87
	v_mov_b32_e32 v107, 0x8000
	s_mov_b32 s62, exec_lo
	v_and_b32_e32 v86, 0x7f800000, v98
	v_cmpx_ne_u32_e32 0x7f800000, v86
	s_cbranch_execz .LBB6_1278
; %bb.1271:                             ;   in Loop: Header=BB6_358 Depth=4
	v_mov_b32_e32 v107, 0
	s_mov_b32 s63, exec_lo
	v_cmpx_ne_u32_e32 0, v98
	s_cbranch_execz .LBB6_1277
; %bb.1272:                             ;   in Loop: Header=BB6_358 Depth=4
	v_bfe_u32 v87, v98, 23, 8
	v_and_b32_e32 v86, 0x7fffff, v98
	v_cmp_gt_u32_e64 s16, 0x71, v87
	v_sub_nc_u32_e32 v99, 0x70, v87
	v_cmp_eq_u32_e32 vcc_lo, 0, v87
	v_or_b32_e32 v46, 0x800000, v86
	v_cndmask_b32_e64 v99, 0, v99, s16
	v_cndmask_b32_e32 v86, v46, v86, vcc_lo
	v_cndmask_b32_e64 v99, v99, 0x6f, vcc_lo
	v_lshl_add_u32 v46, 0x200000, v99, -1
	v_lshlrev_b32_e64 v58, v99, 0x100000
	v_and_b32_e32 v46, v46, v86
	v_cmp_eq_u32_e64 s16, v46, v58
	v_lshrrev_b32_e32 v46, v99, v86
	v_add_nc_u32_e32 v86, 0xffffff91, v87
	v_lshrrev_b32_e32 v87, 23, v46
	v_cndmask_b32_e64 v86, v86, 0xffffff92, vcc_lo
	v_xor_b32_e32 v87, 1, v87
	v_add_nc_u32_e32 v86, v99, v86
	v_bfe_u32 v99, v46, 21, 1
	v_add_nc_u32_e32 v99, -1, v99
	v_cndmask_b32_e64 v99, 0, v99, s16
	s_mov_b32 s16, exec_lo
	v_add_nc_u32_e32 v99, v99, v46
	v_and_b32_e32 v99, 0x1fffff, v99
	v_add_nc_u32_e32 v99, v99, v46
                                        ; implicit-def: $vgpr46
	v_cmpx_ne_u32_e64 v86, v87
	s_xor_b32 s16, exec_lo, s16
; %bb.1273:                             ;   in Loop: Header=BB6_358 Depth=4
	v_cmp_lt_u32_e32 vcc_lo, 0xffffff, v99
	v_sub_nc_u32_e32 v86, v86, v87
	v_cndmask_b32_e64 v87, 0, 1, vcc_lo
	v_add_co_ci_u32_e64 v46, null, 0, v86, vcc_lo
	v_lshrrev_b32_e32 v99, v87, v99
; %bb.1274:                             ;   in Loop: Header=BB6_358 Depth=4
	s_andn2_saveexec_b32 s16, s16
; %bb.1275:                             ;   in Loop: Header=BB6_358 Depth=4
	v_bfe_u32 v46, v99, 23, 1
; %bb.1276:                             ;   in Loop: Header=BB6_358 Depth=4
	s_or_b32 exec_lo, exec_lo, s16
	v_and_b32_sdwa v86, v98, v60 dst_sel:DWORD dst_unused:UNUSED_PAD src0_sel:BYTE_3 src1_sel:DWORD
	v_lshrrev_b32_e32 v87, 21, v99
	v_min_i32_e32 v98, 31, v46
	v_cmp_gt_i32_e32 vcc_lo, 32, v46
	v_lshlrev_b32_e32 v98, 2, v98
	v_cndmask_b32_e32 v87, 3, v87, vcc_lo
	v_and_b32_e32 v98, 0xfc, v98
	v_or_b32_e32 v99, v46, v87
	v_and_b32_e32 v87, 3, v87
	v_cmp_ne_u32_e32 vcc_lo, 0, v99
	v_or3_b32 v86, v86, v98, v87
	v_lshlrev_b32_e32 v86, 8, v86
	v_cndmask_b32_e32 v107, 0, v86, vcc_lo
.LBB6_1277:                             ;   in Loop: Header=BB6_358 Depth=4
	s_or_b32 exec_lo, exec_lo, s63
.LBB6_1278:                             ;   in Loop: Header=BB6_358 Depth=4
	s_or_b32 exec_lo, exec_lo, s62
	v_and_b32_sdwa v87, v23, v63 dst_sel:DWORD dst_unused:UNUSED_PAD src0_sel:WORD_1 src1_sel:DWORD
	s_mov_b32 s62, 0
	s_mov_b32 s16, exec_lo
	v_cmpx_lt_i16_e32 0x7f, v87
	s_xor_b32 s16, exec_lo, s16
	s_cbranch_execz .LBB6_1820
; %bb.1279:                             ;   in Loop: Header=BB6_358 Depth=4
	s_mov_b32 s62, -1
	s_mov_b32 s63, exec_lo
	v_cmpx_eq_u16_e32 0x80, v87
; %bb.1280:                             ;   in Loop: Header=BB6_358 Depth=4
	s_xor_b32 s62, exec_lo, -1
; %bb.1281:                             ;   in Loop: Header=BB6_358 Depth=4
	s_or_b32 exec_lo, exec_lo, s63
	s_and_b32 s62, s62, exec_lo
                                        ; implicit-def: $vgpr87
	s_or_saveexec_b32 s16, s16
	v_mov_b32_e32 v86, 0x7f800001
	s_xor_b32 exec_lo, exec_lo, s16
	s_cbranch_execnz .LBB6_1821
.LBB6_1282:                             ;   in Loop: Header=BB6_358 Depth=4
	s_or_b32 exec_lo, exec_lo, s16
	s_and_saveexec_b32 s16, s62
	s_cbranch_execz .LBB6_1284
.LBB6_1283:                             ;   in Loop: Header=BB6_358 Depth=4
	v_bfe_u32 v86, v23, 16, 2
	v_bfe_u32 v87, v23, 18, 5
	v_ffbh_u32_e32 v98, v86
	v_cmp_eq_u32_e32 vcc_lo, 0, v87
	v_min_u32_e32 v98, 32, v98
	v_subrev_nc_u32_e32 v99, 29, v98
	v_sub_nc_u32_e32 v98, 30, v98
	v_lshlrev_b32_sdwa v99, v99, v23 dst_sel:DWORD dst_unused:UNUSED_PAD src0_sel:DWORD src1_sel:WORD_1
	v_cndmask_b32_e32 v87, v87, v98, vcc_lo
	v_lshlrev_b32_e32 v98, 8, v23
	v_and_b32_e32 v99, 3, v99
	v_lshl_add_u32 v87, v87, 23, 0x37800000
	v_and_b32_e32 v98, 0x80000000, v98
	v_cndmask_b32_e32 v86, v86, v99, vcc_lo
	v_lshlrev_b32_e32 v86, 21, v86
	v_or3_b32 v86, v98, v87, v86
.LBB6_1284:                             ;   in Loop: Header=BB6_358 Depth=4
	s_or_b32 exec_lo, exec_lo, s16
	v_and_b32_sdwa v98, v19, v63 dst_sel:DWORD dst_unused:UNUSED_PAD src0_sel:WORD_1 src1_sel:DWORD
	s_mov_b32 s62, 0
	s_mov_b32 s16, exec_lo
	v_cmpx_lt_i16_e32 0x7f, v98
	s_xor_b32 s16, exec_lo, s16
	s_cbranch_execz .LBB6_1822
; %bb.1285:                             ;   in Loop: Header=BB6_358 Depth=4
	s_mov_b32 s62, -1
	s_mov_b32 s63, exec_lo
	v_cmpx_eq_u16_e32 0x80, v98
; %bb.1286:                             ;   in Loop: Header=BB6_358 Depth=4
	s_xor_b32 s62, exec_lo, -1
; %bb.1287:                             ;   in Loop: Header=BB6_358 Depth=4
	s_or_b32 exec_lo, exec_lo, s63
	s_and_b32 s62, s62, exec_lo
                                        ; implicit-def: $vgpr98
	s_or_saveexec_b32 s16, s16
	v_mov_b32_e32 v87, 0x7f800001
	s_xor_b32 exec_lo, exec_lo, s16
	s_cbranch_execnz .LBB6_1823
.LBB6_1288:                             ;   in Loop: Header=BB6_358 Depth=4
	s_or_b32 exec_lo, exec_lo, s16
	s_and_saveexec_b32 s16, s62
	s_cbranch_execz .LBB6_1290
.LBB6_1289:                             ;   in Loop: Header=BB6_358 Depth=4
	v_bfe_u32 v87, v19, 16, 2
	v_bfe_u32 v98, v19, 18, 5
	v_ffbh_u32_e32 v99, v87
	v_cmp_eq_u32_e32 vcc_lo, 0, v98
	v_min_u32_e32 v99, 32, v99
	v_subrev_nc_u32_e32 v46, 29, v99
	v_sub_nc_u32_e32 v99, 30, v99
	v_lshlrev_b32_sdwa v46, v46, v19 dst_sel:DWORD dst_unused:UNUSED_PAD src0_sel:DWORD src1_sel:WORD_1
	v_cndmask_b32_e32 v98, v98, v99, vcc_lo
	v_lshlrev_b32_e32 v99, 8, v19
	v_and_b32_e32 v46, 3, v46
	v_lshl_add_u32 v98, v98, 23, 0x37800000
	v_and_b32_e32 v99, 0x80000000, v99
	v_cndmask_b32_e32 v87, v87, v46, vcc_lo
	v_lshlrev_b32_e32 v87, 21, v87
	v_or3_b32 v87, v99, v98, v87
.LBB6_1290:                             ;   in Loop: Header=BB6_358 Depth=4
	s_or_b32 exec_lo, exec_lo, s16
	v_mul_f32_e32 v98, v86, v87
	v_mov_b32_e32 v126, 0x80
	s_mov_b32 s62, exec_lo
	v_and_b32_e32 v86, 0x7f800000, v98
	v_cmpx_ne_u32_e32 0x7f800000, v86
	s_cbranch_execz .LBB6_1298
; %bb.1291:                             ;   in Loop: Header=BB6_358 Depth=4
	v_mov_b32_e32 v126, 0
	s_mov_b32 s63, exec_lo
	v_cmpx_ne_u32_e32 0, v98
	s_cbranch_execz .LBB6_1297
; %bb.1292:                             ;   in Loop: Header=BB6_358 Depth=4
	v_bfe_u32 v87, v98, 23, 8
	v_and_b32_e32 v86, 0x7fffff, v98
	v_cmp_gt_u32_e64 s16, 0x71, v87
	v_sub_nc_u32_e32 v99, 0x70, v87
	v_cmp_eq_u32_e32 vcc_lo, 0, v87
	v_or_b32_e32 v46, 0x800000, v86
	v_cndmask_b32_e64 v99, 0, v99, s16
	v_cndmask_b32_e32 v86, v46, v86, vcc_lo
	v_cndmask_b32_e64 v99, v99, 0x6f, vcc_lo
	v_lshl_add_u32 v46, 0x200000, v99, -1
	v_lshlrev_b32_e64 v58, v99, 0x100000
	v_and_b32_e32 v46, v46, v86
	v_cmp_eq_u32_e64 s16, v46, v58
	v_lshrrev_b32_e32 v46, v99, v86
	v_add_nc_u32_e32 v86, 0xffffff91, v87
	v_lshrrev_b32_e32 v87, 23, v46
	v_cndmask_b32_e64 v86, v86, 0xffffff92, vcc_lo
	v_xor_b32_e32 v87, 1, v87
	v_add_nc_u32_e32 v86, v99, v86
	v_bfe_u32 v99, v46, 21, 1
	v_add_nc_u32_e32 v99, -1, v99
	v_cndmask_b32_e64 v99, 0, v99, s16
	s_mov_b32 s16, exec_lo
	v_add_nc_u32_e32 v99, v99, v46
	v_and_b32_e32 v99, 0x1fffff, v99
	v_add_nc_u32_e32 v99, v99, v46
                                        ; implicit-def: $vgpr46
	v_cmpx_ne_u32_e64 v86, v87
	s_xor_b32 s16, exec_lo, s16
; %bb.1293:                             ;   in Loop: Header=BB6_358 Depth=4
	v_cmp_lt_u32_e32 vcc_lo, 0xffffff, v99
	v_sub_nc_u32_e32 v86, v86, v87
	v_cndmask_b32_e64 v87, 0, 1, vcc_lo
	v_add_co_ci_u32_e64 v46, null, 0, v86, vcc_lo
	v_lshrrev_b32_e32 v99, v87, v99
; %bb.1294:                             ;   in Loop: Header=BB6_358 Depth=4
	s_andn2_saveexec_b32 s16, s16
; %bb.1295:                             ;   in Loop: Header=BB6_358 Depth=4
	v_bfe_u32 v46, v99, 23, 1
; %bb.1296:                             ;   in Loop: Header=BB6_358 Depth=4
	s_or_b32 exec_lo, exec_lo, s16
	v_and_b32_sdwa v86, v98, v60 dst_sel:DWORD dst_unused:UNUSED_PAD src0_sel:BYTE_3 src1_sel:DWORD
	v_lshrrev_b32_e32 v87, 21, v99
	v_min_i32_e32 v98, 31, v46
	v_cmp_gt_i32_e32 vcc_lo, 32, v46
	v_lshlrev_b32_e32 v98, 2, v98
	v_cndmask_b32_e32 v87, 3, v87, vcc_lo
	v_and_b32_e32 v98, 0xfc, v98
	v_or_b32_e32 v99, v46, v87
	v_and_b32_e32 v87, 3, v87
	v_cmp_ne_u32_e32 vcc_lo, 0, v99
	v_or3_b32 v86, v98, v86, v87
	v_cndmask_b32_e32 v126, 0, v86, vcc_lo
.LBB6_1297:                             ;   in Loop: Header=BB6_358 Depth=4
	s_or_b32 exec_lo, exec_lo, s63
.LBB6_1298:                             ;   in Loop: Header=BB6_358 Depth=4
	s_or_b32 exec_lo, exec_lo, s62
	v_cmp_gt_i16_sdwa s62, v23, v59 src0_sel:BYTE_3 src1_sel:DWORD
	s_mov_b32 s16, 0
	s_and_saveexec_b32 s63, s62
	s_xor_b32 s62, exec_lo, s63
	s_cbranch_execz .LBB6_1824
; %bb.1299:                             ;   in Loop: Header=BB6_358 Depth=4
	v_cmp_eq_u16_sdwa s72, v23, v60 src0_sel:BYTE_3 src1_sel:DWORD
	s_mov_b32 s16, -1
	s_and_saveexec_b32 s63, s72
; %bb.1300:                             ;   in Loop: Header=BB6_358 Depth=4
	s_xor_b32 s16, exec_lo, -1
; %bb.1301:                             ;   in Loop: Header=BB6_358 Depth=4
	s_or_b32 exec_lo, exec_lo, s63
	s_and_b32 s16, s16, exec_lo
	s_or_saveexec_b32 s62, s62
	v_mov_b32_e32 v86, 0x7f800001
	s_xor_b32 exec_lo, exec_lo, s62
	s_cbranch_execnz .LBB6_1825
.LBB6_1302:                             ;   in Loop: Header=BB6_358 Depth=4
	s_or_b32 exec_lo, exec_lo, s62
	s_and_saveexec_b32 s62, s16
	s_cbranch_execz .LBB6_1304
.LBB6_1303:                             ;   in Loop: Header=BB6_358 Depth=4
	v_bfe_u32 v86, v23, 24, 2
	v_bfe_u32 v99, v23, 26, 5
	v_ffbh_u32_e32 v87, v86
	v_cmp_eq_u32_e32 vcc_lo, 0, v99
	v_min_u32_e32 v87, 32, v87
	v_subrev_nc_u32_e32 v98, 29, v87
	v_sub_nc_u32_e32 v87, 30, v87
	v_lshlrev_b32_sdwa v98, v98, v23 dst_sel:DWORD dst_unused:UNUSED_PAD src0_sel:DWORD src1_sel:BYTE_3
	v_cndmask_b32_e32 v87, v99, v87, vcc_lo
	v_and_b32_e32 v23, 0x80000000, v23
	v_and_b32_e32 v98, 3, v98
	v_lshl_add_u32 v87, v87, 23, 0x37800000
	v_cndmask_b32_e32 v86, v86, v98, vcc_lo
	v_lshlrev_b32_e32 v86, 21, v86
	v_or3_b32 v86, v23, v87, v86
.LBB6_1304:                             ;   in Loop: Header=BB6_358 Depth=4
	s_or_b32 exec_lo, exec_lo, s62
	v_cmp_gt_i16_sdwa s62, v19, v59 src0_sel:BYTE_3 src1_sel:DWORD
	s_mov_b32 s16, 0
	s_and_saveexec_b32 s63, s62
	s_xor_b32 s62, exec_lo, s63
	s_cbranch_execz .LBB6_1826
; %bb.1305:                             ;   in Loop: Header=BB6_358 Depth=4
	v_cmp_eq_u16_sdwa s72, v19, v60 src0_sel:BYTE_3 src1_sel:DWORD
	s_mov_b32 s16, -1
	s_and_saveexec_b32 s63, s72
; %bb.1306:                             ;   in Loop: Header=BB6_358 Depth=4
	s_xor_b32 s16, exec_lo, -1
; %bb.1307:                             ;   in Loop: Header=BB6_358 Depth=4
	s_or_b32 exec_lo, exec_lo, s63
	s_and_b32 s16, s16, exec_lo
	s_or_saveexec_b32 s62, s62
	v_mov_b32_e32 v23, 0x7f800001
	s_xor_b32 exec_lo, exec_lo, s62
	s_cbranch_execnz .LBB6_1827
.LBB6_1308:                             ;   in Loop: Header=BB6_358 Depth=4
	s_or_b32 exec_lo, exec_lo, s62
	s_and_saveexec_b32 s62, s16
	s_cbranch_execz .LBB6_1310
.LBB6_1309:                             ;   in Loop: Header=BB6_358 Depth=4
	v_bfe_u32 v23, v19, 24, 2
	v_bfe_u32 v99, v19, 26, 5
	v_ffbh_u32_e32 v87, v23
	v_cmp_eq_u32_e32 vcc_lo, 0, v99
	v_min_u32_e32 v87, 32, v87
	v_subrev_nc_u32_e32 v98, 29, v87
	v_sub_nc_u32_e32 v87, 30, v87
	v_lshlrev_b32_sdwa v98, v98, v19 dst_sel:DWORD dst_unused:UNUSED_PAD src0_sel:DWORD src1_sel:BYTE_3
	v_cndmask_b32_e32 v87, v99, v87, vcc_lo
	v_and_b32_e32 v19, 0x80000000, v19
	v_and_b32_e32 v98, 3, v98
	v_lshl_add_u32 v87, v87, 23, 0x37800000
	v_cndmask_b32_e32 v23, v23, v98, vcc_lo
	v_lshlrev_b32_e32 v23, 21, v23
	v_or3_b32 v23, v19, v87, v23
.LBB6_1310:                             ;   in Loop: Header=BB6_358 Depth=4
	s_or_b32 exec_lo, exec_lo, s62
	v_mul_f32_e32 v23, v86, v23
	v_and_b32_e32 v19, 0x7f800000, v23
	v_cmp_ne_u32_e32 vcc_lo, 0x7f800000, v19
	v_mov_b32_e32 v19, 0x8000
	s_and_saveexec_b32 s62, vcc_lo
	s_cbranch_execz .LBB6_1318
; %bb.1311:                             ;   in Loop: Header=BB6_358 Depth=4
	v_mov_b32_e32 v19, 0
	s_mov_b32 s63, exec_lo
	v_cmpx_ne_u32_e32 0, v23
	s_cbranch_execz .LBB6_1317
; %bb.1312:                             ;   in Loop: Header=BB6_358 Depth=4
	v_bfe_u32 v86, v23, 23, 8
	v_and_b32_e32 v19, 0x7fffff, v23
	v_cmp_gt_u32_e64 s16, 0x71, v86
	v_sub_nc_u32_e32 v87, 0x70, v86
	v_cmp_eq_u32_e32 vcc_lo, 0, v86
	v_or_b32_e32 v98, 0x800000, v19
	v_cndmask_b32_e64 v87, 0, v87, s16
	v_cndmask_b32_e32 v19, v98, v19, vcc_lo
	v_cndmask_b32_e64 v87, v87, 0x6f, vcc_lo
	v_lshl_add_u32 v98, 0x200000, v87, -1
	v_lshlrev_b32_e64 v99, v87, 0x100000
	v_and_b32_e32 v98, v98, v19
	v_cmp_eq_u32_e64 s16, v98, v99
	v_lshrrev_b32_e32 v98, v87, v19
	v_add_nc_u32_e32 v19, 0xffffff91, v86
	v_lshrrev_b32_e32 v86, 23, v98
	v_cndmask_b32_e64 v19, v19, 0xffffff92, vcc_lo
	v_xor_b32_e32 v86, 1, v86
	v_add_nc_u32_e32 v19, v87, v19
	v_bfe_u32 v87, v98, 21, 1
	v_add_nc_u32_e32 v87, -1, v87
	v_cndmask_b32_e64 v87, 0, v87, s16
	s_mov_b32 s16, exec_lo
	v_add_nc_u32_e32 v87, v87, v98
	v_and_b32_e32 v87, 0x1fffff, v87
	v_add_nc_u32_e32 v87, v87, v98
                                        ; implicit-def: $vgpr98
	v_cmpx_ne_u32_e64 v19, v86
	s_xor_b32 s16, exec_lo, s16
; %bb.1313:                             ;   in Loop: Header=BB6_358 Depth=4
	v_cmp_lt_u32_e32 vcc_lo, 0xffffff, v87
	v_sub_nc_u32_e32 v19, v19, v86
	v_cndmask_b32_e64 v86, 0, 1, vcc_lo
	v_add_co_ci_u32_e64 v98, null, 0, v19, vcc_lo
	v_lshrrev_b32_e32 v87, v86, v87
; %bb.1314:                             ;   in Loop: Header=BB6_358 Depth=4
	s_andn2_saveexec_b32 s16, s16
; %bb.1315:                             ;   in Loop: Header=BB6_358 Depth=4
	v_bfe_u32 v98, v87, 23, 1
; %bb.1316:                             ;   in Loop: Header=BB6_358 Depth=4
	s_or_b32 exec_lo, exec_lo, s16
	v_and_b32_sdwa v19, v23, v60 dst_sel:DWORD dst_unused:UNUSED_PAD src0_sel:BYTE_3 src1_sel:DWORD
	v_lshrrev_b32_e32 v23, 21, v87
	v_min_i32_e32 v86, 31, v98
	v_cmp_gt_i32_e32 vcc_lo, 32, v98
	v_lshlrev_b32_e32 v86, 2, v86
	v_cndmask_b32_e32 v23, 3, v23, vcc_lo
	v_and_b32_e32 v86, 0xfc, v86
	v_or_b32_e32 v87, v98, v23
	v_and_b32_e32 v23, 3, v23
	v_cmp_ne_u32_e32 vcc_lo, 0, v87
	v_or3_b32 v19, v19, v86, v23
	v_lshlrev_b32_e32 v19, 8, v19
	v_cndmask_b32_e32 v19, 0, v19, vcc_lo
.LBB6_1317:                             ;   in Loop: Header=BB6_358 Depth=4
	s_or_b32 exec_lo, exec_lo, s63
.LBB6_1318:                             ;   in Loop: Header=BB6_358 Depth=4
	s_or_b32 exec_lo, exec_lo, s62
	v_cmp_gt_i16_sdwa s16, v12, v59 src0_sel:BYTE_0 src1_sel:DWORD
	s_mov_b32 s62, 0
	s_and_saveexec_b32 s63, s16
	s_xor_b32 s16, exec_lo, s63
	s_cbranch_execz .LBB6_1828
; %bb.1319:                             ;   in Loop: Header=BB6_358 Depth=4
	v_cmp_eq_u16_sdwa s72, v12, v60 src0_sel:BYTE_0 src1_sel:DWORD
	s_mov_b32 s62, -1
	s_and_saveexec_b32 s63, s72
; %bb.1320:                             ;   in Loop: Header=BB6_358 Depth=4
	s_xor_b32 s62, exec_lo, -1
; %bb.1321:                             ;   in Loop: Header=BB6_358 Depth=4
	s_or_b32 exec_lo, exec_lo, s63
	s_and_b32 s62, s62, exec_lo
	s_or_saveexec_b32 s16, s16
	v_mov_b32_e32 v23, 0x7f800001
	s_xor_b32 exec_lo, exec_lo, s16
	s_cbranch_execnz .LBB6_1829
.LBB6_1322:                             ;   in Loop: Header=BB6_358 Depth=4
	s_or_b32 exec_lo, exec_lo, s16
	s_and_saveexec_b32 s16, s62
	s_cbranch_execz .LBB6_1324
.LBB6_1323:                             ;   in Loop: Header=BB6_358 Depth=4
	v_and_b32_e32 v23, 3, v12
	v_bfe_u32 v86, v12, 2, 5
	v_ffbh_u32_e32 v87, v23
	v_cmp_eq_u32_e32 vcc_lo, 0, v86
	v_min_u32_e32 v87, 32, v87
	v_subrev_nc_u32_e32 v98, 29, v87
	v_sub_nc_u32_e32 v87, 30, v87
	v_lshlrev_b32_e32 v98, v98, v12
	v_cndmask_b32_e32 v86, v86, v87, vcc_lo
	v_lshlrev_b32_e32 v87, 24, v12
	v_and_b32_e32 v98, 3, v98
	v_lshl_add_u32 v86, v86, 23, 0x37800000
	v_and_b32_e32 v87, 0x80000000, v87
	v_cndmask_b32_e32 v23, v23, v98, vcc_lo
	v_lshlrev_b32_e32 v23, 21, v23
	v_or3_b32 v23, v87, v86, v23
.LBB6_1324:                             ;   in Loop: Header=BB6_358 Depth=4
	s_or_b32 exec_lo, exec_lo, s16
	s_waitcnt vmcnt(0)
	v_cmp_gt_i16_sdwa s16, v8, v59 src0_sel:BYTE_0 src1_sel:DWORD
	s_mov_b32 s62, 0
	s_and_saveexec_b32 s63, s16
	s_xor_b32 s16, exec_lo, s63
	s_cbranch_execz .LBB6_1830
; %bb.1325:                             ;   in Loop: Header=BB6_358 Depth=4
	v_cmp_eq_u16_sdwa s72, v8, v60 src0_sel:BYTE_0 src1_sel:DWORD
	s_mov_b32 s62, -1
	s_and_saveexec_b32 s63, s72
; %bb.1326:                             ;   in Loop: Header=BB6_358 Depth=4
	s_xor_b32 s62, exec_lo, -1
; %bb.1327:                             ;   in Loop: Header=BB6_358 Depth=4
	s_or_b32 exec_lo, exec_lo, s63
	s_and_b32 s62, s62, exec_lo
	s_or_saveexec_b32 s16, s16
	v_mov_b32_e32 v86, 0x7f800001
	s_xor_b32 exec_lo, exec_lo, s16
	s_cbranch_execnz .LBB6_1831
.LBB6_1328:                             ;   in Loop: Header=BB6_358 Depth=4
	s_or_b32 exec_lo, exec_lo, s16
	s_and_saveexec_b32 s16, s62
	s_cbranch_execz .LBB6_1330
.LBB6_1329:                             ;   in Loop: Header=BB6_358 Depth=4
	v_and_b32_e32 v86, 3, v8
	v_bfe_u32 v87, v8, 2, 5
	v_ffbh_u32_e32 v98, v86
	v_cmp_eq_u32_e32 vcc_lo, 0, v87
	v_min_u32_e32 v98, 32, v98
	v_subrev_nc_u32_e32 v99, 29, v98
	v_sub_nc_u32_e32 v98, 30, v98
	v_lshlrev_b32_e32 v99, v99, v8
	v_cndmask_b32_e32 v87, v87, v98, vcc_lo
	v_lshlrev_b32_e32 v98, 24, v8
	v_and_b32_e32 v99, 3, v99
	v_lshl_add_u32 v87, v87, 23, 0x37800000
	v_and_b32_e32 v98, 0x80000000, v98
	v_cndmask_b32_e32 v86, v86, v99, vcc_lo
	v_lshlrev_b32_e32 v86, 21, v86
	v_or3_b32 v86, v98, v87, v86
.LBB6_1330:                             ;   in Loop: Header=BB6_358 Depth=4
	s_or_b32 exec_lo, exec_lo, s16
	v_mul_f32_e32 v98, v23, v86
	v_and_b32_e32 v23, 0x7f800000, v98
	v_cmp_ne_u32_e32 vcc_lo, 0x7f800000, v23
	v_mov_b32_e32 v23, 0x80
	s_and_saveexec_b32 s62, vcc_lo
	s_cbranch_execz .LBB6_1338
; %bb.1331:                             ;   in Loop: Header=BB6_358 Depth=4
	v_mov_b32_e32 v23, 0
	s_mov_b32 s63, exec_lo
	v_cmpx_ne_u32_e32 0, v98
	s_cbranch_execz .LBB6_1337
; %bb.1332:                             ;   in Loop: Header=BB6_358 Depth=4
	v_bfe_u32 v86, v98, 23, 8
	v_and_b32_e32 v23, 0x7fffff, v98
	v_cmp_gt_u32_e64 s16, 0x71, v86
	v_sub_nc_u32_e32 v87, 0x70, v86
	v_cmp_eq_u32_e32 vcc_lo, 0, v86
	v_or_b32_e32 v99, 0x800000, v23
	v_cndmask_b32_e64 v87, 0, v87, s16
	v_cndmask_b32_e32 v23, v99, v23, vcc_lo
	v_cndmask_b32_e64 v87, v87, 0x6f, vcc_lo
	v_lshl_add_u32 v99, 0x200000, v87, -1
	v_lshlrev_b32_e64 v46, v87, 0x100000
	v_and_b32_e32 v99, v99, v23
	v_cmp_eq_u32_e64 s16, v99, v46
	v_lshrrev_b32_e32 v99, v87, v23
	v_add_nc_u32_e32 v23, 0xffffff91, v86
	v_lshrrev_b32_e32 v86, 23, v99
	v_cndmask_b32_e64 v23, v23, 0xffffff92, vcc_lo
	v_xor_b32_e32 v86, 1, v86
	v_add_nc_u32_e32 v23, v87, v23
	v_bfe_u32 v87, v99, 21, 1
	v_add_nc_u32_e32 v87, -1, v87
	v_cndmask_b32_e64 v87, 0, v87, s16
	s_mov_b32 s16, exec_lo
	v_add_nc_u32_e32 v87, v87, v99
	v_and_b32_e32 v87, 0x1fffff, v87
	v_add_nc_u32_e32 v87, v87, v99
                                        ; implicit-def: $vgpr99
	v_cmpx_ne_u32_e64 v23, v86
	s_xor_b32 s16, exec_lo, s16
; %bb.1333:                             ;   in Loop: Header=BB6_358 Depth=4
	v_cmp_lt_u32_e32 vcc_lo, 0xffffff, v87
	v_sub_nc_u32_e32 v23, v23, v86
	v_cndmask_b32_e64 v86, 0, 1, vcc_lo
	v_add_co_ci_u32_e64 v99, null, 0, v23, vcc_lo
	v_lshrrev_b32_e32 v87, v86, v87
; %bb.1334:                             ;   in Loop: Header=BB6_358 Depth=4
	s_andn2_saveexec_b32 s16, s16
; %bb.1335:                             ;   in Loop: Header=BB6_358 Depth=4
	v_bfe_u32 v99, v87, 23, 1
; %bb.1336:                             ;   in Loop: Header=BB6_358 Depth=4
	s_or_b32 exec_lo, exec_lo, s16
	v_lshrrev_b32_e32 v86, 21, v87
	v_min_i32_e32 v87, 31, v99
	v_cmp_gt_i32_e32 vcc_lo, 32, v99
	v_and_b32_sdwa v23, v98, v60 dst_sel:DWORD dst_unused:UNUSED_PAD src0_sel:BYTE_3 src1_sel:DWORD
	v_lshlrev_b32_e32 v87, 2, v87
	v_cndmask_b32_e32 v86, 3, v86, vcc_lo
	v_and_b32_e32 v87, 0xfc, v87
	v_or_b32_e32 v98, v99, v86
	v_and_b32_e32 v86, 3, v86
	v_cmp_ne_u32_e32 vcc_lo, 0, v98
	v_or3_b32 v23, v87, v23, v86
	v_cndmask_b32_e32 v23, 0, v23, vcc_lo
.LBB6_1337:                             ;   in Loop: Header=BB6_358 Depth=4
	s_or_b32 exec_lo, exec_lo, s63
.LBB6_1338:                             ;   in Loop: Header=BB6_358 Depth=4
	s_or_b32 exec_lo, exec_lo, s62
	v_cmp_gt_i16_sdwa s62, v12, v59 src0_sel:BYTE_1 src1_sel:DWORD
	s_mov_b32 s16, 0
	s_and_saveexec_b32 s63, s62
	s_xor_b32 s62, exec_lo, s63
	s_cbranch_execz .LBB6_1832
; %bb.1339:                             ;   in Loop: Header=BB6_358 Depth=4
	v_cmp_eq_u16_sdwa s72, v12, v60 src0_sel:BYTE_1 src1_sel:DWORD
	s_mov_b32 s16, -1
	s_and_saveexec_b32 s63, s72
; %bb.1340:                             ;   in Loop: Header=BB6_358 Depth=4
	s_xor_b32 s16, exec_lo, -1
; %bb.1341:                             ;   in Loop: Header=BB6_358 Depth=4
	s_or_b32 exec_lo, exec_lo, s63
	s_and_b32 s16, s16, exec_lo
	s_or_saveexec_b32 s62, s62
	v_mov_b32_e32 v86, 0x7f800001
	s_xor_b32 exec_lo, exec_lo, s62
	s_cbranch_execnz .LBB6_1833
.LBB6_1342:                             ;   in Loop: Header=BB6_358 Depth=4
	s_or_b32 exec_lo, exec_lo, s62
	s_and_saveexec_b32 s62, s16
	s_cbranch_execz .LBB6_1344
.LBB6_1343:                             ;   in Loop: Header=BB6_358 Depth=4
	v_and_b32_sdwa v86, v61, v12 dst_sel:DWORD dst_unused:UNUSED_PAD src0_sel:DWORD src1_sel:BYTE_1
	v_and_b32_e32 v87, 3, v86
	v_bfe_u32 v46, v86, 2, 5
	v_ffbh_u32_e32 v98, v87
	v_cmp_eq_u32_e32 vcc_lo, 0, v46
	v_min_u32_e32 v98, 32, v98
	v_subrev_nc_u32_e32 v99, 29, v98
	v_sub_nc_u32_e32 v98, 30, v98
	v_lshlrev_b32_e32 v86, v99, v86
	v_lshlrev_b32_sdwa v99, v62, v12 dst_sel:DWORD dst_unused:UNUSED_PAD src0_sel:DWORD src1_sel:BYTE_1
	v_cndmask_b32_e32 v98, v46, v98, vcc_lo
	v_and_b32_e32 v86, 3, v86
	v_lshl_add_u32 v98, v98, 23, 0x37800000
	v_cndmask_b32_e32 v86, v87, v86, vcc_lo
	v_and_b32_e32 v87, 0x80000000, v99
	v_lshlrev_b32_e32 v86, 21, v86
	v_or3_b32 v86, v87, v98, v86
.LBB6_1344:                             ;   in Loop: Header=BB6_358 Depth=4
	s_or_b32 exec_lo, exec_lo, s62
	v_cmp_gt_i16_sdwa s62, v8, v59 src0_sel:BYTE_1 src1_sel:DWORD
	s_mov_b32 s16, 0
	s_and_saveexec_b32 s63, s62
	s_xor_b32 s62, exec_lo, s63
	s_cbranch_execz .LBB6_1834
; %bb.1345:                             ;   in Loop: Header=BB6_358 Depth=4
	v_cmp_eq_u16_sdwa s72, v8, v60 src0_sel:BYTE_1 src1_sel:DWORD
	s_mov_b32 s16, -1
	s_and_saveexec_b32 s63, s72
; %bb.1346:                             ;   in Loop: Header=BB6_358 Depth=4
	s_xor_b32 s16, exec_lo, -1
; %bb.1347:                             ;   in Loop: Header=BB6_358 Depth=4
	s_or_b32 exec_lo, exec_lo, s63
	s_and_b32 s16, s16, exec_lo
	s_or_saveexec_b32 s62, s62
	v_mov_b32_e32 v87, 0x7f800001
	s_xor_b32 exec_lo, exec_lo, s62
	s_cbranch_execnz .LBB6_1835
.LBB6_1348:                             ;   in Loop: Header=BB6_358 Depth=4
	s_or_b32 exec_lo, exec_lo, s62
	s_and_saveexec_b32 s62, s16
	s_cbranch_execz .LBB6_1350
.LBB6_1349:                             ;   in Loop: Header=BB6_358 Depth=4
	v_and_b32_sdwa v87, v61, v8 dst_sel:DWORD dst_unused:UNUSED_PAD src0_sel:DWORD src1_sel:BYTE_1
	v_and_b32_e32 v98, 3, v87
	v_bfe_u32 v58, v87, 2, 5
	v_ffbh_u32_e32 v99, v98
	v_cmp_eq_u32_e32 vcc_lo, 0, v58
	v_min_u32_e32 v99, 32, v99
	v_subrev_nc_u32_e32 v46, 29, v99
	v_sub_nc_u32_e32 v99, 30, v99
	v_lshlrev_b32_e32 v87, v46, v87
	v_lshlrev_b32_sdwa v46, v62, v8 dst_sel:DWORD dst_unused:UNUSED_PAD src0_sel:DWORD src1_sel:BYTE_1
	v_cndmask_b32_e32 v99, v58, v99, vcc_lo
	v_and_b32_e32 v87, 3, v87
	v_lshl_add_u32 v99, v99, 23, 0x37800000
	v_cndmask_b32_e32 v87, v98, v87, vcc_lo
	v_and_b32_e32 v98, 0x80000000, v46
	v_lshlrev_b32_e32 v87, 21, v87
	v_or3_b32 v87, v98, v99, v87
.LBB6_1350:                             ;   in Loop: Header=BB6_358 Depth=4
	s_or_b32 exec_lo, exec_lo, s62
	v_mul_f32_e32 v99, v86, v87
	v_mov_b32_e32 v98, 0x8000
	s_mov_b32 s62, exec_lo
	v_and_b32_e32 v86, 0x7f800000, v99
	v_cmpx_ne_u32_e32 0x7f800000, v86
	s_cbranch_execz .LBB6_1358
; %bb.1351:                             ;   in Loop: Header=BB6_358 Depth=4
	v_mov_b32_e32 v98, 0
	s_mov_b32 s63, exec_lo
	v_cmpx_ne_u32_e32 0, v99
	s_cbranch_execz .LBB6_1357
; %bb.1352:                             ;   in Loop: Header=BB6_358 Depth=4
	v_bfe_u32 v87, v99, 23, 8
	v_and_b32_e32 v86, 0x7fffff, v99
	v_cmp_gt_u32_e64 s16, 0x71, v87
	v_sub_nc_u32_e32 v98, 0x70, v87
	v_cmp_eq_u32_e32 vcc_lo, 0, v87
	v_or_b32_e32 v46, 0x800000, v86
	v_cndmask_b32_e64 v98, 0, v98, s16
	v_cndmask_b32_e32 v86, v46, v86, vcc_lo
	v_cndmask_b32_e64 v98, v98, 0x6f, vcc_lo
	v_lshl_add_u32 v46, 0x200000, v98, -1
	v_lshlrev_b32_e64 v58, v98, 0x100000
	v_and_b32_e32 v46, v46, v86
	v_cmp_eq_u32_e64 s16, v46, v58
	v_lshrrev_b32_e32 v46, v98, v86
	v_add_nc_u32_e32 v86, 0xffffff91, v87
	v_lshrrev_b32_e32 v87, 23, v46
	v_cndmask_b32_e64 v86, v86, 0xffffff92, vcc_lo
	v_xor_b32_e32 v87, 1, v87
	v_add_nc_u32_e32 v86, v98, v86
	v_bfe_u32 v98, v46, 21, 1
	v_add_nc_u32_e32 v98, -1, v98
	v_cndmask_b32_e64 v98, 0, v98, s16
	s_mov_b32 s16, exec_lo
	v_add_nc_u32_e32 v98, v98, v46
	v_and_b32_e32 v98, 0x1fffff, v98
	v_add_nc_u32_e32 v98, v98, v46
                                        ; implicit-def: $vgpr46
	v_cmpx_ne_u32_e64 v86, v87
	s_xor_b32 s16, exec_lo, s16
; %bb.1353:                             ;   in Loop: Header=BB6_358 Depth=4
	v_cmp_lt_u32_e32 vcc_lo, 0xffffff, v98
	v_sub_nc_u32_e32 v86, v86, v87
	v_cndmask_b32_e64 v87, 0, 1, vcc_lo
	v_add_co_ci_u32_e64 v46, null, 0, v86, vcc_lo
	v_lshrrev_b32_e32 v98, v87, v98
; %bb.1354:                             ;   in Loop: Header=BB6_358 Depth=4
	s_andn2_saveexec_b32 s16, s16
; %bb.1355:                             ;   in Loop: Header=BB6_358 Depth=4
	v_bfe_u32 v46, v98, 23, 1
; %bb.1356:                             ;   in Loop: Header=BB6_358 Depth=4
	s_or_b32 exec_lo, exec_lo, s16
	v_lshrrev_b32_e32 v87, 21, v98
	v_min_i32_e32 v98, 31, v46
	v_cmp_gt_i32_e32 vcc_lo, 32, v46
	v_and_b32_sdwa v86, v99, v60 dst_sel:DWORD dst_unused:UNUSED_PAD src0_sel:BYTE_3 src1_sel:DWORD
	v_lshlrev_b32_e32 v98, 2, v98
	v_cndmask_b32_e32 v87, 3, v87, vcc_lo
	v_and_b32_e32 v98, 0xfc, v98
	v_or_b32_e32 v99, v46, v87
	v_and_b32_e32 v87, 3, v87
	v_cmp_ne_u32_e32 vcc_lo, 0, v99
	v_or3_b32 v86, v86, v98, v87
	v_lshlrev_b32_e32 v86, 8, v86
	v_cndmask_b32_e32 v98, 0, v86, vcc_lo
.LBB6_1357:                             ;   in Loop: Header=BB6_358 Depth=4
	s_or_b32 exec_lo, exec_lo, s63
.LBB6_1358:                             ;   in Loop: Header=BB6_358 Depth=4
	s_or_b32 exec_lo, exec_lo, s62
	v_and_b32_sdwa v87, v12, v63 dst_sel:DWORD dst_unused:UNUSED_PAD src0_sel:WORD_1 src1_sel:DWORD
	s_mov_b32 s62, 0
	s_mov_b32 s16, exec_lo
	v_cmpx_lt_i16_e32 0x7f, v87
	s_xor_b32 s16, exec_lo, s16
	s_cbranch_execz .LBB6_1836
; %bb.1359:                             ;   in Loop: Header=BB6_358 Depth=4
	s_mov_b32 s62, -1
	s_mov_b32 s63, exec_lo
	v_cmpx_eq_u16_e32 0x80, v87
; %bb.1360:                             ;   in Loop: Header=BB6_358 Depth=4
	s_xor_b32 s62, exec_lo, -1
; %bb.1361:                             ;   in Loop: Header=BB6_358 Depth=4
	s_or_b32 exec_lo, exec_lo, s63
	s_and_b32 s62, s62, exec_lo
                                        ; implicit-def: $vgpr87
	s_or_saveexec_b32 s16, s16
	v_mov_b32_e32 v86, 0x7f800001
	s_xor_b32 exec_lo, exec_lo, s16
	s_cbranch_execnz .LBB6_1837
.LBB6_1362:                             ;   in Loop: Header=BB6_358 Depth=4
	s_or_b32 exec_lo, exec_lo, s16
	s_and_saveexec_b32 s16, s62
	s_cbranch_execz .LBB6_1364
.LBB6_1363:                             ;   in Loop: Header=BB6_358 Depth=4
	v_bfe_u32 v86, v12, 16, 2
	v_bfe_u32 v87, v12, 18, 5
	v_ffbh_u32_e32 v99, v86
	v_cmp_eq_u32_e32 vcc_lo, 0, v87
	v_min_u32_e32 v99, 32, v99
	v_subrev_nc_u32_e32 v46, 29, v99
	v_sub_nc_u32_e32 v99, 30, v99
	v_lshlrev_b32_sdwa v46, v46, v12 dst_sel:DWORD dst_unused:UNUSED_PAD src0_sel:DWORD src1_sel:WORD_1
	v_cndmask_b32_e32 v87, v87, v99, vcc_lo
	v_lshlrev_b32_e32 v99, 8, v12
	v_and_b32_e32 v46, 3, v46
	v_lshl_add_u32 v87, v87, 23, 0x37800000
	v_and_b32_e32 v99, 0x80000000, v99
	v_cndmask_b32_e32 v86, v86, v46, vcc_lo
	v_lshlrev_b32_e32 v86, 21, v86
	v_or3_b32 v86, v99, v87, v86
.LBB6_1364:                             ;   in Loop: Header=BB6_358 Depth=4
	s_or_b32 exec_lo, exec_lo, s16
	v_and_b32_sdwa v99, v8, v63 dst_sel:DWORD dst_unused:UNUSED_PAD src0_sel:WORD_1 src1_sel:DWORD
	s_mov_b32 s62, 0
	s_mov_b32 s16, exec_lo
	v_cmpx_lt_i16_e32 0x7f, v99
	s_xor_b32 s16, exec_lo, s16
	s_cbranch_execz .LBB6_1838
; %bb.1365:                             ;   in Loop: Header=BB6_358 Depth=4
	s_mov_b32 s62, -1
	s_mov_b32 s63, exec_lo
	v_cmpx_eq_u16_e32 0x80, v99
; %bb.1366:                             ;   in Loop: Header=BB6_358 Depth=4
	s_xor_b32 s62, exec_lo, -1
; %bb.1367:                             ;   in Loop: Header=BB6_358 Depth=4
	s_or_b32 exec_lo, exec_lo, s63
	s_and_b32 s62, s62, exec_lo
                                        ; implicit-def: $vgpr99
	s_or_saveexec_b32 s16, s16
	v_mov_b32_e32 v87, 0x7f800001
	s_xor_b32 exec_lo, exec_lo, s16
	s_cbranch_execnz .LBB6_1839
.LBB6_1368:                             ;   in Loop: Header=BB6_358 Depth=4
	s_or_b32 exec_lo, exec_lo, s16
	s_and_saveexec_b32 s16, s62
	s_cbranch_execz .LBB6_1370
.LBB6_1369:                             ;   in Loop: Header=BB6_358 Depth=4
	v_bfe_u32 v87, v8, 16, 2
	v_bfe_u32 v99, v8, 18, 5
	v_ffbh_u32_e32 v46, v87
	v_cmp_eq_u32_e32 vcc_lo, 0, v99
	v_min_u32_e32 v46, 32, v46
	v_subrev_nc_u32_e32 v58, 29, v46
	v_sub_nc_u32_e32 v46, 30, v46
	v_lshlrev_b32_sdwa v58, v58, v8 dst_sel:DWORD dst_unused:UNUSED_PAD src0_sel:DWORD src1_sel:WORD_1
	v_cndmask_b32_e32 v99, v99, v46, vcc_lo
	v_lshlrev_b32_e32 v46, 8, v8
	v_and_b32_e32 v58, 3, v58
	v_lshl_add_u32 v99, v99, 23, 0x37800000
	v_and_b32_e32 v46, 0x80000000, v46
	v_cndmask_b32_e32 v87, v87, v58, vcc_lo
	v_lshlrev_b32_e32 v87, 21, v87
	v_or3_b32 v87, v46, v99, v87
.LBB6_1370:                             ;   in Loop: Header=BB6_358 Depth=4
	s_or_b32 exec_lo, exec_lo, s16
	v_mul_f32_e32 v46, v86, v87
	v_mov_b32_e32 v99, 0x80
	s_mov_b32 s62, exec_lo
	v_and_b32_e32 v86, 0x7f800000, v46
	v_cmpx_ne_u32_e32 0x7f800000, v86
	s_cbranch_execz .LBB6_1378
; %bb.1371:                             ;   in Loop: Header=BB6_358 Depth=4
	v_mov_b32_e32 v99, 0
	s_mov_b32 s63, exec_lo
	v_cmpx_ne_u32_e32 0, v46
	s_cbranch_execz .LBB6_1377
; %bb.1372:                             ;   in Loop: Header=BB6_358 Depth=4
	v_bfe_u32 v87, v46, 23, 8
	v_and_b32_e32 v86, 0x7fffff, v46
	v_cmp_gt_u32_e64 s16, 0x71, v87
	v_sub_nc_u32_e32 v99, 0x70, v87
	v_cmp_eq_u32_e32 vcc_lo, 0, v87
	v_or_b32_e32 v58, 0x800000, v86
	v_cndmask_b32_e64 v99, 0, v99, s16
	v_cndmask_b32_e32 v86, v58, v86, vcc_lo
	v_cndmask_b32_e64 v99, v99, 0x6f, vcc_lo
	v_lshl_add_u32 v58, 0x200000, v99, -1
	v_lshlrev_b32_e64 v73, v99, 0x100000
	v_and_b32_e32 v58, v58, v86
	v_cmp_eq_u32_e64 s16, v58, v73
	v_lshrrev_b32_e32 v58, v99, v86
	v_add_nc_u32_e32 v86, 0xffffff91, v87
	v_lshrrev_b32_e32 v87, 23, v58
	v_cndmask_b32_e64 v86, v86, 0xffffff92, vcc_lo
	v_xor_b32_e32 v87, 1, v87
	v_add_nc_u32_e32 v86, v99, v86
	v_bfe_u32 v99, v58, 21, 1
	v_add_nc_u32_e32 v99, -1, v99
	v_cndmask_b32_e64 v99, 0, v99, s16
	s_mov_b32 s16, exec_lo
	v_add_nc_u32_e32 v99, v99, v58
	v_and_b32_e32 v99, 0x1fffff, v99
	v_add_nc_u32_e32 v99, v99, v58
                                        ; implicit-def: $vgpr58
	v_cmpx_ne_u32_e64 v86, v87
	s_xor_b32 s16, exec_lo, s16
; %bb.1373:                             ;   in Loop: Header=BB6_358 Depth=4
	v_cmp_lt_u32_e32 vcc_lo, 0xffffff, v99
	v_sub_nc_u32_e32 v86, v86, v87
	v_cndmask_b32_e64 v87, 0, 1, vcc_lo
	v_add_co_ci_u32_e64 v58, null, 0, v86, vcc_lo
	v_lshrrev_b32_e32 v99, v87, v99
; %bb.1374:                             ;   in Loop: Header=BB6_358 Depth=4
	s_andn2_saveexec_b32 s16, s16
; %bb.1375:                             ;   in Loop: Header=BB6_358 Depth=4
	v_bfe_u32 v58, v99, 23, 1
; %bb.1376:                             ;   in Loop: Header=BB6_358 Depth=4
	s_or_b32 exec_lo, exec_lo, s16
	v_lshrrev_b32_e32 v87, 21, v99
	v_min_i32_e32 v99, 31, v58
	v_cmp_gt_i32_e32 vcc_lo, 32, v58
	v_and_b32_sdwa v86, v46, v60 dst_sel:DWORD dst_unused:UNUSED_PAD src0_sel:BYTE_3 src1_sel:DWORD
	v_lshlrev_b32_e32 v99, 2, v99
	v_cndmask_b32_e32 v87, 3, v87, vcc_lo
	v_and_b32_e32 v99, 0xfc, v99
	v_or_b32_e32 v46, v58, v87
	v_and_b32_e32 v87, 3, v87
	v_cmp_ne_u32_e32 vcc_lo, 0, v46
	v_or3_b32 v86, v99, v86, v87
	v_cndmask_b32_e32 v99, 0, v86, vcc_lo
.LBB6_1377:                             ;   in Loop: Header=BB6_358 Depth=4
	s_or_b32 exec_lo, exec_lo, s63
.LBB6_1378:                             ;   in Loop: Header=BB6_358 Depth=4
	s_or_b32 exec_lo, exec_lo, s62
	v_cmp_gt_i16_sdwa s62, v12, v59 src0_sel:BYTE_3 src1_sel:DWORD
	s_mov_b32 s16, 0
	s_and_saveexec_b32 s63, s62
	s_xor_b32 s62, exec_lo, s63
	s_cbranch_execz .LBB6_1840
; %bb.1379:                             ;   in Loop: Header=BB6_358 Depth=4
	v_cmp_eq_u16_sdwa s72, v12, v60 src0_sel:BYTE_3 src1_sel:DWORD
	s_mov_b32 s16, -1
	s_and_saveexec_b32 s63, s72
; %bb.1380:                             ;   in Loop: Header=BB6_358 Depth=4
	s_xor_b32 s16, exec_lo, -1
; %bb.1381:                             ;   in Loop: Header=BB6_358 Depth=4
	s_or_b32 exec_lo, exec_lo, s63
	s_and_b32 s16, s16, exec_lo
	s_or_saveexec_b32 s62, s62
	v_mov_b32_e32 v86, 0x7f800001
	s_xor_b32 exec_lo, exec_lo, s62
	s_cbranch_execnz .LBB6_1841
.LBB6_1382:                             ;   in Loop: Header=BB6_358 Depth=4
	s_or_b32 exec_lo, exec_lo, s62
	s_and_saveexec_b32 s62, s16
	s_cbranch_execz .LBB6_1384
.LBB6_1383:                             ;   in Loop: Header=BB6_358 Depth=4
	v_bfe_u32 v86, v12, 24, 2
	v_bfe_u32 v58, v12, 26, 5
	v_ffbh_u32_e32 v87, v86
	v_cmp_eq_u32_e32 vcc_lo, 0, v58
	v_min_u32_e32 v87, 32, v87
	v_subrev_nc_u32_e32 v46, 29, v87
	v_sub_nc_u32_e32 v87, 30, v87
	v_lshlrev_b32_sdwa v46, v46, v12 dst_sel:DWORD dst_unused:UNUSED_PAD src0_sel:DWORD src1_sel:BYTE_3
	v_cndmask_b32_e32 v87, v58, v87, vcc_lo
	v_and_b32_e32 v12, 0x80000000, v12
	v_and_b32_e32 v46, 3, v46
	v_lshl_add_u32 v87, v87, 23, 0x37800000
	v_cndmask_b32_e32 v86, v86, v46, vcc_lo
	v_lshlrev_b32_e32 v86, 21, v86
	v_or3_b32 v86, v12, v87, v86
.LBB6_1384:                             ;   in Loop: Header=BB6_358 Depth=4
	s_or_b32 exec_lo, exec_lo, s62
	v_cmp_gt_i16_sdwa s62, v8, v59 src0_sel:BYTE_3 src1_sel:DWORD
	s_mov_b32 s16, 0
	s_and_saveexec_b32 s63, s62
	s_xor_b32 s62, exec_lo, s63
	s_cbranch_execz .LBB6_1842
; %bb.1385:                             ;   in Loop: Header=BB6_358 Depth=4
	v_cmp_eq_u16_sdwa s72, v8, v60 src0_sel:BYTE_3 src1_sel:DWORD
	s_mov_b32 s16, -1
	s_and_saveexec_b32 s63, s72
; %bb.1386:                             ;   in Loop: Header=BB6_358 Depth=4
	s_xor_b32 s16, exec_lo, -1
; %bb.1387:                             ;   in Loop: Header=BB6_358 Depth=4
	s_or_b32 exec_lo, exec_lo, s63
	s_and_b32 s16, s16, exec_lo
	s_or_saveexec_b32 s62, s62
	v_mov_b32_e32 v12, 0x7f800001
	s_xor_b32 exec_lo, exec_lo, s62
	s_cbranch_execnz .LBB6_1843
.LBB6_1388:                             ;   in Loop: Header=BB6_358 Depth=4
	s_or_b32 exec_lo, exec_lo, s62
	s_and_saveexec_b32 s62, s16
	s_cbranch_execz .LBB6_1390
.LBB6_1389:                             ;   in Loop: Header=BB6_358 Depth=4
	v_bfe_u32 v12, v8, 24, 2
	v_bfe_u32 v58, v8, 26, 5
	v_ffbh_u32_e32 v87, v12
	v_cmp_eq_u32_e32 vcc_lo, 0, v58
	v_min_u32_e32 v87, 32, v87
	v_subrev_nc_u32_e32 v46, 29, v87
	v_sub_nc_u32_e32 v87, 30, v87
	v_lshlrev_b32_sdwa v46, v46, v8 dst_sel:DWORD dst_unused:UNUSED_PAD src0_sel:DWORD src1_sel:BYTE_3
	v_cndmask_b32_e32 v87, v58, v87, vcc_lo
	v_and_b32_e32 v8, 0x80000000, v8
	v_and_b32_e32 v46, 3, v46
	v_lshl_add_u32 v87, v87, 23, 0x37800000
	v_cndmask_b32_e32 v12, v12, v46, vcc_lo
	v_lshlrev_b32_e32 v12, 21, v12
	v_or3_b32 v12, v8, v87, v12
.LBB6_1390:                             ;   in Loop: Header=BB6_358 Depth=4
	s_or_b32 exec_lo, exec_lo, s62
	v_mul_f32_e32 v12, v86, v12
	v_and_b32_e32 v8, 0x7f800000, v12
	v_cmp_ne_u32_e32 vcc_lo, 0x7f800000, v8
	v_mov_b32_e32 v8, 0x8000
	s_and_saveexec_b32 s62, vcc_lo
	s_cbranch_execz .LBB6_1398
; %bb.1391:                             ;   in Loop: Header=BB6_358 Depth=4
	v_mov_b32_e32 v8, 0
	s_mov_b32 s63, exec_lo
	v_cmpx_ne_u32_e32 0, v12
	s_cbranch_execz .LBB6_1397
; %bb.1392:                             ;   in Loop: Header=BB6_358 Depth=4
	v_bfe_u32 v86, v12, 23, 8
	v_and_b32_e32 v8, 0x7fffff, v12
	v_cmp_gt_u32_e64 s16, 0x71, v86
	v_sub_nc_u32_e32 v87, 0x70, v86
	v_cmp_eq_u32_e32 vcc_lo, 0, v86
	v_or_b32_e32 v46, 0x800000, v8
	v_cndmask_b32_e64 v87, 0, v87, s16
	v_cndmask_b32_e32 v8, v46, v8, vcc_lo
	v_cndmask_b32_e64 v87, v87, 0x6f, vcc_lo
	v_lshl_add_u32 v46, 0x200000, v87, -1
	v_lshlrev_b32_e64 v58, v87, 0x100000
	v_and_b32_e32 v46, v46, v8
	v_cmp_eq_u32_e64 s16, v46, v58
	v_lshrrev_b32_e32 v46, v87, v8
	v_add_nc_u32_e32 v8, 0xffffff91, v86
	v_lshrrev_b32_e32 v86, 23, v46
	v_cndmask_b32_e64 v8, v8, 0xffffff92, vcc_lo
	v_xor_b32_e32 v86, 1, v86
	v_add_nc_u32_e32 v8, v87, v8
	v_bfe_u32 v87, v46, 21, 1
	v_add_nc_u32_e32 v87, -1, v87
	v_cndmask_b32_e64 v87, 0, v87, s16
	s_mov_b32 s16, exec_lo
	v_add_nc_u32_e32 v87, v87, v46
	v_and_b32_e32 v87, 0x1fffff, v87
	v_add_nc_u32_e32 v87, v87, v46
                                        ; implicit-def: $vgpr46
	v_cmpx_ne_u32_e64 v8, v86
	s_xor_b32 s16, exec_lo, s16
; %bb.1393:                             ;   in Loop: Header=BB6_358 Depth=4
	v_cmp_lt_u32_e32 vcc_lo, 0xffffff, v87
	v_sub_nc_u32_e32 v8, v8, v86
	v_cndmask_b32_e64 v86, 0, 1, vcc_lo
	v_add_co_ci_u32_e64 v46, null, 0, v8, vcc_lo
	v_lshrrev_b32_e32 v87, v86, v87
; %bb.1394:                             ;   in Loop: Header=BB6_358 Depth=4
	s_andn2_saveexec_b32 s16, s16
; %bb.1395:                             ;   in Loop: Header=BB6_358 Depth=4
	v_bfe_u32 v46, v87, 23, 1
; %bb.1396:                             ;   in Loop: Header=BB6_358 Depth=4
	s_or_b32 exec_lo, exec_lo, s16
	v_and_b32_sdwa v8, v12, v60 dst_sel:DWORD dst_unused:UNUSED_PAD src0_sel:BYTE_3 src1_sel:DWORD
	v_lshrrev_b32_e32 v12, 21, v87
	v_min_i32_e32 v86, 31, v46
	v_cmp_gt_i32_e32 vcc_lo, 32, v46
	v_lshlrev_b32_e32 v86, 2, v86
	v_cndmask_b32_e32 v12, 3, v12, vcc_lo
	v_and_b32_e32 v86, 0xfc, v86
	v_or_b32_e32 v87, v46, v12
	v_and_b32_e32 v12, 3, v12
	v_cmp_ne_u32_e32 vcc_lo, 0, v87
	v_or3_b32 v8, v8, v86, v12
	v_lshlrev_b32_e32 v8, 8, v8
	v_cndmask_b32_e32 v8, 0, v8, vcc_lo
.LBB6_1397:                             ;   in Loop: Header=BB6_358 Depth=4
	s_or_b32 exec_lo, exec_lo, s63
.LBB6_1398:                             ;   in Loop: Header=BB6_358 Depth=4
	s_or_b32 exec_lo, exec_lo, s62
	v_cmp_gt_i16_sdwa s16, v13, v59 src0_sel:BYTE_0 src1_sel:DWORD
	s_mov_b32 s62, 0
	s_and_saveexec_b32 s63, s16
	s_xor_b32 s16, exec_lo, s63
	s_cbranch_execz .LBB6_1844
; %bb.1399:                             ;   in Loop: Header=BB6_358 Depth=4
	v_cmp_eq_u16_sdwa s72, v13, v60 src0_sel:BYTE_0 src1_sel:DWORD
	s_mov_b32 s62, -1
	s_and_saveexec_b32 s63, s72
; %bb.1400:                             ;   in Loop: Header=BB6_358 Depth=4
	s_xor_b32 s62, exec_lo, -1
; %bb.1401:                             ;   in Loop: Header=BB6_358 Depth=4
	s_or_b32 exec_lo, exec_lo, s63
	s_and_b32 s62, s62, exec_lo
	s_or_saveexec_b32 s16, s16
	v_mov_b32_e32 v12, 0x7f800001
	s_xor_b32 exec_lo, exec_lo, s16
	s_cbranch_execnz .LBB6_1845
.LBB6_1402:                             ;   in Loop: Header=BB6_358 Depth=4
	s_or_b32 exec_lo, exec_lo, s16
	s_and_saveexec_b32 s16, s62
	s_cbranch_execz .LBB6_1404
.LBB6_1403:                             ;   in Loop: Header=BB6_358 Depth=4
	v_and_b32_e32 v12, 3, v13
	v_bfe_u32 v86, v13, 2, 5
	v_ffbh_u32_e32 v87, v12
	v_cmp_eq_u32_e32 vcc_lo, 0, v86
	v_min_u32_e32 v87, 32, v87
	v_subrev_nc_u32_e32 v46, 29, v87
	v_sub_nc_u32_e32 v87, 30, v87
	v_lshlrev_b32_e32 v46, v46, v13
	v_cndmask_b32_e32 v86, v86, v87, vcc_lo
	v_lshlrev_b32_e32 v87, 24, v13
	v_and_b32_e32 v46, 3, v46
	v_lshl_add_u32 v86, v86, 23, 0x37800000
	v_and_b32_e32 v87, 0x80000000, v87
	v_cndmask_b32_e32 v12, v12, v46, vcc_lo
	v_lshlrev_b32_e32 v12, 21, v12
	v_or3_b32 v12, v87, v86, v12
.LBB6_1404:                             ;   in Loop: Header=BB6_358 Depth=4
	s_or_b32 exec_lo, exec_lo, s16
	v_cmp_gt_i16_sdwa s16, v9, v59 src0_sel:BYTE_0 src1_sel:DWORD
	s_mov_b32 s62, 0
	s_and_saveexec_b32 s63, s16
	s_xor_b32 s16, exec_lo, s63
	s_cbranch_execz .LBB6_1846
; %bb.1405:                             ;   in Loop: Header=BB6_358 Depth=4
	v_cmp_eq_u16_sdwa s72, v9, v60 src0_sel:BYTE_0 src1_sel:DWORD
	s_mov_b32 s62, -1
	s_and_saveexec_b32 s63, s72
; %bb.1406:                             ;   in Loop: Header=BB6_358 Depth=4
	s_xor_b32 s62, exec_lo, -1
; %bb.1407:                             ;   in Loop: Header=BB6_358 Depth=4
	s_or_b32 exec_lo, exec_lo, s63
	s_and_b32 s62, s62, exec_lo
	s_or_saveexec_b32 s16, s16
	v_mov_b32_e32 v86, 0x7f800001
	s_xor_b32 exec_lo, exec_lo, s16
	s_cbranch_execnz .LBB6_1847
.LBB6_1408:                             ;   in Loop: Header=BB6_358 Depth=4
	s_or_b32 exec_lo, exec_lo, s16
	s_and_saveexec_b32 s16, s62
	s_cbranch_execz .LBB6_1410
.LBB6_1409:                             ;   in Loop: Header=BB6_358 Depth=4
	v_and_b32_e32 v86, 3, v9
	v_bfe_u32 v87, v9, 2, 5
	v_ffbh_u32_e32 v46, v86
	v_cmp_eq_u32_e32 vcc_lo, 0, v87
	v_min_u32_e32 v46, 32, v46
	v_subrev_nc_u32_e32 v58, 29, v46
	v_sub_nc_u32_e32 v46, 30, v46
	v_lshlrev_b32_e32 v58, v58, v9
	v_cndmask_b32_e32 v87, v87, v46, vcc_lo
	v_lshlrev_b32_e32 v46, 24, v9
	v_and_b32_e32 v58, 3, v58
	v_lshl_add_u32 v87, v87, 23, 0x37800000
	v_and_b32_e32 v46, 0x80000000, v46
	v_cndmask_b32_e32 v86, v86, v58, vcc_lo
	v_lshlrev_b32_e32 v86, 21, v86
	v_or3_b32 v86, v46, v87, v86
.LBB6_1410:                             ;   in Loop: Header=BB6_358 Depth=4
	s_or_b32 exec_lo, exec_lo, s16
	v_mul_f32_e32 v46, v12, v86
	v_and_b32_e32 v12, 0x7f800000, v46
	v_cmp_ne_u32_e32 vcc_lo, 0x7f800000, v12
	v_mov_b32_e32 v12, 0x80
	s_and_saveexec_b32 s62, vcc_lo
	s_cbranch_execz .LBB6_1418
; %bb.1411:                             ;   in Loop: Header=BB6_358 Depth=4
	v_mov_b32_e32 v12, 0
	s_mov_b32 s63, exec_lo
	v_cmpx_ne_u32_e32 0, v46
	s_cbranch_execz .LBB6_1417
; %bb.1412:                             ;   in Loop: Header=BB6_358 Depth=4
	v_bfe_u32 v86, v46, 23, 8
	v_and_b32_e32 v12, 0x7fffff, v46
	v_cmp_gt_u32_e64 s16, 0x71, v86
	v_sub_nc_u32_e32 v87, 0x70, v86
	v_cmp_eq_u32_e32 vcc_lo, 0, v86
	v_or_b32_e32 v58, 0x800000, v12
	v_cndmask_b32_e64 v87, 0, v87, s16
	v_cndmask_b32_e32 v12, v58, v12, vcc_lo
	v_cndmask_b32_e64 v87, v87, 0x6f, vcc_lo
	v_lshl_add_u32 v58, 0x200000, v87, -1
	v_lshlrev_b32_e64 v73, v87, 0x100000
	v_and_b32_e32 v58, v58, v12
	v_cmp_eq_u32_e64 s16, v58, v73
	v_lshrrev_b32_e32 v58, v87, v12
	v_add_nc_u32_e32 v12, 0xffffff91, v86
	v_lshrrev_b32_e32 v86, 23, v58
	v_cndmask_b32_e64 v12, v12, 0xffffff92, vcc_lo
	v_xor_b32_e32 v86, 1, v86
	v_add_nc_u32_e32 v12, v87, v12
	v_bfe_u32 v87, v58, 21, 1
	v_add_nc_u32_e32 v87, -1, v87
	v_cndmask_b32_e64 v87, 0, v87, s16
	s_mov_b32 s16, exec_lo
	v_add_nc_u32_e32 v87, v87, v58
	v_and_b32_e32 v87, 0x1fffff, v87
	v_add_nc_u32_e32 v87, v87, v58
                                        ; implicit-def: $vgpr58
	v_cmpx_ne_u32_e64 v12, v86
	s_xor_b32 s16, exec_lo, s16
; %bb.1413:                             ;   in Loop: Header=BB6_358 Depth=4
	v_cmp_lt_u32_e32 vcc_lo, 0xffffff, v87
	v_sub_nc_u32_e32 v12, v12, v86
	v_cndmask_b32_e64 v86, 0, 1, vcc_lo
	v_add_co_ci_u32_e64 v58, null, 0, v12, vcc_lo
	v_lshrrev_b32_e32 v87, v86, v87
; %bb.1414:                             ;   in Loop: Header=BB6_358 Depth=4
	s_andn2_saveexec_b32 s16, s16
; %bb.1415:                             ;   in Loop: Header=BB6_358 Depth=4
	v_bfe_u32 v58, v87, 23, 1
; %bb.1416:                             ;   in Loop: Header=BB6_358 Depth=4
	s_or_b32 exec_lo, exec_lo, s16
	v_lshrrev_b32_e32 v86, 21, v87
	v_min_i32_e32 v87, 31, v58
	v_cmp_gt_i32_e32 vcc_lo, 32, v58
	v_and_b32_sdwa v12, v46, v60 dst_sel:DWORD dst_unused:UNUSED_PAD src0_sel:BYTE_3 src1_sel:DWORD
	v_lshlrev_b32_e32 v87, 2, v87
	v_cndmask_b32_e32 v86, 3, v86, vcc_lo
	v_and_b32_e32 v87, 0xfc, v87
	v_or_b32_e32 v46, v58, v86
	v_and_b32_e32 v86, 3, v86
	v_cmp_ne_u32_e32 vcc_lo, 0, v46
	v_or3_b32 v12, v87, v12, v86
	v_cndmask_b32_e32 v12, 0, v12, vcc_lo
.LBB6_1417:                             ;   in Loop: Header=BB6_358 Depth=4
	s_or_b32 exec_lo, exec_lo, s63
.LBB6_1418:                             ;   in Loop: Header=BB6_358 Depth=4
	s_or_b32 exec_lo, exec_lo, s62
	v_cmp_gt_i16_sdwa s62, v13, v59 src0_sel:BYTE_1 src1_sel:DWORD
	s_mov_b32 s16, 0
	s_and_saveexec_b32 s63, s62
	s_xor_b32 s62, exec_lo, s63
	s_cbranch_execz .LBB6_1848
; %bb.1419:                             ;   in Loop: Header=BB6_358 Depth=4
	v_cmp_eq_u16_sdwa s72, v13, v60 src0_sel:BYTE_1 src1_sel:DWORD
	s_mov_b32 s16, -1
	s_and_saveexec_b32 s63, s72
; %bb.1420:                             ;   in Loop: Header=BB6_358 Depth=4
	s_xor_b32 s16, exec_lo, -1
; %bb.1421:                             ;   in Loop: Header=BB6_358 Depth=4
	s_or_b32 exec_lo, exec_lo, s63
	s_and_b32 s16, s16, exec_lo
	s_or_saveexec_b32 s62, s62
	v_mov_b32_e32 v86, 0x7f800001
	s_xor_b32 exec_lo, exec_lo, s62
	s_cbranch_execnz .LBB6_1849
.LBB6_1422:                             ;   in Loop: Header=BB6_358 Depth=4
	s_or_b32 exec_lo, exec_lo, s62
	s_and_saveexec_b32 s62, s16
	s_cbranch_execz .LBB6_1424
.LBB6_1423:                             ;   in Loop: Header=BB6_358 Depth=4
	v_and_b32_sdwa v86, v61, v13 dst_sel:DWORD dst_unused:UNUSED_PAD src0_sel:DWORD src1_sel:BYTE_1
	v_and_b32_e32 v87, 3, v86
	v_bfe_u32 v73, v86, 2, 5
	v_ffbh_u32_e32 v46, v87
	v_cmp_eq_u32_e32 vcc_lo, 0, v73
	v_min_u32_e32 v46, 32, v46
	v_subrev_nc_u32_e32 v58, 29, v46
	v_sub_nc_u32_e32 v46, 30, v46
	v_lshlrev_b32_e32 v86, v58, v86
	v_lshlrev_b32_sdwa v58, v62, v13 dst_sel:DWORD dst_unused:UNUSED_PAD src0_sel:DWORD src1_sel:BYTE_1
	v_cndmask_b32_e32 v46, v73, v46, vcc_lo
	v_and_b32_e32 v86, 3, v86
	v_lshl_add_u32 v46, v46, 23, 0x37800000
	v_cndmask_b32_e32 v86, v87, v86, vcc_lo
	v_and_b32_e32 v87, 0x80000000, v58
	v_lshlrev_b32_e32 v86, 21, v86
	v_or3_b32 v86, v87, v46, v86
.LBB6_1424:                             ;   in Loop: Header=BB6_358 Depth=4
	s_or_b32 exec_lo, exec_lo, s62
	v_cmp_gt_i16_sdwa s62, v9, v59 src0_sel:BYTE_1 src1_sel:DWORD
	s_mov_b32 s16, 0
	s_and_saveexec_b32 s63, s62
	s_xor_b32 s62, exec_lo, s63
	s_cbranch_execz .LBB6_1850
; %bb.1425:                             ;   in Loop: Header=BB6_358 Depth=4
	v_cmp_eq_u16_sdwa s72, v9, v60 src0_sel:BYTE_1 src1_sel:DWORD
	s_mov_b32 s16, -1
	s_and_saveexec_b32 s63, s72
; %bb.1426:                             ;   in Loop: Header=BB6_358 Depth=4
	s_xor_b32 s16, exec_lo, -1
; %bb.1427:                             ;   in Loop: Header=BB6_358 Depth=4
	s_or_b32 exec_lo, exec_lo, s63
	s_and_b32 s16, s16, exec_lo
	s_or_saveexec_b32 s62, s62
	v_mov_b32_e32 v87, 0x7f800001
	s_xor_b32 exec_lo, exec_lo, s62
	s_cbranch_execnz .LBB6_1851
.LBB6_1428:                             ;   in Loop: Header=BB6_358 Depth=4
	s_or_b32 exec_lo, exec_lo, s62
	s_and_saveexec_b32 s62, s16
	s_cbranch_execz .LBB6_1430
.LBB6_1429:                             ;   in Loop: Header=BB6_358 Depth=4
	v_and_b32_sdwa v87, v61, v9 dst_sel:DWORD dst_unused:UNUSED_PAD src0_sel:DWORD src1_sel:BYTE_1
	v_and_b32_e32 v46, 3, v87
	v_bfe_u32 v79, v87, 2, 5
	v_ffbh_u32_e32 v58, v46
	v_cmp_eq_u32_e32 vcc_lo, 0, v79
	v_min_u32_e32 v58, 32, v58
	v_subrev_nc_u32_e32 v73, 29, v58
	v_sub_nc_u32_e32 v58, 30, v58
	v_lshlrev_b32_e32 v87, v73, v87
	v_lshlrev_b32_sdwa v73, v62, v9 dst_sel:DWORD dst_unused:UNUSED_PAD src0_sel:DWORD src1_sel:BYTE_1
	v_cndmask_b32_e32 v58, v79, v58, vcc_lo
	v_and_b32_e32 v87, 3, v87
	v_lshl_add_u32 v58, v58, 23, 0x37800000
	v_cndmask_b32_e32 v87, v46, v87, vcc_lo
	v_and_b32_e32 v46, 0x80000000, v73
	v_lshlrev_b32_e32 v87, 21, v87
	v_or3_b32 v87, v46, v58, v87
.LBB6_1430:                             ;   in Loop: Header=BB6_358 Depth=4
	s_or_b32 exec_lo, exec_lo, s62
	v_mul_f32_e32 v46, v86, v87
	v_mov_b32_e32 v105, 0x8000
	s_mov_b32 s62, exec_lo
	v_and_b32_e32 v86, 0x7f800000, v46
	v_cmpx_ne_u32_e32 0x7f800000, v86
	s_cbranch_execz .LBB6_1438
; %bb.1431:                             ;   in Loop: Header=BB6_358 Depth=4
	v_mov_b32_e32 v105, 0
	s_mov_b32 s63, exec_lo
	v_cmpx_ne_u32_e32 0, v46
	s_cbranch_execz .LBB6_1437
; %bb.1432:                             ;   in Loop: Header=BB6_358 Depth=4
	v_bfe_u32 v87, v46, 23, 8
	v_and_b32_e32 v86, 0x7fffff, v46
	v_cmp_gt_u32_e64 s16, 0x71, v87
	v_sub_nc_u32_e32 v58, 0x70, v87
	v_cmp_eq_u32_e32 vcc_lo, 0, v87
	v_or_b32_e32 v73, 0x800000, v86
	v_cndmask_b32_e64 v58, 0, v58, s16
	v_cndmask_b32_e32 v86, v73, v86, vcc_lo
	v_cndmask_b32_e64 v58, v58, 0x6f, vcc_lo
	v_lshl_add_u32 v73, 0x200000, v58, -1
	v_lshlrev_b32_e64 v79, v58, 0x100000
	v_and_b32_e32 v73, v73, v86
	v_cmp_eq_u32_e64 s16, v73, v79
	v_lshrrev_b32_e32 v73, v58, v86
	v_add_nc_u32_e32 v86, 0xffffff91, v87
	v_lshrrev_b32_e32 v87, 23, v73
	v_cndmask_b32_e64 v86, v86, 0xffffff92, vcc_lo
	v_xor_b32_e32 v87, 1, v87
	v_add_nc_u32_e32 v86, v58, v86
	v_bfe_u32 v58, v73, 21, 1
	v_add_nc_u32_e32 v58, -1, v58
	v_cndmask_b32_e64 v58, 0, v58, s16
	s_mov_b32 s16, exec_lo
	v_add_nc_u32_e32 v58, v58, v73
	v_and_b32_e32 v58, 0x1fffff, v58
	v_add_nc_u32_e32 v58, v58, v73
                                        ; implicit-def: $vgpr73
	v_cmpx_ne_u32_e64 v86, v87
	s_xor_b32 s16, exec_lo, s16
; %bb.1433:                             ;   in Loop: Header=BB6_358 Depth=4
	v_cmp_lt_u32_e32 vcc_lo, 0xffffff, v58
	v_sub_nc_u32_e32 v86, v86, v87
	v_cndmask_b32_e64 v87, 0, 1, vcc_lo
	v_add_co_ci_u32_e64 v73, null, 0, v86, vcc_lo
	v_lshrrev_b32_e32 v58, v87, v58
; %bb.1434:                             ;   in Loop: Header=BB6_358 Depth=4
	s_andn2_saveexec_b32 s16, s16
; %bb.1435:                             ;   in Loop: Header=BB6_358 Depth=4
	v_bfe_u32 v73, v58, 23, 1
; %bb.1436:                             ;   in Loop: Header=BB6_358 Depth=4
	s_or_b32 exec_lo, exec_lo, s16
	v_and_b32_sdwa v86, v46, v60 dst_sel:DWORD dst_unused:UNUSED_PAD src0_sel:BYTE_3 src1_sel:DWORD
	v_lshrrev_b32_e32 v87, 21, v58
	v_min_i32_e32 v46, 31, v73
	v_cmp_gt_i32_e32 vcc_lo, 32, v73
	v_lshlrev_b32_e32 v46, 2, v46
	v_cndmask_b32_e32 v87, 3, v87, vcc_lo
	v_and_b32_e32 v46, 0xfc, v46
	v_or_b32_e32 v58, v73, v87
	v_and_b32_e32 v87, 3, v87
	v_cmp_ne_u32_e32 vcc_lo, 0, v58
	v_or3_b32 v86, v86, v46, v87
	v_lshlrev_b32_e32 v86, 8, v86
	v_cndmask_b32_e32 v105, 0, v86, vcc_lo
.LBB6_1437:                             ;   in Loop: Header=BB6_358 Depth=4
	s_or_b32 exec_lo, exec_lo, s63
.LBB6_1438:                             ;   in Loop: Header=BB6_358 Depth=4
	s_or_b32 exec_lo, exec_lo, s62
	v_and_b32_sdwa v87, v13, v63 dst_sel:DWORD dst_unused:UNUSED_PAD src0_sel:WORD_1 src1_sel:DWORD
	s_mov_b32 s62, 0
	s_mov_b32 s16, exec_lo
	v_cmpx_lt_i16_e32 0x7f, v87
	s_xor_b32 s16, exec_lo, s16
	s_cbranch_execz .LBB6_1852
; %bb.1439:                             ;   in Loop: Header=BB6_358 Depth=4
	s_mov_b32 s62, -1
	s_mov_b32 s63, exec_lo
	v_cmpx_eq_u16_e32 0x80, v87
; %bb.1440:                             ;   in Loop: Header=BB6_358 Depth=4
	s_xor_b32 s62, exec_lo, -1
; %bb.1441:                             ;   in Loop: Header=BB6_358 Depth=4
	s_or_b32 exec_lo, exec_lo, s63
	s_and_b32 s62, s62, exec_lo
                                        ; implicit-def: $vgpr87
	s_or_saveexec_b32 s16, s16
	v_mov_b32_e32 v86, 0x7f800001
	s_xor_b32 exec_lo, exec_lo, s16
	s_cbranch_execnz .LBB6_1853
.LBB6_1442:                             ;   in Loop: Header=BB6_358 Depth=4
	s_or_b32 exec_lo, exec_lo, s16
	s_and_saveexec_b32 s16, s62
	s_cbranch_execz .LBB6_1444
.LBB6_1443:                             ;   in Loop: Header=BB6_358 Depth=4
	v_bfe_u32 v86, v13, 16, 2
	v_bfe_u32 v87, v13, 18, 5
	v_ffbh_u32_e32 v46, v86
	v_cmp_eq_u32_e32 vcc_lo, 0, v87
	v_min_u32_e32 v46, 32, v46
	v_subrev_nc_u32_e32 v58, 29, v46
	v_sub_nc_u32_e32 v46, 30, v46
	v_lshlrev_b32_sdwa v58, v58, v13 dst_sel:DWORD dst_unused:UNUSED_PAD src0_sel:DWORD src1_sel:WORD_1
	v_cndmask_b32_e32 v87, v87, v46, vcc_lo
	v_lshlrev_b32_e32 v46, 8, v13
	v_and_b32_e32 v58, 3, v58
	v_lshl_add_u32 v87, v87, 23, 0x37800000
	v_and_b32_e32 v46, 0x80000000, v46
	v_cndmask_b32_e32 v86, v86, v58, vcc_lo
	v_lshlrev_b32_e32 v86, 21, v86
	v_or3_b32 v86, v46, v87, v86
.LBB6_1444:                             ;   in Loop: Header=BB6_358 Depth=4
	s_or_b32 exec_lo, exec_lo, s16
	v_and_b32_sdwa v46, v9, v63 dst_sel:DWORD dst_unused:UNUSED_PAD src0_sel:WORD_1 src1_sel:DWORD
	s_mov_b32 s62, 0
	s_mov_b32 s16, exec_lo
	v_cmpx_lt_i16_e32 0x7f, v46
	s_xor_b32 s16, exec_lo, s16
	s_cbranch_execz .LBB6_1854
; %bb.1445:                             ;   in Loop: Header=BB6_358 Depth=4
	s_mov_b32 s62, -1
	s_mov_b32 s63, exec_lo
	v_cmpx_eq_u16_e32 0x80, v46
; %bb.1446:                             ;   in Loop: Header=BB6_358 Depth=4
	s_xor_b32 s62, exec_lo, -1
; %bb.1447:                             ;   in Loop: Header=BB6_358 Depth=4
	s_or_b32 exec_lo, exec_lo, s63
	s_and_b32 s62, s62, exec_lo
                                        ; implicit-def: $vgpr46
	s_or_saveexec_b32 s16, s16
	v_mov_b32_e32 v87, 0x7f800001
	s_xor_b32 exec_lo, exec_lo, s16
	s_cbranch_execnz .LBB6_1855
.LBB6_1448:                             ;   in Loop: Header=BB6_358 Depth=4
	s_or_b32 exec_lo, exec_lo, s16
	s_and_saveexec_b32 s16, s62
	s_cbranch_execz .LBB6_1450
.LBB6_1449:                             ;   in Loop: Header=BB6_358 Depth=4
	v_bfe_u32 v87, v9, 16, 2
	v_bfe_u32 v46, v9, 18, 5
	v_ffbh_u32_e32 v58, v87
	v_cmp_eq_u32_e32 vcc_lo, 0, v46
	v_min_u32_e32 v58, 32, v58
	v_subrev_nc_u32_e32 v73, 29, v58
	v_sub_nc_u32_e32 v58, 30, v58
	v_lshlrev_b32_sdwa v73, v73, v9 dst_sel:DWORD dst_unused:UNUSED_PAD src0_sel:DWORD src1_sel:WORD_1
	v_cndmask_b32_e32 v46, v46, v58, vcc_lo
	v_lshlrev_b32_e32 v58, 8, v9
	v_and_b32_e32 v73, 3, v73
	v_lshl_add_u32 v46, v46, 23, 0x37800000
	v_and_b32_e32 v58, 0x80000000, v58
	v_cndmask_b32_e32 v87, v87, v73, vcc_lo
	v_lshlrev_b32_e32 v87, 21, v87
	v_or3_b32 v87, v58, v46, v87
.LBB6_1450:                             ;   in Loop: Header=BB6_358 Depth=4
	s_or_b32 exec_lo, exec_lo, s16
	v_mul_f32_e32 v46, v86, v87
	v_mov_b32_e32 v73, 0x80
	s_mov_b32 s62, exec_lo
	v_and_b32_e32 v86, 0x7f800000, v46
	v_cmpx_ne_u32_e32 0x7f800000, v86
	s_cbranch_execz .LBB6_1458
; %bb.1451:                             ;   in Loop: Header=BB6_358 Depth=4
	v_mov_b32_e32 v73, 0
	s_mov_b32 s63, exec_lo
	v_cmpx_ne_u32_e32 0, v46
	s_cbranch_execz .LBB6_1457
; %bb.1452:                             ;   in Loop: Header=BB6_358 Depth=4
	v_bfe_u32 v87, v46, 23, 8
	v_and_b32_e32 v86, 0x7fffff, v46
	v_cmp_gt_u32_e64 s16, 0x71, v87
	v_sub_nc_u32_e32 v58, 0x70, v87
	v_cmp_eq_u32_e32 vcc_lo, 0, v87
	v_or_b32_e32 v73, 0x800000, v86
	v_cndmask_b32_e64 v58, 0, v58, s16
	v_cndmask_b32_e32 v86, v73, v86, vcc_lo
	v_cndmask_b32_e64 v58, v58, 0x6f, vcc_lo
	v_lshl_add_u32 v73, 0x200000, v58, -1
	v_lshlrev_b32_e64 v79, v58, 0x100000
	v_and_b32_e32 v73, v73, v86
	v_cmp_eq_u32_e64 s16, v73, v79
	v_lshrrev_b32_e32 v73, v58, v86
	v_add_nc_u32_e32 v86, 0xffffff91, v87
	v_lshrrev_b32_e32 v87, 23, v73
	v_cndmask_b32_e64 v86, v86, 0xffffff92, vcc_lo
	v_xor_b32_e32 v87, 1, v87
	v_add_nc_u32_e32 v86, v58, v86
	v_bfe_u32 v58, v73, 21, 1
	v_add_nc_u32_e32 v58, -1, v58
	v_cndmask_b32_e64 v58, 0, v58, s16
	s_mov_b32 s16, exec_lo
	v_add_nc_u32_e32 v58, v58, v73
	v_and_b32_e32 v58, 0x1fffff, v58
	v_add_nc_u32_e32 v58, v58, v73
                                        ; implicit-def: $vgpr73
	v_cmpx_ne_u32_e64 v86, v87
	s_xor_b32 s16, exec_lo, s16
; %bb.1453:                             ;   in Loop: Header=BB6_358 Depth=4
	v_cmp_lt_u32_e32 vcc_lo, 0xffffff, v58
	v_sub_nc_u32_e32 v86, v86, v87
	v_cndmask_b32_e64 v87, 0, 1, vcc_lo
	v_add_co_ci_u32_e64 v73, null, 0, v86, vcc_lo
	v_lshrrev_b32_e32 v58, v87, v58
; %bb.1454:                             ;   in Loop: Header=BB6_358 Depth=4
	s_andn2_saveexec_b32 s16, s16
; %bb.1455:                             ;   in Loop: Header=BB6_358 Depth=4
	v_bfe_u32 v73, v58, 23, 1
; %bb.1456:                             ;   in Loop: Header=BB6_358 Depth=4
	s_or_b32 exec_lo, exec_lo, s16
	v_and_b32_sdwa v86, v46, v60 dst_sel:DWORD dst_unused:UNUSED_PAD src0_sel:BYTE_3 src1_sel:DWORD
	v_lshrrev_b32_e32 v87, 21, v58
	v_min_i32_e32 v46, 31, v73
	v_cmp_gt_i32_e32 vcc_lo, 32, v73
	v_lshlrev_b32_e32 v46, 2, v46
	v_cndmask_b32_e32 v87, 3, v87, vcc_lo
	v_and_b32_e32 v46, 0xfc, v46
	v_or_b32_e32 v58, v73, v87
	v_and_b32_e32 v87, 3, v87
	v_cmp_ne_u32_e32 vcc_lo, 0, v58
	v_or3_b32 v86, v46, v86, v87
	v_cndmask_b32_e32 v73, 0, v86, vcc_lo
.LBB6_1457:                             ;   in Loop: Header=BB6_358 Depth=4
	s_or_b32 exec_lo, exec_lo, s63
.LBB6_1458:                             ;   in Loop: Header=BB6_358 Depth=4
	s_or_b32 exec_lo, exec_lo, s62
	v_cmp_gt_i16_sdwa s62, v13, v59 src0_sel:BYTE_3 src1_sel:DWORD
	s_mov_b32 s16, 0
	s_and_saveexec_b32 s63, s62
	s_xor_b32 s62, exec_lo, s63
	s_cbranch_execz .LBB6_1856
; %bb.1459:                             ;   in Loop: Header=BB6_358 Depth=4
	v_cmp_eq_u16_sdwa s72, v13, v60 src0_sel:BYTE_3 src1_sel:DWORD
	s_mov_b32 s16, -1
	s_and_saveexec_b32 s63, s72
; %bb.1460:                             ;   in Loop: Header=BB6_358 Depth=4
	s_xor_b32 s16, exec_lo, -1
; %bb.1461:                             ;   in Loop: Header=BB6_358 Depth=4
	s_or_b32 exec_lo, exec_lo, s63
	s_and_b32 s16, s16, exec_lo
	s_or_saveexec_b32 s62, s62
	v_mov_b32_e32 v86, 0x7f800001
	s_xor_b32 exec_lo, exec_lo, s62
	s_cbranch_execnz .LBB6_1857
.LBB6_1462:                             ;   in Loop: Header=BB6_358 Depth=4
	s_or_b32 exec_lo, exec_lo, s62
	s_and_saveexec_b32 s62, s16
	s_cbranch_execz .LBB6_1464
.LBB6_1463:                             ;   in Loop: Header=BB6_358 Depth=4
	v_bfe_u32 v86, v13, 24, 2
	v_bfe_u32 v58, v13, 26, 5
	v_ffbh_u32_e32 v87, v86
	v_cmp_eq_u32_e32 vcc_lo, 0, v58
	v_min_u32_e32 v87, 32, v87
	v_subrev_nc_u32_e32 v46, 29, v87
	v_sub_nc_u32_e32 v87, 30, v87
	v_lshlrev_b32_sdwa v46, v46, v13 dst_sel:DWORD dst_unused:UNUSED_PAD src0_sel:DWORD src1_sel:BYTE_3
	v_cndmask_b32_e32 v87, v58, v87, vcc_lo
	v_and_b32_e32 v13, 0x80000000, v13
	v_and_b32_e32 v46, 3, v46
	v_lshl_add_u32 v87, v87, 23, 0x37800000
	v_cndmask_b32_e32 v86, v86, v46, vcc_lo
	v_lshlrev_b32_e32 v86, 21, v86
	v_or3_b32 v86, v13, v87, v86
.LBB6_1464:                             ;   in Loop: Header=BB6_358 Depth=4
	s_or_b32 exec_lo, exec_lo, s62
	v_cmp_gt_i16_sdwa s62, v9, v59 src0_sel:BYTE_3 src1_sel:DWORD
	s_mov_b32 s16, 0
	s_and_saveexec_b32 s63, s62
	s_xor_b32 s62, exec_lo, s63
	s_cbranch_execz .LBB6_1858
; %bb.1465:                             ;   in Loop: Header=BB6_358 Depth=4
	v_cmp_eq_u16_sdwa s72, v9, v60 src0_sel:BYTE_3 src1_sel:DWORD
	s_mov_b32 s16, -1
	s_and_saveexec_b32 s63, s72
; %bb.1466:                             ;   in Loop: Header=BB6_358 Depth=4
	s_xor_b32 s16, exec_lo, -1
; %bb.1467:                             ;   in Loop: Header=BB6_358 Depth=4
	s_or_b32 exec_lo, exec_lo, s63
	s_and_b32 s16, s16, exec_lo
	s_or_saveexec_b32 s62, s62
	v_mov_b32_e32 v13, 0x7f800001
	s_xor_b32 exec_lo, exec_lo, s62
	s_cbranch_execnz .LBB6_1859
.LBB6_1468:                             ;   in Loop: Header=BB6_358 Depth=4
	s_or_b32 exec_lo, exec_lo, s62
	s_and_saveexec_b32 s62, s16
	s_cbranch_execz .LBB6_1470
.LBB6_1469:                             ;   in Loop: Header=BB6_358 Depth=4
	v_bfe_u32 v13, v9, 24, 2
	v_bfe_u32 v58, v9, 26, 5
	v_ffbh_u32_e32 v87, v13
	v_cmp_eq_u32_e32 vcc_lo, 0, v58
	v_min_u32_e32 v87, 32, v87
	v_subrev_nc_u32_e32 v46, 29, v87
	v_sub_nc_u32_e32 v87, 30, v87
	v_lshlrev_b32_sdwa v46, v46, v9 dst_sel:DWORD dst_unused:UNUSED_PAD src0_sel:DWORD src1_sel:BYTE_3
	v_cndmask_b32_e32 v87, v58, v87, vcc_lo
	v_and_b32_e32 v9, 0x80000000, v9
	v_and_b32_e32 v46, 3, v46
	v_lshl_add_u32 v87, v87, 23, 0x37800000
	v_cndmask_b32_e32 v13, v13, v46, vcc_lo
	v_lshlrev_b32_e32 v13, 21, v13
	v_or3_b32 v13, v9, v87, v13
.LBB6_1470:                             ;   in Loop: Header=BB6_358 Depth=4
	s_or_b32 exec_lo, exec_lo, s62
	v_mul_f32_e32 v13, v86, v13
	v_and_b32_e32 v9, 0x7f800000, v13
	v_cmp_ne_u32_e32 vcc_lo, 0x7f800000, v9
	v_mov_b32_e32 v9, 0x8000
	s_and_saveexec_b32 s62, vcc_lo
	s_cbranch_execz .LBB6_1478
; %bb.1471:                             ;   in Loop: Header=BB6_358 Depth=4
	v_mov_b32_e32 v9, 0
	s_mov_b32 s63, exec_lo
	v_cmpx_ne_u32_e32 0, v13
	s_cbranch_execz .LBB6_1477
; %bb.1472:                             ;   in Loop: Header=BB6_358 Depth=4
	v_bfe_u32 v86, v13, 23, 8
	v_and_b32_e32 v9, 0x7fffff, v13
	v_cmp_gt_u32_e64 s16, 0x71, v86
	v_sub_nc_u32_e32 v87, 0x70, v86
	v_cmp_eq_u32_e32 vcc_lo, 0, v86
	v_or_b32_e32 v46, 0x800000, v9
	v_cndmask_b32_e64 v87, 0, v87, s16
	v_cndmask_b32_e32 v9, v46, v9, vcc_lo
	v_cndmask_b32_e64 v87, v87, 0x6f, vcc_lo
	v_lshl_add_u32 v46, 0x200000, v87, -1
	v_lshlrev_b32_e64 v58, v87, 0x100000
	v_and_b32_e32 v46, v46, v9
	v_cmp_eq_u32_e64 s16, v46, v58
	v_lshrrev_b32_e32 v46, v87, v9
	v_add_nc_u32_e32 v9, 0xffffff91, v86
	v_lshrrev_b32_e32 v86, 23, v46
	v_cndmask_b32_e64 v9, v9, 0xffffff92, vcc_lo
	v_xor_b32_e32 v86, 1, v86
	v_add_nc_u32_e32 v9, v87, v9
	v_bfe_u32 v87, v46, 21, 1
	v_add_nc_u32_e32 v87, -1, v87
	v_cndmask_b32_e64 v87, 0, v87, s16
	s_mov_b32 s16, exec_lo
	v_add_nc_u32_e32 v87, v87, v46
	v_and_b32_e32 v87, 0x1fffff, v87
	v_add_nc_u32_e32 v87, v87, v46
                                        ; implicit-def: $vgpr46
	v_cmpx_ne_u32_e64 v9, v86
	s_xor_b32 s16, exec_lo, s16
; %bb.1473:                             ;   in Loop: Header=BB6_358 Depth=4
	v_cmp_lt_u32_e32 vcc_lo, 0xffffff, v87
	v_sub_nc_u32_e32 v9, v9, v86
	v_cndmask_b32_e64 v86, 0, 1, vcc_lo
	v_add_co_ci_u32_e64 v46, null, 0, v9, vcc_lo
	v_lshrrev_b32_e32 v87, v86, v87
; %bb.1474:                             ;   in Loop: Header=BB6_358 Depth=4
	s_andn2_saveexec_b32 s16, s16
; %bb.1475:                             ;   in Loop: Header=BB6_358 Depth=4
	v_bfe_u32 v46, v87, 23, 1
; %bb.1476:                             ;   in Loop: Header=BB6_358 Depth=4
	s_or_b32 exec_lo, exec_lo, s16
	v_and_b32_sdwa v9, v13, v60 dst_sel:DWORD dst_unused:UNUSED_PAD src0_sel:BYTE_3 src1_sel:DWORD
	v_lshrrev_b32_e32 v13, 21, v87
	v_min_i32_e32 v86, 31, v46
	v_cmp_gt_i32_e32 vcc_lo, 32, v46
	v_lshlrev_b32_e32 v86, 2, v86
	v_cndmask_b32_e32 v13, 3, v13, vcc_lo
	v_and_b32_e32 v86, 0xfc, v86
	v_or_b32_e32 v87, v46, v13
	v_and_b32_e32 v13, 3, v13
	v_cmp_ne_u32_e32 vcc_lo, 0, v87
	v_or3_b32 v9, v9, v86, v13
	v_lshlrev_b32_e32 v9, 8, v9
	v_cndmask_b32_e32 v9, 0, v9, vcc_lo
.LBB6_1477:                             ;   in Loop: Header=BB6_358 Depth=4
	s_or_b32 exec_lo, exec_lo, s63
.LBB6_1478:                             ;   in Loop: Header=BB6_358 Depth=4
	s_or_b32 exec_lo, exec_lo, s62
	v_cmp_gt_i16_sdwa s16, v14, v59 src0_sel:BYTE_0 src1_sel:DWORD
	s_mov_b32 s62, 0
	s_and_saveexec_b32 s63, s16
	s_xor_b32 s16, exec_lo, s63
	s_cbranch_execz .LBB6_1860
; %bb.1479:                             ;   in Loop: Header=BB6_358 Depth=4
	v_cmp_eq_u16_sdwa s72, v14, v60 src0_sel:BYTE_0 src1_sel:DWORD
	s_mov_b32 s62, -1
	s_and_saveexec_b32 s63, s72
; %bb.1480:                             ;   in Loop: Header=BB6_358 Depth=4
	s_xor_b32 s62, exec_lo, -1
; %bb.1481:                             ;   in Loop: Header=BB6_358 Depth=4
	s_or_b32 exec_lo, exec_lo, s63
	s_and_b32 s62, s62, exec_lo
	s_or_saveexec_b32 s16, s16
	v_mov_b32_e32 v13, 0x7f800001
	s_xor_b32 exec_lo, exec_lo, s16
	s_cbranch_execnz .LBB6_1861
.LBB6_1482:                             ;   in Loop: Header=BB6_358 Depth=4
	s_or_b32 exec_lo, exec_lo, s16
	s_and_saveexec_b32 s16, s62
	s_cbranch_execz .LBB6_1484
.LBB6_1483:                             ;   in Loop: Header=BB6_358 Depth=4
	v_and_b32_e32 v13, 3, v14
	v_bfe_u32 v86, v14, 2, 5
	v_ffbh_u32_e32 v87, v13
	v_cmp_eq_u32_e32 vcc_lo, 0, v86
	v_min_u32_e32 v87, 32, v87
	v_subrev_nc_u32_e32 v46, 29, v87
	v_sub_nc_u32_e32 v87, 30, v87
	v_lshlrev_b32_e32 v46, v46, v14
	v_cndmask_b32_e32 v86, v86, v87, vcc_lo
	v_lshlrev_b32_e32 v87, 24, v14
	v_and_b32_e32 v46, 3, v46
	v_lshl_add_u32 v86, v86, 23, 0x37800000
	v_and_b32_e32 v87, 0x80000000, v87
	v_cndmask_b32_e32 v13, v13, v46, vcc_lo
	v_lshlrev_b32_e32 v13, 21, v13
	v_or3_b32 v13, v87, v86, v13
.LBB6_1484:                             ;   in Loop: Header=BB6_358 Depth=4
	s_or_b32 exec_lo, exec_lo, s16
	v_cmp_gt_i16_sdwa s16, v10, v59 src0_sel:BYTE_0 src1_sel:DWORD
	s_mov_b32 s62, 0
	s_and_saveexec_b32 s63, s16
	s_xor_b32 s16, exec_lo, s63
	s_cbranch_execz .LBB6_1862
; %bb.1485:                             ;   in Loop: Header=BB6_358 Depth=4
	v_cmp_eq_u16_sdwa s72, v10, v60 src0_sel:BYTE_0 src1_sel:DWORD
	s_mov_b32 s62, -1
	s_and_saveexec_b32 s63, s72
; %bb.1486:                             ;   in Loop: Header=BB6_358 Depth=4
	s_xor_b32 s62, exec_lo, -1
; %bb.1487:                             ;   in Loop: Header=BB6_358 Depth=4
	s_or_b32 exec_lo, exec_lo, s63
	s_and_b32 s62, s62, exec_lo
	s_or_saveexec_b32 s16, s16
	v_mov_b32_e32 v86, 0x7f800001
	s_xor_b32 exec_lo, exec_lo, s16
	s_cbranch_execnz .LBB6_1863
.LBB6_1488:                             ;   in Loop: Header=BB6_358 Depth=4
	s_or_b32 exec_lo, exec_lo, s16
	s_and_saveexec_b32 s16, s62
	s_cbranch_execz .LBB6_1490
.LBB6_1489:                             ;   in Loop: Header=BB6_358 Depth=4
	v_and_b32_e32 v86, 3, v10
	v_bfe_u32 v87, v10, 2, 5
	v_ffbh_u32_e32 v46, v86
	v_cmp_eq_u32_e32 vcc_lo, 0, v87
	v_min_u32_e32 v46, 32, v46
	v_subrev_nc_u32_e32 v58, 29, v46
	v_sub_nc_u32_e32 v46, 30, v46
	v_lshlrev_b32_e32 v58, v58, v10
	v_cndmask_b32_e32 v87, v87, v46, vcc_lo
	v_lshlrev_b32_e32 v46, 24, v10
	v_and_b32_e32 v58, 3, v58
	v_lshl_add_u32 v87, v87, 23, 0x37800000
	v_and_b32_e32 v46, 0x80000000, v46
	v_cndmask_b32_e32 v86, v86, v58, vcc_lo
	v_lshlrev_b32_e32 v86, 21, v86
	v_or3_b32 v86, v46, v87, v86
.LBB6_1490:                             ;   in Loop: Header=BB6_358 Depth=4
	s_or_b32 exec_lo, exec_lo, s16
	v_mul_f32_e32 v46, v13, v86
	v_and_b32_e32 v13, 0x7f800000, v46
	v_cmp_ne_u32_e32 vcc_lo, 0x7f800000, v13
	v_mov_b32_e32 v13, 0x80
	s_and_saveexec_b32 s62, vcc_lo
	s_cbranch_execz .LBB6_1498
; %bb.1491:                             ;   in Loop: Header=BB6_358 Depth=4
	v_mov_b32_e32 v13, 0
	s_mov_b32 s63, exec_lo
	v_cmpx_ne_u32_e32 0, v46
	s_cbranch_execz .LBB6_1497
; %bb.1492:                             ;   in Loop: Header=BB6_358 Depth=4
	v_bfe_u32 v86, v46, 23, 8
	v_and_b32_e32 v13, 0x7fffff, v46
	v_cmp_gt_u32_e64 s16, 0x71, v86
	v_sub_nc_u32_e32 v87, 0x70, v86
	v_cmp_eq_u32_e32 vcc_lo, 0, v86
	v_or_b32_e32 v58, 0x800000, v13
	v_cndmask_b32_e64 v87, 0, v87, s16
	v_cndmask_b32_e32 v13, v58, v13, vcc_lo
	v_cndmask_b32_e64 v87, v87, 0x6f, vcc_lo
	v_lshl_add_u32 v58, 0x200000, v87, -1
	v_lshlrev_b32_e64 v79, v87, 0x100000
	v_and_b32_e32 v58, v58, v13
	v_cmp_eq_u32_e64 s16, v58, v79
	v_lshrrev_b32_e32 v58, v87, v13
	v_add_nc_u32_e32 v13, 0xffffff91, v86
	v_lshrrev_b32_e32 v86, 23, v58
	v_cndmask_b32_e64 v13, v13, 0xffffff92, vcc_lo
	v_xor_b32_e32 v86, 1, v86
	v_add_nc_u32_e32 v13, v87, v13
	v_bfe_u32 v87, v58, 21, 1
	v_add_nc_u32_e32 v87, -1, v87
	v_cndmask_b32_e64 v87, 0, v87, s16
	s_mov_b32 s16, exec_lo
	v_add_nc_u32_e32 v87, v87, v58
	v_and_b32_e32 v87, 0x1fffff, v87
	v_add_nc_u32_e32 v87, v87, v58
                                        ; implicit-def: $vgpr58
	v_cmpx_ne_u32_e64 v13, v86
	s_xor_b32 s16, exec_lo, s16
; %bb.1493:                             ;   in Loop: Header=BB6_358 Depth=4
	v_cmp_lt_u32_e32 vcc_lo, 0xffffff, v87
	v_sub_nc_u32_e32 v13, v13, v86
	v_cndmask_b32_e64 v86, 0, 1, vcc_lo
	v_add_co_ci_u32_e64 v58, null, 0, v13, vcc_lo
	v_lshrrev_b32_e32 v87, v86, v87
; %bb.1494:                             ;   in Loop: Header=BB6_358 Depth=4
	s_andn2_saveexec_b32 s16, s16
; %bb.1495:                             ;   in Loop: Header=BB6_358 Depth=4
	v_bfe_u32 v58, v87, 23, 1
; %bb.1496:                             ;   in Loop: Header=BB6_358 Depth=4
	s_or_b32 exec_lo, exec_lo, s16
	v_lshrrev_b32_e32 v86, 21, v87
	v_min_i32_e32 v87, 31, v58
	v_cmp_gt_i32_e32 vcc_lo, 32, v58
	v_and_b32_sdwa v13, v46, v60 dst_sel:DWORD dst_unused:UNUSED_PAD src0_sel:BYTE_3 src1_sel:DWORD
	v_lshlrev_b32_e32 v87, 2, v87
	v_cndmask_b32_e32 v86, 3, v86, vcc_lo
	v_and_b32_e32 v87, 0xfc, v87
	v_or_b32_e32 v46, v58, v86
	v_and_b32_e32 v86, 3, v86
	v_cmp_ne_u32_e32 vcc_lo, 0, v46
	v_or3_b32 v13, v87, v13, v86
	v_cndmask_b32_e32 v13, 0, v13, vcc_lo
.LBB6_1497:                             ;   in Loop: Header=BB6_358 Depth=4
	s_or_b32 exec_lo, exec_lo, s63
.LBB6_1498:                             ;   in Loop: Header=BB6_358 Depth=4
	s_or_b32 exec_lo, exec_lo, s62
	v_cmp_gt_i16_sdwa s62, v14, v59 src0_sel:BYTE_1 src1_sel:DWORD
	s_mov_b32 s16, 0
	s_and_saveexec_b32 s63, s62
	s_xor_b32 s62, exec_lo, s63
	s_cbranch_execz .LBB6_1864
; %bb.1499:                             ;   in Loop: Header=BB6_358 Depth=4
	v_cmp_eq_u16_sdwa s72, v14, v60 src0_sel:BYTE_1 src1_sel:DWORD
	s_mov_b32 s16, -1
	s_and_saveexec_b32 s63, s72
; %bb.1500:                             ;   in Loop: Header=BB6_358 Depth=4
	s_xor_b32 s16, exec_lo, -1
; %bb.1501:                             ;   in Loop: Header=BB6_358 Depth=4
	s_or_b32 exec_lo, exec_lo, s63
	s_and_b32 s16, s16, exec_lo
	s_or_saveexec_b32 s62, s62
	v_mov_b32_e32 v86, 0x7f800001
	s_xor_b32 exec_lo, exec_lo, s62
	s_cbranch_execnz .LBB6_1865
.LBB6_1502:                             ;   in Loop: Header=BB6_358 Depth=4
	s_or_b32 exec_lo, exec_lo, s62
	s_and_saveexec_b32 s62, s16
	s_cbranch_execz .LBB6_1504
.LBB6_1503:                             ;   in Loop: Header=BB6_358 Depth=4
	v_and_b32_sdwa v86, v61, v14 dst_sel:DWORD dst_unused:UNUSED_PAD src0_sel:DWORD src1_sel:BYTE_1
	v_and_b32_e32 v87, 3, v86
	v_bfe_u32 v79, v86, 2, 5
	v_ffbh_u32_e32 v46, v87
	v_cmp_eq_u32_e32 vcc_lo, 0, v79
	v_min_u32_e32 v46, 32, v46
	v_subrev_nc_u32_e32 v58, 29, v46
	v_sub_nc_u32_e32 v46, 30, v46
	v_lshlrev_b32_e32 v86, v58, v86
	v_lshlrev_b32_sdwa v58, v62, v14 dst_sel:DWORD dst_unused:UNUSED_PAD src0_sel:DWORD src1_sel:BYTE_1
	v_cndmask_b32_e32 v46, v79, v46, vcc_lo
	v_and_b32_e32 v86, 3, v86
	v_lshl_add_u32 v46, v46, 23, 0x37800000
	v_cndmask_b32_e32 v86, v87, v86, vcc_lo
	v_and_b32_e32 v87, 0x80000000, v58
	v_lshlrev_b32_e32 v86, 21, v86
	v_or3_b32 v86, v87, v46, v86
.LBB6_1504:                             ;   in Loop: Header=BB6_358 Depth=4
	s_or_b32 exec_lo, exec_lo, s62
	v_cmp_gt_i16_sdwa s62, v10, v59 src0_sel:BYTE_1 src1_sel:DWORD
	s_mov_b32 s16, 0
	s_and_saveexec_b32 s63, s62
	s_xor_b32 s62, exec_lo, s63
	s_cbranch_execz .LBB6_1866
; %bb.1505:                             ;   in Loop: Header=BB6_358 Depth=4
	v_cmp_eq_u16_sdwa s72, v10, v60 src0_sel:BYTE_1 src1_sel:DWORD
	s_mov_b32 s16, -1
	s_and_saveexec_b32 s63, s72
; %bb.1506:                             ;   in Loop: Header=BB6_358 Depth=4
	s_xor_b32 s16, exec_lo, -1
; %bb.1507:                             ;   in Loop: Header=BB6_358 Depth=4
	s_or_b32 exec_lo, exec_lo, s63
	s_and_b32 s16, s16, exec_lo
	s_or_saveexec_b32 s62, s62
	v_mov_b32_e32 v87, 0x7f800001
	s_xor_b32 exec_lo, exec_lo, s62
	s_cbranch_execnz .LBB6_1867
.LBB6_1508:                             ;   in Loop: Header=BB6_358 Depth=4
	s_or_b32 exec_lo, exec_lo, s62
	s_and_saveexec_b32 s62, s16
	s_cbranch_execz .LBB6_1510
.LBB6_1509:                             ;   in Loop: Header=BB6_358 Depth=4
	v_and_b32_sdwa v87, v61, v10 dst_sel:DWORD dst_unused:UNUSED_PAD src0_sel:DWORD src1_sel:BYTE_1
	v_and_b32_e32 v46, 3, v87
	v_bfe_u32 v90, v87, 2, 5
	v_ffbh_u32_e32 v58, v46
	v_cmp_eq_u32_e32 vcc_lo, 0, v90
	v_min_u32_e32 v58, 32, v58
	v_subrev_nc_u32_e32 v79, 29, v58
	v_sub_nc_u32_e32 v58, 30, v58
	v_lshlrev_b32_e32 v87, v79, v87
	v_lshlrev_b32_sdwa v79, v62, v10 dst_sel:DWORD dst_unused:UNUSED_PAD src0_sel:DWORD src1_sel:BYTE_1
	v_cndmask_b32_e32 v58, v90, v58, vcc_lo
	v_and_b32_e32 v87, 3, v87
	v_lshl_add_u32 v58, v58, 23, 0x37800000
	v_cndmask_b32_e32 v87, v46, v87, vcc_lo
	v_and_b32_e32 v46, 0x80000000, v79
	v_lshlrev_b32_e32 v87, 21, v87
	v_or3_b32 v87, v46, v58, v87
.LBB6_1510:                             ;   in Loop: Header=BB6_358 Depth=4
	s_or_b32 exec_lo, exec_lo, s62
	v_mul_f32_e32 v58, v86, v87
	v_mov_b32_e32 v46, 0x8000
	s_mov_b32 s62, exec_lo
	v_and_b32_e32 v86, 0x7f800000, v58
	v_cmpx_ne_u32_e32 0x7f800000, v86
	s_cbranch_execz .LBB6_1518
; %bb.1511:                             ;   in Loop: Header=BB6_358 Depth=4
	v_mov_b32_e32 v46, 0
	s_mov_b32 s63, exec_lo
	v_cmpx_ne_u32_e32 0, v58
	s_cbranch_execz .LBB6_1517
; %bb.1512:                             ;   in Loop: Header=BB6_358 Depth=4
	v_bfe_u32 v87, v58, 23, 8
	v_and_b32_e32 v86, 0x7fffff, v58
	v_cmp_gt_u32_e64 s16, 0x71, v87
	v_sub_nc_u32_e32 v46, 0x70, v87
	v_cmp_eq_u32_e32 vcc_lo, 0, v87
	v_or_b32_e32 v79, 0x800000, v86
	v_cndmask_b32_e64 v46, 0, v46, s16
	v_cndmask_b32_e32 v86, v79, v86, vcc_lo
	v_cndmask_b32_e64 v46, v46, 0x6f, vcc_lo
	v_lshl_add_u32 v79, 0x200000, v46, -1
	v_lshlrev_b32_e64 v90, v46, 0x100000
	v_and_b32_e32 v79, v79, v86
	v_cmp_eq_u32_e64 s16, v79, v90
	v_lshrrev_b32_e32 v79, v46, v86
	v_add_nc_u32_e32 v86, 0xffffff91, v87
                                        ; implicit-def: $vgpr90
	v_lshrrev_b32_e32 v87, 23, v79
	v_cndmask_b32_e64 v86, v86, 0xffffff92, vcc_lo
	v_xor_b32_e32 v87, 1, v87
	v_add_nc_u32_e32 v86, v46, v86
	v_bfe_u32 v46, v79, 21, 1
	v_add_nc_u32_e32 v46, -1, v46
	v_cndmask_b32_e64 v46, 0, v46, s16
	s_mov_b32 s16, exec_lo
	v_add_nc_u32_e32 v46, v46, v79
	v_and_b32_e32 v46, 0x1fffff, v46
	v_add_nc_u32_e32 v46, v46, v79
	v_cmpx_ne_u32_e64 v86, v87
	s_xor_b32 s16, exec_lo, s16
; %bb.1513:                             ;   in Loop: Header=BB6_358 Depth=4
	v_cmp_lt_u32_e32 vcc_lo, 0xffffff, v46
	v_sub_nc_u32_e32 v86, v86, v87
	v_cndmask_b32_e64 v87, 0, 1, vcc_lo
	v_add_co_ci_u32_e64 v90, null, 0, v86, vcc_lo
	v_lshrrev_b32_e32 v46, v87, v46
; %bb.1514:                             ;   in Loop: Header=BB6_358 Depth=4
	s_andn2_saveexec_b32 s16, s16
; %bb.1515:                             ;   in Loop: Header=BB6_358 Depth=4
	v_bfe_u32 v90, v46, 23, 1
; %bb.1516:                             ;   in Loop: Header=BB6_358 Depth=4
	s_or_b32 exec_lo, exec_lo, s16
	v_lshrrev_b32_e32 v87, 21, v46
	v_min_i32_e32 v46, 31, v90
	v_cmp_gt_i32_e32 vcc_lo, 32, v90
	v_and_b32_sdwa v86, v58, v60 dst_sel:DWORD dst_unused:UNUSED_PAD src0_sel:BYTE_3 src1_sel:DWORD
	v_lshlrev_b32_e32 v46, 2, v46
	v_cndmask_b32_e32 v87, 3, v87, vcc_lo
	v_and_b32_e32 v46, 0xfc, v46
	v_or_b32_e32 v58, v90, v87
	v_and_b32_e32 v87, 3, v87
	v_cmp_ne_u32_e32 vcc_lo, 0, v58
	v_or3_b32 v86, v86, v46, v87
	v_lshlrev_b32_e32 v86, 8, v86
	v_cndmask_b32_e32 v46, 0, v86, vcc_lo
.LBB6_1517:                             ;   in Loop: Header=BB6_358 Depth=4
	s_or_b32 exec_lo, exec_lo, s63
.LBB6_1518:                             ;   in Loop: Header=BB6_358 Depth=4
	s_or_b32 exec_lo, exec_lo, s62
	v_and_b32_sdwa v87, v14, v63 dst_sel:DWORD dst_unused:UNUSED_PAD src0_sel:WORD_1 src1_sel:DWORD
	s_mov_b32 s62, 0
	s_mov_b32 s16, exec_lo
	v_cmpx_lt_i16_e32 0x7f, v87
	s_xor_b32 s16, exec_lo, s16
	s_cbranch_execz .LBB6_1868
; %bb.1519:                             ;   in Loop: Header=BB6_358 Depth=4
	s_mov_b32 s62, -1
	s_mov_b32 s63, exec_lo
	v_cmpx_eq_u16_e32 0x80, v87
; %bb.1520:                             ;   in Loop: Header=BB6_358 Depth=4
	s_xor_b32 s62, exec_lo, -1
; %bb.1521:                             ;   in Loop: Header=BB6_358 Depth=4
	s_or_b32 exec_lo, exec_lo, s63
	s_and_b32 s62, s62, exec_lo
                                        ; implicit-def: $vgpr87
	s_or_saveexec_b32 s16, s16
	v_mov_b32_e32 v86, 0x7f800001
	s_xor_b32 exec_lo, exec_lo, s16
	s_cbranch_execnz .LBB6_1869
.LBB6_1522:                             ;   in Loop: Header=BB6_358 Depth=4
	s_or_b32 exec_lo, exec_lo, s16
	s_and_saveexec_b32 s16, s62
	s_cbranch_execz .LBB6_1524
.LBB6_1523:                             ;   in Loop: Header=BB6_358 Depth=4
	v_bfe_u32 v86, v14, 16, 2
	v_bfe_u32 v87, v14, 18, 5
	v_ffbh_u32_e32 v58, v86
	v_cmp_eq_u32_e32 vcc_lo, 0, v87
	v_min_u32_e32 v58, 32, v58
	v_subrev_nc_u32_e32 v79, 29, v58
	v_sub_nc_u32_e32 v58, 30, v58
	v_lshlrev_b32_sdwa v79, v79, v14 dst_sel:DWORD dst_unused:UNUSED_PAD src0_sel:DWORD src1_sel:WORD_1
	v_cndmask_b32_e32 v87, v87, v58, vcc_lo
	v_lshlrev_b32_e32 v58, 8, v14
	v_and_b32_e32 v79, 3, v79
	v_lshl_add_u32 v87, v87, 23, 0x37800000
	v_and_b32_e32 v58, 0x80000000, v58
	v_cndmask_b32_e32 v86, v86, v79, vcc_lo
	v_lshlrev_b32_e32 v86, 21, v86
	v_or3_b32 v86, v58, v87, v86
.LBB6_1524:                             ;   in Loop: Header=BB6_358 Depth=4
	s_or_b32 exec_lo, exec_lo, s16
	v_and_b32_sdwa v58, v10, v63 dst_sel:DWORD dst_unused:UNUSED_PAD src0_sel:WORD_1 src1_sel:DWORD
	s_mov_b32 s62, 0
	s_mov_b32 s16, exec_lo
	v_cmpx_lt_i16_e32 0x7f, v58
	s_xor_b32 s16, exec_lo, s16
	s_cbranch_execz .LBB6_1870
; %bb.1525:                             ;   in Loop: Header=BB6_358 Depth=4
	s_mov_b32 s62, -1
	s_mov_b32 s63, exec_lo
	v_cmpx_eq_u16_e32 0x80, v58
; %bb.1526:                             ;   in Loop: Header=BB6_358 Depth=4
	s_xor_b32 s62, exec_lo, -1
; %bb.1527:                             ;   in Loop: Header=BB6_358 Depth=4
	s_or_b32 exec_lo, exec_lo, s63
	s_and_b32 s62, s62, exec_lo
                                        ; implicit-def: $vgpr58
	s_or_saveexec_b32 s16, s16
	v_mov_b32_e32 v87, 0x7f800001
	s_xor_b32 exec_lo, exec_lo, s16
	s_cbranch_execnz .LBB6_1871
.LBB6_1528:                             ;   in Loop: Header=BB6_358 Depth=4
	s_or_b32 exec_lo, exec_lo, s16
	s_and_saveexec_b32 s16, s62
	s_cbranch_execz .LBB6_1530
.LBB6_1529:                             ;   in Loop: Header=BB6_358 Depth=4
	v_bfe_u32 v87, v10, 16, 2
	v_bfe_u32 v58, v10, 18, 5
	v_ffbh_u32_e32 v79, v87
	v_cmp_eq_u32_e32 vcc_lo, 0, v58
	v_min_u32_e32 v79, 32, v79
	v_subrev_nc_u32_e32 v90, 29, v79
	v_sub_nc_u32_e32 v79, 30, v79
	v_lshlrev_b32_sdwa v90, v90, v10 dst_sel:DWORD dst_unused:UNUSED_PAD src0_sel:DWORD src1_sel:WORD_1
	v_cndmask_b32_e32 v58, v58, v79, vcc_lo
	v_lshlrev_b32_e32 v79, 8, v10
	v_and_b32_e32 v90, 3, v90
	v_lshl_add_u32 v58, v58, 23, 0x37800000
	v_and_b32_e32 v79, 0x80000000, v79
	v_cndmask_b32_e32 v87, v87, v90, vcc_lo
	v_lshlrev_b32_e32 v87, 21, v87
	v_or3_b32 v87, v79, v58, v87
.LBB6_1530:                             ;   in Loop: Header=BB6_358 Depth=4
	s_or_b32 exec_lo, exec_lo, s16
	v_mul_f32_e32 v108, v86, v87
	v_mov_b32_e32 v58, 0x80
	s_mov_b32 s62, exec_lo
	v_and_b32_e32 v86, 0x7f800000, v108
	v_cmpx_ne_u32_e32 0x7f800000, v86
	s_cbranch_execz .LBB6_1538
; %bb.1531:                             ;   in Loop: Header=BB6_358 Depth=4
	v_mov_b32_e32 v58, 0
	s_mov_b32 s63, exec_lo
	v_cmpx_ne_u32_e32 0, v108
	s_cbranch_execz .LBB6_1537
; %bb.1532:                             ;   in Loop: Header=BB6_358 Depth=4
	v_bfe_u32 v87, v108, 23, 8
	v_and_b32_e32 v86, 0x7fffff, v108
	v_cmp_gt_u32_e64 s16, 0x71, v87
	v_sub_nc_u32_e32 v58, 0x70, v87
	v_cmp_eq_u32_e32 vcc_lo, 0, v87
	v_or_b32_e32 v79, 0x800000, v86
	v_cndmask_b32_e64 v58, 0, v58, s16
	v_cndmask_b32_e32 v86, v79, v86, vcc_lo
	v_cndmask_b32_e64 v58, v58, 0x6f, vcc_lo
	v_lshl_add_u32 v79, 0x200000, v58, -1
	v_lshlrev_b32_e64 v90, v58, 0x100000
	v_and_b32_e32 v79, v79, v86
	v_cmp_eq_u32_e64 s16, v79, v90
	v_lshrrev_b32_e32 v79, v58, v86
	v_add_nc_u32_e32 v86, 0xffffff91, v87
                                        ; implicit-def: $vgpr90
	v_lshrrev_b32_e32 v87, 23, v79
	v_cndmask_b32_e64 v86, v86, 0xffffff92, vcc_lo
	v_xor_b32_e32 v87, 1, v87
	v_add_nc_u32_e32 v86, v58, v86
	v_bfe_u32 v58, v79, 21, 1
	v_add_nc_u32_e32 v58, -1, v58
	v_cndmask_b32_e64 v58, 0, v58, s16
	s_mov_b32 s16, exec_lo
	v_add_nc_u32_e32 v58, v58, v79
	v_and_b32_e32 v58, 0x1fffff, v58
	v_add_nc_u32_e32 v58, v58, v79
	v_cmpx_ne_u32_e64 v86, v87
	s_xor_b32 s16, exec_lo, s16
; %bb.1533:                             ;   in Loop: Header=BB6_358 Depth=4
	v_cmp_lt_u32_e32 vcc_lo, 0xffffff, v58
	v_sub_nc_u32_e32 v86, v86, v87
	v_cndmask_b32_e64 v87, 0, 1, vcc_lo
	v_add_co_ci_u32_e64 v90, null, 0, v86, vcc_lo
	v_lshrrev_b32_e32 v58, v87, v58
; %bb.1534:                             ;   in Loop: Header=BB6_358 Depth=4
	s_andn2_saveexec_b32 s16, s16
; %bb.1535:                             ;   in Loop: Header=BB6_358 Depth=4
	v_bfe_u32 v90, v58, 23, 1
; %bb.1536:                             ;   in Loop: Header=BB6_358 Depth=4
	s_or_b32 exec_lo, exec_lo, s16
	v_lshrrev_b32_e32 v87, 21, v58
	v_min_i32_e32 v58, 31, v90
	v_cmp_gt_i32_e32 vcc_lo, 32, v90
	v_and_b32_sdwa v86, v108, v60 dst_sel:DWORD dst_unused:UNUSED_PAD src0_sel:BYTE_3 src1_sel:DWORD
	v_lshlrev_b32_e32 v58, 2, v58
	v_cndmask_b32_e32 v87, 3, v87, vcc_lo
	v_and_b32_e32 v58, 0xfc, v58
	v_or_b32_e32 v79, v90, v87
	v_and_b32_e32 v87, 3, v87
	v_cmp_ne_u32_e32 vcc_lo, 0, v79
	v_or3_b32 v86, v58, v86, v87
	v_cndmask_b32_e32 v58, 0, v86, vcc_lo
.LBB6_1537:                             ;   in Loop: Header=BB6_358 Depth=4
	s_or_b32 exec_lo, exec_lo, s63
.LBB6_1538:                             ;   in Loop: Header=BB6_358 Depth=4
	s_or_b32 exec_lo, exec_lo, s62
	v_cmp_gt_i16_sdwa s62, v14, v59 src0_sel:BYTE_3 src1_sel:DWORD
	s_mov_b32 s16, 0
	s_and_saveexec_b32 s63, s62
	s_xor_b32 s62, exec_lo, s63
	s_cbranch_execz .LBB6_1872
; %bb.1539:                             ;   in Loop: Header=BB6_358 Depth=4
	v_cmp_eq_u16_sdwa s72, v14, v60 src0_sel:BYTE_3 src1_sel:DWORD
	s_mov_b32 s16, -1
	s_and_saveexec_b32 s63, s72
; %bb.1540:                             ;   in Loop: Header=BB6_358 Depth=4
	s_xor_b32 s16, exec_lo, -1
; %bb.1541:                             ;   in Loop: Header=BB6_358 Depth=4
	s_or_b32 exec_lo, exec_lo, s63
	s_and_b32 s16, s16, exec_lo
	s_or_saveexec_b32 s62, s62
	v_mov_b32_e32 v86, 0x7f800001
	s_xor_b32 exec_lo, exec_lo, s62
	s_cbranch_execnz .LBB6_1873
.LBB6_1542:                             ;   in Loop: Header=BB6_358 Depth=4
	s_or_b32 exec_lo, exec_lo, s62
	s_and_saveexec_b32 s62, s16
	s_cbranch_execz .LBB6_1544
.LBB6_1543:                             ;   in Loop: Header=BB6_358 Depth=4
	v_bfe_u32 v86, v14, 24, 2
	v_bfe_u32 v90, v14, 26, 5
	v_ffbh_u32_e32 v87, v86
	v_cmp_eq_u32_e32 vcc_lo, 0, v90
	v_min_u32_e32 v87, 32, v87
	v_subrev_nc_u32_e32 v79, 29, v87
	v_sub_nc_u32_e32 v87, 30, v87
	v_lshlrev_b32_sdwa v79, v79, v14 dst_sel:DWORD dst_unused:UNUSED_PAD src0_sel:DWORD src1_sel:BYTE_3
	v_cndmask_b32_e32 v87, v90, v87, vcc_lo
	v_and_b32_e32 v14, 0x80000000, v14
	v_and_b32_e32 v79, 3, v79
	v_lshl_add_u32 v87, v87, 23, 0x37800000
	v_cndmask_b32_e32 v86, v86, v79, vcc_lo
	v_lshlrev_b32_e32 v86, 21, v86
	v_or3_b32 v86, v14, v87, v86
.LBB6_1544:                             ;   in Loop: Header=BB6_358 Depth=4
	s_or_b32 exec_lo, exec_lo, s62
	v_cmp_gt_i16_sdwa s62, v10, v59 src0_sel:BYTE_3 src1_sel:DWORD
	s_mov_b32 s16, 0
	s_and_saveexec_b32 s63, s62
	s_xor_b32 s62, exec_lo, s63
	s_cbranch_execz .LBB6_1874
; %bb.1545:                             ;   in Loop: Header=BB6_358 Depth=4
	v_cmp_eq_u16_sdwa s72, v10, v60 src0_sel:BYTE_3 src1_sel:DWORD
	s_mov_b32 s16, -1
	s_and_saveexec_b32 s63, s72
; %bb.1546:                             ;   in Loop: Header=BB6_358 Depth=4
	s_xor_b32 s16, exec_lo, -1
; %bb.1547:                             ;   in Loop: Header=BB6_358 Depth=4
	s_or_b32 exec_lo, exec_lo, s63
	s_and_b32 s16, s16, exec_lo
	s_or_saveexec_b32 s62, s62
	v_mov_b32_e32 v14, 0x7f800001
	s_xor_b32 exec_lo, exec_lo, s62
	s_cbranch_execnz .LBB6_1875
.LBB6_1548:                             ;   in Loop: Header=BB6_358 Depth=4
	s_or_b32 exec_lo, exec_lo, s62
	s_and_saveexec_b32 s62, s16
	s_cbranch_execz .LBB6_1550
.LBB6_1549:                             ;   in Loop: Header=BB6_358 Depth=4
	v_bfe_u32 v14, v10, 24, 2
	v_bfe_u32 v90, v10, 26, 5
	v_ffbh_u32_e32 v87, v14
	v_cmp_eq_u32_e32 vcc_lo, 0, v90
	v_min_u32_e32 v87, 32, v87
	v_subrev_nc_u32_e32 v79, 29, v87
	v_sub_nc_u32_e32 v87, 30, v87
	v_lshlrev_b32_sdwa v79, v79, v10 dst_sel:DWORD dst_unused:UNUSED_PAD src0_sel:DWORD src1_sel:BYTE_3
	v_cndmask_b32_e32 v87, v90, v87, vcc_lo
	v_and_b32_e32 v10, 0x80000000, v10
	v_and_b32_e32 v79, 3, v79
	v_lshl_add_u32 v87, v87, 23, 0x37800000
	v_cndmask_b32_e32 v14, v14, v79, vcc_lo
	v_lshlrev_b32_e32 v14, 21, v14
	v_or3_b32 v14, v10, v87, v14
.LBB6_1550:                             ;   in Loop: Header=BB6_358 Depth=4
	s_or_b32 exec_lo, exec_lo, s62
	v_mul_f32_e32 v14, v86, v14
	v_and_b32_e32 v10, 0x7f800000, v14
	v_cmp_ne_u32_e32 vcc_lo, 0x7f800000, v10
	v_mov_b32_e32 v10, 0x8000
	s_and_saveexec_b32 s62, vcc_lo
	s_cbranch_execz .LBB6_1558
; %bb.1551:                             ;   in Loop: Header=BB6_358 Depth=4
	v_mov_b32_e32 v10, 0
	s_mov_b32 s63, exec_lo
	v_cmpx_ne_u32_e32 0, v14
	s_cbranch_execz .LBB6_1557
; %bb.1552:                             ;   in Loop: Header=BB6_358 Depth=4
	v_bfe_u32 v86, v14, 23, 8
	v_and_b32_e32 v10, 0x7fffff, v14
	v_cmp_gt_u32_e64 s16, 0x71, v86
	v_sub_nc_u32_e32 v87, 0x70, v86
	v_cmp_eq_u32_e32 vcc_lo, 0, v86
	v_or_b32_e32 v79, 0x800000, v10
	v_cndmask_b32_e64 v87, 0, v87, s16
	v_cndmask_b32_e32 v10, v79, v10, vcc_lo
	v_cndmask_b32_e64 v87, v87, 0x6f, vcc_lo
	v_lshl_add_u32 v79, 0x200000, v87, -1
	v_lshlrev_b32_e64 v90, v87, 0x100000
	v_and_b32_e32 v79, v79, v10
	v_cmp_eq_u32_e64 s16, v79, v90
	v_lshrrev_b32_e32 v79, v87, v10
	v_add_nc_u32_e32 v10, 0xffffff91, v86
                                        ; implicit-def: $vgpr90
	v_lshrrev_b32_e32 v86, 23, v79
	v_cndmask_b32_e64 v10, v10, 0xffffff92, vcc_lo
	v_xor_b32_e32 v86, 1, v86
	v_add_nc_u32_e32 v10, v87, v10
	v_bfe_u32 v87, v79, 21, 1
	v_add_nc_u32_e32 v87, -1, v87
	v_cndmask_b32_e64 v87, 0, v87, s16
	s_mov_b32 s16, exec_lo
	v_add_nc_u32_e32 v87, v87, v79
	v_and_b32_e32 v87, 0x1fffff, v87
	v_add_nc_u32_e32 v87, v87, v79
	v_cmpx_ne_u32_e64 v10, v86
	s_xor_b32 s16, exec_lo, s16
; %bb.1553:                             ;   in Loop: Header=BB6_358 Depth=4
	v_cmp_lt_u32_e32 vcc_lo, 0xffffff, v87
	v_sub_nc_u32_e32 v10, v10, v86
	v_cndmask_b32_e64 v86, 0, 1, vcc_lo
	v_add_co_ci_u32_e64 v90, null, 0, v10, vcc_lo
	v_lshrrev_b32_e32 v87, v86, v87
; %bb.1554:                             ;   in Loop: Header=BB6_358 Depth=4
	s_andn2_saveexec_b32 s16, s16
; %bb.1555:                             ;   in Loop: Header=BB6_358 Depth=4
	v_bfe_u32 v90, v87, 23, 1
; %bb.1556:                             ;   in Loop: Header=BB6_358 Depth=4
	s_or_b32 exec_lo, exec_lo, s16
	v_and_b32_sdwa v10, v14, v60 dst_sel:DWORD dst_unused:UNUSED_PAD src0_sel:BYTE_3 src1_sel:DWORD
	v_lshrrev_b32_e32 v14, 21, v87
	v_min_i32_e32 v86, 31, v90
	v_cmp_gt_i32_e32 vcc_lo, 32, v90
	v_lshlrev_b32_e32 v86, 2, v86
	v_cndmask_b32_e32 v14, 3, v14, vcc_lo
	v_and_b32_e32 v86, 0xfc, v86
	v_or_b32_e32 v87, v90, v14
	v_and_b32_e32 v14, 3, v14
	v_cmp_ne_u32_e32 vcc_lo, 0, v87
	v_or3_b32 v10, v10, v86, v14
	v_lshlrev_b32_e32 v10, 8, v10
	v_cndmask_b32_e32 v10, 0, v10, vcc_lo
.LBB6_1557:                             ;   in Loop: Header=BB6_358 Depth=4
	s_or_b32 exec_lo, exec_lo, s63
.LBB6_1558:                             ;   in Loop: Header=BB6_358 Depth=4
	s_or_b32 exec_lo, exec_lo, s62
	v_cmp_gt_i16_sdwa s16, v15, v59 src0_sel:BYTE_0 src1_sel:DWORD
	s_mov_b32 s62, 0
	s_and_saveexec_b32 s63, s16
	s_xor_b32 s16, exec_lo, s63
	s_cbranch_execz .LBB6_1876
; %bb.1559:                             ;   in Loop: Header=BB6_358 Depth=4
	v_cmp_eq_u16_sdwa s72, v15, v60 src0_sel:BYTE_0 src1_sel:DWORD
	s_mov_b32 s62, -1
	s_and_saveexec_b32 s63, s72
; %bb.1560:                             ;   in Loop: Header=BB6_358 Depth=4
	s_xor_b32 s62, exec_lo, -1
; %bb.1561:                             ;   in Loop: Header=BB6_358 Depth=4
	s_or_b32 exec_lo, exec_lo, s63
	s_and_b32 s62, s62, exec_lo
	s_or_saveexec_b32 s16, s16
	v_mov_b32_e32 v14, 0x7f800001
	s_xor_b32 exec_lo, exec_lo, s16
	s_cbranch_execnz .LBB6_1877
.LBB6_1562:                             ;   in Loop: Header=BB6_358 Depth=4
	s_or_b32 exec_lo, exec_lo, s16
	s_and_saveexec_b32 s16, s62
	s_cbranch_execz .LBB6_1564
.LBB6_1563:                             ;   in Loop: Header=BB6_358 Depth=4
	v_and_b32_e32 v14, 3, v15
	v_bfe_u32 v86, v15, 2, 5
	v_ffbh_u32_e32 v87, v14
	v_cmp_eq_u32_e32 vcc_lo, 0, v86
	v_min_u32_e32 v87, 32, v87
	v_subrev_nc_u32_e32 v79, 29, v87
	v_sub_nc_u32_e32 v87, 30, v87
	v_lshlrev_b32_e32 v79, v79, v15
	v_cndmask_b32_e32 v86, v86, v87, vcc_lo
	v_lshlrev_b32_e32 v87, 24, v15
	v_and_b32_e32 v79, 3, v79
	v_lshl_add_u32 v86, v86, 23, 0x37800000
	v_and_b32_e32 v87, 0x80000000, v87
	v_cndmask_b32_e32 v14, v14, v79, vcc_lo
	v_lshlrev_b32_e32 v14, 21, v14
	v_or3_b32 v14, v87, v86, v14
.LBB6_1564:                             ;   in Loop: Header=BB6_358 Depth=4
	s_or_b32 exec_lo, exec_lo, s16
	v_cmp_gt_i16_sdwa s16, v11, v59 src0_sel:BYTE_0 src1_sel:DWORD
	s_mov_b32 s62, 0
	s_and_saveexec_b32 s63, s16
	s_xor_b32 s16, exec_lo, s63
	s_cbranch_execz .LBB6_1878
; %bb.1565:                             ;   in Loop: Header=BB6_358 Depth=4
	v_cmp_eq_u16_sdwa s72, v11, v60 src0_sel:BYTE_0 src1_sel:DWORD
	s_mov_b32 s62, -1
	s_and_saveexec_b32 s63, s72
; %bb.1566:                             ;   in Loop: Header=BB6_358 Depth=4
	s_xor_b32 s62, exec_lo, -1
; %bb.1567:                             ;   in Loop: Header=BB6_358 Depth=4
	s_or_b32 exec_lo, exec_lo, s63
	s_and_b32 s62, s62, exec_lo
	s_or_saveexec_b32 s16, s16
	v_mov_b32_e32 v86, 0x7f800001
	s_xor_b32 exec_lo, exec_lo, s16
	s_cbranch_execnz .LBB6_1879
.LBB6_1568:                             ;   in Loop: Header=BB6_358 Depth=4
	s_or_b32 exec_lo, exec_lo, s16
	s_and_saveexec_b32 s16, s62
	s_cbranch_execz .LBB6_1570
.LBB6_1569:                             ;   in Loop: Header=BB6_358 Depth=4
	v_and_b32_e32 v86, 3, v11
	v_bfe_u32 v87, v11, 2, 5
	v_ffbh_u32_e32 v79, v86
	v_cmp_eq_u32_e32 vcc_lo, 0, v87
	v_min_u32_e32 v79, 32, v79
	v_subrev_nc_u32_e32 v90, 29, v79
	v_sub_nc_u32_e32 v79, 30, v79
	v_lshlrev_b32_e32 v90, v90, v11
	v_cndmask_b32_e32 v87, v87, v79, vcc_lo
	v_lshlrev_b32_e32 v79, 24, v11
	v_and_b32_e32 v90, 3, v90
	v_lshl_add_u32 v87, v87, 23, 0x37800000
	v_and_b32_e32 v79, 0x80000000, v79
	v_cndmask_b32_e32 v86, v86, v90, vcc_lo
	v_lshlrev_b32_e32 v86, 21, v86
	v_or3_b32 v86, v79, v87, v86
.LBB6_1570:                             ;   in Loop: Header=BB6_358 Depth=4
	s_or_b32 exec_lo, exec_lo, s16
	v_mul_f32_e32 v108, v14, v86
	v_and_b32_e32 v14, 0x7f800000, v108
	v_cmp_ne_u32_e32 vcc_lo, 0x7f800000, v14
	v_mov_b32_e32 v14, 0x80
	s_and_saveexec_b32 s62, vcc_lo
	s_cbranch_execz .LBB6_1578
; %bb.1571:                             ;   in Loop: Header=BB6_358 Depth=4
	v_mov_b32_e32 v14, 0
	s_mov_b32 s63, exec_lo
	v_cmpx_ne_u32_e32 0, v108
	s_cbranch_execz .LBB6_1577
; %bb.1572:                             ;   in Loop: Header=BB6_358 Depth=4
	v_bfe_u32 v86, v108, 23, 8
	v_and_b32_e32 v14, 0x7fffff, v108
	v_cmp_gt_u32_e64 s16, 0x71, v86
	v_sub_nc_u32_e32 v87, 0x70, v86
	v_cmp_eq_u32_e32 vcc_lo, 0, v86
	v_or_b32_e32 v79, 0x800000, v14
	v_cndmask_b32_e64 v87, 0, v87, s16
	v_cndmask_b32_e32 v14, v79, v14, vcc_lo
	v_cndmask_b32_e64 v87, v87, 0x6f, vcc_lo
	v_lshl_add_u32 v79, 0x200000, v87, -1
	v_lshlrev_b32_e64 v90, v87, 0x100000
	v_and_b32_e32 v79, v79, v14
	v_cmp_eq_u32_e64 s16, v79, v90
	v_lshrrev_b32_e32 v79, v87, v14
	v_add_nc_u32_e32 v14, 0xffffff91, v86
                                        ; implicit-def: $vgpr90
	v_lshrrev_b32_e32 v86, 23, v79
	v_cndmask_b32_e64 v14, v14, 0xffffff92, vcc_lo
	v_xor_b32_e32 v86, 1, v86
	v_add_nc_u32_e32 v14, v87, v14
	v_bfe_u32 v87, v79, 21, 1
	v_add_nc_u32_e32 v87, -1, v87
	v_cndmask_b32_e64 v87, 0, v87, s16
	s_mov_b32 s16, exec_lo
	v_add_nc_u32_e32 v87, v87, v79
	v_and_b32_e32 v87, 0x1fffff, v87
	v_add_nc_u32_e32 v87, v87, v79
	v_cmpx_ne_u32_e64 v14, v86
	s_xor_b32 s16, exec_lo, s16
; %bb.1573:                             ;   in Loop: Header=BB6_358 Depth=4
	v_cmp_lt_u32_e32 vcc_lo, 0xffffff, v87
	v_sub_nc_u32_e32 v14, v14, v86
	v_cndmask_b32_e64 v86, 0, 1, vcc_lo
	v_add_co_ci_u32_e64 v90, null, 0, v14, vcc_lo
	v_lshrrev_b32_e32 v87, v86, v87
; %bb.1574:                             ;   in Loop: Header=BB6_358 Depth=4
	s_andn2_saveexec_b32 s16, s16
; %bb.1575:                             ;   in Loop: Header=BB6_358 Depth=4
	v_bfe_u32 v90, v87, 23, 1
; %bb.1576:                             ;   in Loop: Header=BB6_358 Depth=4
	s_or_b32 exec_lo, exec_lo, s16
	v_lshrrev_b32_e32 v86, 21, v87
	v_min_i32_e32 v87, 31, v90
	v_cmp_gt_i32_e32 vcc_lo, 32, v90
	v_and_b32_sdwa v14, v108, v60 dst_sel:DWORD dst_unused:UNUSED_PAD src0_sel:BYTE_3 src1_sel:DWORD
	v_lshlrev_b32_e32 v87, 2, v87
	v_cndmask_b32_e32 v86, 3, v86, vcc_lo
	v_and_b32_e32 v87, 0xfc, v87
	v_or_b32_e32 v79, v90, v86
	v_and_b32_e32 v86, 3, v86
	v_cmp_ne_u32_e32 vcc_lo, 0, v79
	v_or3_b32 v14, v87, v14, v86
	v_cndmask_b32_e32 v14, 0, v14, vcc_lo
.LBB6_1577:                             ;   in Loop: Header=BB6_358 Depth=4
	s_or_b32 exec_lo, exec_lo, s63
.LBB6_1578:                             ;   in Loop: Header=BB6_358 Depth=4
	s_or_b32 exec_lo, exec_lo, s62
	v_cmp_gt_i16_sdwa s62, v15, v59 src0_sel:BYTE_1 src1_sel:DWORD
	s_mov_b32 s16, 0
	s_and_saveexec_b32 s63, s62
	s_xor_b32 s62, exec_lo, s63
	s_cbranch_execz .LBB6_1880
; %bb.1579:                             ;   in Loop: Header=BB6_358 Depth=4
	v_cmp_eq_u16_sdwa s72, v15, v60 src0_sel:BYTE_1 src1_sel:DWORD
	s_mov_b32 s16, -1
	s_and_saveexec_b32 s63, s72
; %bb.1580:                             ;   in Loop: Header=BB6_358 Depth=4
	s_xor_b32 s16, exec_lo, -1
; %bb.1581:                             ;   in Loop: Header=BB6_358 Depth=4
	s_or_b32 exec_lo, exec_lo, s63
	s_and_b32 s16, s16, exec_lo
	s_or_saveexec_b32 s62, s62
	v_mov_b32_e32 v86, 0x7f800001
	s_xor_b32 exec_lo, exec_lo, s62
	s_cbranch_execnz .LBB6_1881
.LBB6_1582:                             ;   in Loop: Header=BB6_358 Depth=4
	s_or_b32 exec_lo, exec_lo, s62
	s_and_saveexec_b32 s62, s16
	s_cbranch_execz .LBB6_1584
.LBB6_1583:                             ;   in Loop: Header=BB6_358 Depth=4
	v_and_b32_sdwa v86, v61, v15 dst_sel:DWORD dst_unused:UNUSED_PAD src0_sel:DWORD src1_sel:BYTE_1
	v_and_b32_e32 v87, 3, v86
	v_bfe_u32 v108, v86, 2, 5
	v_ffbh_u32_e32 v79, v87
	v_cmp_eq_u32_e32 vcc_lo, 0, v108
	v_min_u32_e32 v79, 32, v79
	v_subrev_nc_u32_e32 v90, 29, v79
	v_sub_nc_u32_e32 v79, 30, v79
	v_lshlrev_b32_e32 v86, v90, v86
	v_lshlrev_b32_sdwa v90, v62, v15 dst_sel:DWORD dst_unused:UNUSED_PAD src0_sel:DWORD src1_sel:BYTE_1
	v_cndmask_b32_e32 v79, v108, v79, vcc_lo
	v_and_b32_e32 v86, 3, v86
	v_lshl_add_u32 v79, v79, 23, 0x37800000
	v_cndmask_b32_e32 v86, v87, v86, vcc_lo
	v_and_b32_e32 v87, 0x80000000, v90
	v_lshlrev_b32_e32 v86, 21, v86
	v_or3_b32 v86, v87, v79, v86
.LBB6_1584:                             ;   in Loop: Header=BB6_358 Depth=4
	s_or_b32 exec_lo, exec_lo, s62
	v_cmp_gt_i16_sdwa s62, v11, v59 src0_sel:BYTE_1 src1_sel:DWORD
	s_mov_b32 s16, 0
	s_and_saveexec_b32 s63, s62
	s_xor_b32 s62, exec_lo, s63
	s_cbranch_execz .LBB6_1882
; %bb.1585:                             ;   in Loop: Header=BB6_358 Depth=4
	v_cmp_eq_u16_sdwa s72, v11, v60 src0_sel:BYTE_1 src1_sel:DWORD
	s_mov_b32 s16, -1
	s_and_saveexec_b32 s63, s72
; %bb.1586:                             ;   in Loop: Header=BB6_358 Depth=4
	s_xor_b32 s16, exec_lo, -1
; %bb.1587:                             ;   in Loop: Header=BB6_358 Depth=4
	s_or_b32 exec_lo, exec_lo, s63
	s_and_b32 s16, s16, exec_lo
	s_or_saveexec_b32 s62, s62
	v_mov_b32_e32 v87, 0x7f800001
	s_xor_b32 exec_lo, exec_lo, s62
	s_cbranch_execnz .LBB6_1883
.LBB6_1588:                             ;   in Loop: Header=BB6_358 Depth=4
	s_or_b32 exec_lo, exec_lo, s62
	s_and_saveexec_b32 s62, s16
	s_cbranch_execz .LBB6_1590
.LBB6_1589:                             ;   in Loop: Header=BB6_358 Depth=4
	v_and_b32_sdwa v87, v61, v11 dst_sel:DWORD dst_unused:UNUSED_PAD src0_sel:DWORD src1_sel:BYTE_1
	v_and_b32_e32 v79, 3, v87
	v_bfe_u32 v109, v87, 2, 5
	v_ffbh_u32_e32 v90, v79
	v_cmp_eq_u32_e32 vcc_lo, 0, v109
	v_min_u32_e32 v90, 32, v90
	v_subrev_nc_u32_e32 v108, 29, v90
	v_sub_nc_u32_e32 v90, 30, v90
	v_lshlrev_b32_e32 v87, v108, v87
	v_lshlrev_b32_sdwa v108, v62, v11 dst_sel:DWORD dst_unused:UNUSED_PAD src0_sel:DWORD src1_sel:BYTE_1
	v_cndmask_b32_e32 v90, v109, v90, vcc_lo
	v_and_b32_e32 v87, 3, v87
	v_lshl_add_u32 v90, v90, 23, 0x37800000
	v_cndmask_b32_e32 v87, v79, v87, vcc_lo
	v_and_b32_e32 v79, 0x80000000, v108
	v_lshlrev_b32_e32 v87, 21, v87
	v_or3_b32 v87, v79, v90, v87
.LBB6_1590:                             ;   in Loop: Header=BB6_358 Depth=4
	s_or_b32 exec_lo, exec_lo, s62
	v_mul_f32_e32 v109, v86, v87
	v_mov_b32_e32 v108, 0x8000
	s_mov_b32 s62, exec_lo
	v_and_b32_e32 v86, 0x7f800000, v109
	v_cmpx_ne_u32_e32 0x7f800000, v86
	s_cbranch_execz .LBB6_1598
; %bb.1591:                             ;   in Loop: Header=BB6_358 Depth=4
	v_mov_b32_e32 v108, 0
	s_mov_b32 s63, exec_lo
	v_cmpx_ne_u32_e32 0, v109
	s_cbranch_execz .LBB6_1597
; %bb.1592:                             ;   in Loop: Header=BB6_358 Depth=4
	v_bfe_u32 v87, v109, 23, 8
	v_and_b32_e32 v86, 0x7fffff, v109
	v_cmp_gt_u32_e64 s16, 0x71, v87
	v_sub_nc_u32_e32 v79, 0x70, v87
	v_cmp_eq_u32_e32 vcc_lo, 0, v87
	v_or_b32_e32 v90, 0x800000, v86
	v_cndmask_b32_e64 v79, 0, v79, s16
	v_cndmask_b32_e32 v86, v90, v86, vcc_lo
	v_cndmask_b32_e64 v79, v79, 0x6f, vcc_lo
	v_lshl_add_u32 v90, 0x200000, v79, -1
	v_lshlrev_b32_e64 v108, v79, 0x100000
	v_and_b32_e32 v90, v90, v86
	v_cmp_eq_u32_e64 s16, v90, v108
	v_lshrrev_b32_e32 v90, v79, v86
	v_add_nc_u32_e32 v86, 0xffffff91, v87
	v_lshrrev_b32_e32 v87, 23, v90
	v_cndmask_b32_e64 v86, v86, 0xffffff92, vcc_lo
	v_xor_b32_e32 v87, 1, v87
	v_add_nc_u32_e32 v86, v79, v86
	v_bfe_u32 v79, v90, 21, 1
	v_add_nc_u32_e32 v79, -1, v79
	v_cndmask_b32_e64 v79, 0, v79, s16
	s_mov_b32 s16, exec_lo
	v_add_nc_u32_e32 v79, v79, v90
	v_and_b32_e32 v79, 0x1fffff, v79
	v_add_nc_u32_e32 v108, v79, v90
                                        ; implicit-def: $vgpr90
	v_cmpx_ne_u32_e64 v86, v87
	s_xor_b32 s16, exec_lo, s16
; %bb.1593:                             ;   in Loop: Header=BB6_358 Depth=4
	v_cmp_lt_u32_e32 vcc_lo, 0xffffff, v108
	v_sub_nc_u32_e32 v86, v86, v87
	v_cndmask_b32_e64 v87, 0, 1, vcc_lo
	v_add_co_ci_u32_e64 v90, null, 0, v86, vcc_lo
	v_lshrrev_b32_e32 v108, v87, v108
; %bb.1594:                             ;   in Loop: Header=BB6_358 Depth=4
	s_andn2_saveexec_b32 s16, s16
; %bb.1595:                             ;   in Loop: Header=BB6_358 Depth=4
	v_bfe_u32 v90, v108, 23, 1
; %bb.1596:                             ;   in Loop: Header=BB6_358 Depth=4
	s_or_b32 exec_lo, exec_lo, s16
	v_lshrrev_b32_e32 v87, 21, v108
	v_min_i32_e32 v79, 31, v90
	v_cmp_gt_i32_e32 vcc_lo, 32, v90
	v_and_b32_sdwa v86, v109, v60 dst_sel:DWORD dst_unused:UNUSED_PAD src0_sel:BYTE_3 src1_sel:DWORD
	v_lshlrev_b32_e32 v79, 2, v79
	v_cndmask_b32_e32 v87, 3, v87, vcc_lo
	v_and_b32_e32 v79, 0xfc, v79
	v_or_b32_e32 v90, v90, v87
	v_and_b32_e32 v87, 3, v87
	v_cmp_ne_u32_e32 vcc_lo, 0, v90
	v_or3_b32 v86, v86, v79, v87
	v_lshlrev_b32_e32 v86, 8, v86
	v_cndmask_b32_e32 v108, 0, v86, vcc_lo
.LBB6_1597:                             ;   in Loop: Header=BB6_358 Depth=4
	s_or_b32 exec_lo, exec_lo, s63
.LBB6_1598:                             ;   in Loop: Header=BB6_358 Depth=4
	s_or_b32 exec_lo, exec_lo, s62
	v_and_b32_sdwa v87, v15, v63 dst_sel:DWORD dst_unused:UNUSED_PAD src0_sel:WORD_1 src1_sel:DWORD
	s_mov_b32 s62, 0
	s_mov_b32 s16, exec_lo
	v_cmpx_lt_i16_e32 0x7f, v87
	s_xor_b32 s16, exec_lo, s16
	s_cbranch_execz .LBB6_1884
; %bb.1599:                             ;   in Loop: Header=BB6_358 Depth=4
	s_mov_b32 s62, -1
	s_mov_b32 s63, exec_lo
	v_cmpx_eq_u16_e32 0x80, v87
; %bb.1600:                             ;   in Loop: Header=BB6_358 Depth=4
	s_xor_b32 s62, exec_lo, -1
; %bb.1601:                             ;   in Loop: Header=BB6_358 Depth=4
	s_or_b32 exec_lo, exec_lo, s63
	s_and_b32 s62, s62, exec_lo
                                        ; implicit-def: $vgpr87
	s_or_saveexec_b32 s16, s16
	v_mov_b32_e32 v86, 0x7f800001
	s_xor_b32 exec_lo, exec_lo, s16
	s_cbranch_execnz .LBB6_1885
.LBB6_1602:                             ;   in Loop: Header=BB6_358 Depth=4
	s_or_b32 exec_lo, exec_lo, s16
	s_and_saveexec_b32 s16, s62
	s_cbranch_execz .LBB6_1604
.LBB6_1603:                             ;   in Loop: Header=BB6_358 Depth=4
	v_bfe_u32 v86, v15, 16, 2
	v_bfe_u32 v87, v15, 18, 5
	v_ffbh_u32_e32 v79, v86
	v_cmp_eq_u32_e32 vcc_lo, 0, v87
	v_min_u32_e32 v79, 32, v79
	v_subrev_nc_u32_e32 v90, 29, v79
	v_sub_nc_u32_e32 v79, 30, v79
	v_lshlrev_b32_sdwa v90, v90, v15 dst_sel:DWORD dst_unused:UNUSED_PAD src0_sel:DWORD src1_sel:WORD_1
	v_cndmask_b32_e32 v87, v87, v79, vcc_lo
	v_lshlrev_b32_e32 v79, 8, v15
	v_and_b32_e32 v90, 3, v90
	v_lshl_add_u32 v87, v87, 23, 0x37800000
	v_and_b32_e32 v79, 0x80000000, v79
	v_cndmask_b32_e32 v86, v86, v90, vcc_lo
	v_lshlrev_b32_e32 v86, 21, v86
	v_or3_b32 v86, v79, v87, v86
.LBB6_1604:                             ;   in Loop: Header=BB6_358 Depth=4
	s_or_b32 exec_lo, exec_lo, s16
	v_and_b32_sdwa v79, v11, v63 dst_sel:DWORD dst_unused:UNUSED_PAD src0_sel:WORD_1 src1_sel:DWORD
	s_mov_b32 s62, 0
	s_mov_b32 s16, exec_lo
	v_cmpx_lt_i16_e32 0x7f, v79
	s_xor_b32 s16, exec_lo, s16
	s_cbranch_execz .LBB6_1886
; %bb.1605:                             ;   in Loop: Header=BB6_358 Depth=4
	s_mov_b32 s62, -1
	s_mov_b32 s63, exec_lo
	v_cmpx_eq_u16_e32 0x80, v79
; %bb.1606:                             ;   in Loop: Header=BB6_358 Depth=4
	s_xor_b32 s62, exec_lo, -1
; %bb.1607:                             ;   in Loop: Header=BB6_358 Depth=4
	s_or_b32 exec_lo, exec_lo, s63
	s_and_b32 s62, s62, exec_lo
                                        ; implicit-def: $vgpr79
	s_or_saveexec_b32 s16, s16
	v_mov_b32_e32 v87, 0x7f800001
	s_xor_b32 exec_lo, exec_lo, s16
	s_cbranch_execnz .LBB6_1887
.LBB6_1608:                             ;   in Loop: Header=BB6_358 Depth=4
	s_or_b32 exec_lo, exec_lo, s16
	s_and_saveexec_b32 s16, s62
	s_cbranch_execz .LBB6_1610
.LBB6_1609:                             ;   in Loop: Header=BB6_358 Depth=4
	v_bfe_u32 v87, v11, 16, 2
	v_bfe_u32 v79, v11, 18, 5
	v_ffbh_u32_e32 v90, v87
	v_cmp_eq_u32_e32 vcc_lo, 0, v79
	v_min_u32_e32 v90, 32, v90
	v_subrev_nc_u32_e32 v109, 29, v90
	v_sub_nc_u32_e32 v90, 30, v90
	v_lshlrev_b32_sdwa v109, v109, v11 dst_sel:DWORD dst_unused:UNUSED_PAD src0_sel:DWORD src1_sel:WORD_1
	v_cndmask_b32_e32 v79, v79, v90, vcc_lo
	v_lshlrev_b32_e32 v90, 8, v11
	v_and_b32_e32 v109, 3, v109
	v_lshl_add_u32 v79, v79, 23, 0x37800000
	v_and_b32_e32 v90, 0x80000000, v90
	v_cndmask_b32_e32 v87, v87, v109, vcc_lo
	v_lshlrev_b32_e32 v87, 21, v87
	v_or3_b32 v87, v90, v79, v87
.LBB6_1610:                             ;   in Loop: Header=BB6_358 Depth=4
	s_or_b32 exec_lo, exec_lo, s16
	v_mul_f32_e32 v86, v86, v87
	v_mov_b32_e32 v109, 0x80
	s_mov_b32 s62, exec_lo
	v_and_b32_e32 v87, 0x7f800000, v86
	v_cmpx_ne_u32_e32 0x7f800000, v87
	s_cbranch_execz .LBB6_1618
; %bb.1611:                             ;   in Loop: Header=BB6_358 Depth=4
	v_mov_b32_e32 v109, 0
	s_mov_b32 s63, exec_lo
	v_cmpx_ne_u32_e32 0, v86
	s_cbranch_execz .LBB6_1617
; %bb.1612:                             ;   in Loop: Header=BB6_358 Depth=4
	v_bfe_u32 v79, v86, 23, 8
	v_and_b32_e32 v87, 0x7fffff, v86
	v_cmp_gt_u32_e64 s16, 0x71, v79
	v_sub_nc_u32_e32 v90, 0x70, v79
	v_cmp_eq_u32_e32 vcc_lo, 0, v79
	v_or_b32_e32 v109, 0x800000, v87
	v_cndmask_b32_e64 v90, 0, v90, s16
	v_cndmask_b32_e32 v87, v109, v87, vcc_lo
	v_cndmask_b32_e64 v90, v90, 0x6f, vcc_lo
	v_lshl_add_u32 v109, 0x200000, v90, -1
	v_lshlrev_b32_e64 v95, v90, 0x100000
	v_and_b32_e32 v109, v109, v87
	v_cmp_eq_u32_e64 s16, v109, v95
	v_lshrrev_b32_e32 v95, v90, v87
	v_add_nc_u32_e32 v87, 0xffffff91, v79
	v_lshrrev_b32_e32 v79, 23, v95
	v_cndmask_b32_e64 v87, v87, 0xffffff92, vcc_lo
	v_xor_b32_e32 v109, 1, v79
	v_bfe_u32 v79, v95, 21, 1
	v_add_nc_u32_e32 v87, v90, v87
	v_add_nc_u32_e32 v79, -1, v79
	v_cndmask_b32_e64 v79, 0, v79, s16
	s_mov_b32 s16, exec_lo
	v_add_nc_u32_e32 v79, v79, v95
	v_and_b32_e32 v79, 0x1fffff, v79
	v_add_nc_u32_e32 v90, v79, v95
                                        ; implicit-def: $vgpr79
	v_cmpx_ne_u32_e64 v87, v109
	s_xor_b32 s16, exec_lo, s16
; %bb.1613:                             ;   in Loop: Header=BB6_358 Depth=4
	v_cmp_lt_u32_e32 vcc_lo, 0xffffff, v90
	v_sub_nc_u32_e32 v87, v87, v109
	v_cndmask_b32_e64 v95, 0, 1, vcc_lo
	v_add_co_ci_u32_e64 v79, null, 0, v87, vcc_lo
	v_lshrrev_b32_e32 v90, v95, v90
; %bb.1614:                             ;   in Loop: Header=BB6_358 Depth=4
	s_andn2_saveexec_b32 s16, s16
; %bb.1615:                             ;   in Loop: Header=BB6_358 Depth=4
	v_bfe_u32 v79, v90, 23, 1
; %bb.1616:                             ;   in Loop: Header=BB6_358 Depth=4
	s_or_b32 exec_lo, exec_lo, s16
	v_lshrrev_b32_e32 v87, 21, v90
	v_min_i32_e32 v90, 31, v79
	v_cmp_gt_i32_e32 vcc_lo, 32, v79
	v_and_b32_sdwa v86, v86, v60 dst_sel:DWORD dst_unused:UNUSED_PAD src0_sel:BYTE_3 src1_sel:DWORD
	v_lshlrev_b32_e32 v90, 2, v90
	v_cndmask_b32_e32 v87, 3, v87, vcc_lo
	v_and_b32_e32 v90, 0xfc, v90
	v_or_b32_e32 v79, v79, v87
	v_and_b32_e32 v87, 3, v87
	v_cmp_ne_u32_e32 vcc_lo, 0, v79
	v_or3_b32 v86, v90, v86, v87
	v_cndmask_b32_e32 v109, 0, v86, vcc_lo
.LBB6_1617:                             ;   in Loop: Header=BB6_358 Depth=4
	s_or_b32 exec_lo, exec_lo, s63
.LBB6_1618:                             ;   in Loop: Header=BB6_358 Depth=4
	s_or_b32 exec_lo, exec_lo, s62
	v_cmp_gt_i16_sdwa s62, v15, v59 src0_sel:BYTE_3 src1_sel:DWORD
	s_mov_b32 s16, 0
	s_and_saveexec_b32 s63, s62
	s_xor_b32 s62, exec_lo, s63
	s_cbranch_execz .LBB6_1888
; %bb.1619:                             ;   in Loop: Header=BB6_358 Depth=4
	v_cmp_eq_u16_sdwa s72, v15, v60 src0_sel:BYTE_3 src1_sel:DWORD
	s_mov_b32 s16, -1
	s_and_saveexec_b32 s63, s72
; %bb.1620:                             ;   in Loop: Header=BB6_358 Depth=4
	s_xor_b32 s16, exec_lo, -1
; %bb.1621:                             ;   in Loop: Header=BB6_358 Depth=4
	s_or_b32 exec_lo, exec_lo, s63
	s_and_b32 s16, s16, exec_lo
	s_or_saveexec_b32 s62, s62
	v_mov_b32_e32 v86, 0x7f800001
	s_xor_b32 exec_lo, exec_lo, s62
	s_cbranch_execnz .LBB6_1889
.LBB6_1622:                             ;   in Loop: Header=BB6_358 Depth=4
	s_or_b32 exec_lo, exec_lo, s62
	s_and_saveexec_b32 s62, s16
	s_cbranch_execz .LBB6_1624
.LBB6_1623:                             ;   in Loop: Header=BB6_358 Depth=4
	v_bfe_u32 v86, v15, 24, 2
	v_bfe_u32 v90, v15, 26, 5
	v_ffbh_u32_e32 v87, v86
	v_cmp_eq_u32_e32 vcc_lo, 0, v90
	v_min_u32_e32 v87, 32, v87
	v_subrev_nc_u32_e32 v79, 29, v87
	v_sub_nc_u32_e32 v87, 30, v87
	v_lshlrev_b32_sdwa v79, v79, v15 dst_sel:DWORD dst_unused:UNUSED_PAD src0_sel:DWORD src1_sel:BYTE_3
	v_cndmask_b32_e32 v87, v90, v87, vcc_lo
	v_and_b32_e32 v15, 0x80000000, v15
	v_and_b32_e32 v79, 3, v79
	v_lshl_add_u32 v87, v87, 23, 0x37800000
	v_cndmask_b32_e32 v86, v86, v79, vcc_lo
	v_lshlrev_b32_e32 v86, 21, v86
	v_or3_b32 v86, v15, v87, v86
.LBB6_1624:                             ;   in Loop: Header=BB6_358 Depth=4
	s_or_b32 exec_lo, exec_lo, s62
	v_cmp_gt_i16_sdwa s62, v11, v59 src0_sel:BYTE_3 src1_sel:DWORD
	s_mov_b32 s16, 0
	s_and_saveexec_b32 s63, s62
	s_xor_b32 s62, exec_lo, s63
	s_cbranch_execz .LBB6_1890
; %bb.1625:                             ;   in Loop: Header=BB6_358 Depth=4
	v_cmp_eq_u16_sdwa s72, v11, v60 src0_sel:BYTE_3 src1_sel:DWORD
	s_mov_b32 s16, -1
	s_and_saveexec_b32 s63, s72
; %bb.1626:                             ;   in Loop: Header=BB6_358 Depth=4
	s_xor_b32 s16, exec_lo, -1
; %bb.1627:                             ;   in Loop: Header=BB6_358 Depth=4
	s_or_b32 exec_lo, exec_lo, s63
	s_and_b32 s16, s16, exec_lo
	s_or_saveexec_b32 s62, s62
	v_mov_b32_e32 v15, 0x7f800001
	s_xor_b32 exec_lo, exec_lo, s62
	s_cbranch_execnz .LBB6_1891
.LBB6_1628:                             ;   in Loop: Header=BB6_358 Depth=4
	s_or_b32 exec_lo, exec_lo, s62
	s_and_saveexec_b32 s62, s16
	s_cbranch_execz .LBB6_1630
.LBB6_1629:                             ;   in Loop: Header=BB6_358 Depth=4
	v_bfe_u32 v15, v11, 24, 2
	v_bfe_u32 v90, v11, 26, 5
	v_ffbh_u32_e32 v87, v15
	v_cmp_eq_u32_e32 vcc_lo, 0, v90
	v_min_u32_e32 v87, 32, v87
	v_subrev_nc_u32_e32 v79, 29, v87
	v_sub_nc_u32_e32 v87, 30, v87
	v_lshlrev_b32_sdwa v79, v79, v11 dst_sel:DWORD dst_unused:UNUSED_PAD src0_sel:DWORD src1_sel:BYTE_3
	v_cndmask_b32_e32 v87, v90, v87, vcc_lo
	v_and_b32_e32 v11, 0x80000000, v11
	v_and_b32_e32 v79, 3, v79
	v_lshl_add_u32 v87, v87, 23, 0x37800000
	v_cndmask_b32_e32 v15, v15, v79, vcc_lo
	v_lshlrev_b32_e32 v15, 21, v15
	v_or3_b32 v15, v11, v87, v15
.LBB6_1630:                             ;   in Loop: Header=BB6_358 Depth=4
	s_or_b32 exec_lo, exec_lo, s62
	v_mul_f32_e32 v11, v86, v15
	v_and_b32_e32 v15, 0x7f800000, v11
	v_cmp_ne_u32_e32 vcc_lo, 0x7f800000, v15
	v_mov_b32_e32 v15, 0x8000
	s_and_saveexec_b32 s62, vcc_lo
	s_cbranch_execz .LBB6_357
; %bb.1631:                             ;   in Loop: Header=BB6_358 Depth=4
	v_mov_b32_e32 v15, 0
	s_mov_b32 s63, exec_lo
	v_cmpx_ne_u32_e32 0, v11
	s_cbranch_execz .LBB6_356
; %bb.1632:                             ;   in Loop: Header=BB6_358 Depth=4
	v_bfe_u32 v86, v11, 23, 8
	v_and_b32_e32 v15, 0x7fffff, v11
	v_cmp_gt_u32_e64 s16, 0x71, v86
	v_sub_nc_u32_e32 v87, 0x70, v86
	v_cmp_eq_u32_e32 vcc_lo, 0, v86
	v_or_b32_e32 v79, 0x800000, v15
	v_cndmask_b32_e64 v87, 0, v87, s16
	v_cndmask_b32_e32 v15, v79, v15, vcc_lo
	v_cndmask_b32_e64 v87, v87, 0x6f, vcc_lo
	v_lshl_add_u32 v79, 0x200000, v87, -1
	v_lshlrev_b32_e64 v90, v87, 0x100000
	v_and_b32_e32 v79, v79, v15
	v_cmp_eq_u32_e64 s16, v79, v90
	v_lshrrev_b32_e32 v79, v87, v15
	v_add_nc_u32_e32 v15, 0xffffff91, v86
	v_lshrrev_b32_e32 v86, 23, v79
	v_cndmask_b32_e64 v15, v15, 0xffffff92, vcc_lo
	v_xor_b32_e32 v86, 1, v86
	v_add_nc_u32_e32 v15, v87, v15
	v_bfe_u32 v87, v79, 21, 1
	v_add_nc_u32_e32 v87, -1, v87
	v_cndmask_b32_e64 v87, 0, v87, s16
	s_mov_b32 s16, exec_lo
	v_add_nc_u32_e32 v87, v87, v79
	v_and_b32_e32 v87, 0x1fffff, v87
	v_add_nc_u32_e32 v87, v87, v79
                                        ; implicit-def: $vgpr79
	v_cmpx_ne_u32_e64 v15, v86
	s_xor_b32 s16, exec_lo, s16
; %bb.1633:                             ;   in Loop: Header=BB6_358 Depth=4
	v_cmp_lt_u32_e32 vcc_lo, 0xffffff, v87
	v_sub_nc_u32_e32 v15, v15, v86
	v_cndmask_b32_e64 v86, 0, 1, vcc_lo
	v_add_co_ci_u32_e64 v79, null, 0, v15, vcc_lo
	v_lshrrev_b32_e32 v87, v86, v87
; %bb.1634:                             ;   in Loop: Header=BB6_358 Depth=4
	s_andn2_saveexec_b32 s16, s16
	s_cbranch_execz .LBB6_355
; %bb.1635:                             ;   in Loop: Header=BB6_358 Depth=4
	v_bfe_u32 v79, v87, 23, 1
	s_branch .LBB6_355
.LBB6_1636:                             ;   in Loop: Header=BB6_358 Depth=4
	s_or_saveexec_b32 s62, s62
	v_mov_b32_e32 v1, 0x7f800001
	s_xor_b32 exec_lo, exec_lo, s62
	s_cbranch_execz .LBB6_362
.LBB6_1637:                             ;   in Loop: Header=BB6_358 Depth=4
	v_cmp_ne_u16_sdwa s63, v48, v2 src0_sel:BYTE_0 src1_sel:DWORD
	v_mov_b32_e32 v1, 0
	s_andn2_b32 s16, s16, exec_lo
	s_and_b32 s63, s63, exec_lo
	s_or_b32 s16, s16, s63
	s_or_b32 exec_lo, exec_lo, s62
	s_and_saveexec_b32 s62, s16
	s_cbranch_execnz .LBB6_363
	s_branch .LBB6_364
.LBB6_1638:                             ;   in Loop: Header=BB6_358 Depth=4
	s_or_saveexec_b32 s62, s62
	v_mov_b32_e32 v4, 0x7f800001
	s_xor_b32 exec_lo, exec_lo, s62
	s_cbranch_execz .LBB6_368
.LBB6_1639:                             ;   in Loop: Header=BB6_358 Depth=4
	v_cmp_ne_u16_sdwa s63, v36, v2 src0_sel:BYTE_0 src1_sel:DWORD
	v_mov_b32_e32 v4, 0
	s_andn2_b32 s16, s16, exec_lo
	s_and_b32 s63, s63, exec_lo
	s_or_b32 s16, s16, s63
	s_or_b32 exec_lo, exec_lo, s62
	s_and_saveexec_b32 s62, s16
	s_cbranch_execnz .LBB6_369
	s_branch .LBB6_370
.LBB6_1640:                             ;   in Loop: Header=BB6_358 Depth=4
	s_or_saveexec_b32 s62, s62
	v_mov_b32_e32 v1, 0x7f800001
	s_xor_b32 exec_lo, exec_lo, s62
	s_cbranch_execz .LBB6_382
.LBB6_1641:                             ;   in Loop: Header=BB6_358 Depth=4
	v_cmp_ne_u16_sdwa s63, v48, v2 src0_sel:BYTE_1 src1_sel:DWORD
	v_mov_b32_e32 v1, 0
	s_andn2_b32 s16, s16, exec_lo
	s_and_b32 s63, s63, exec_lo
	s_or_b32 s16, s16, s63
	s_or_b32 exec_lo, exec_lo, s62
	s_and_saveexec_b32 s62, s16
	s_cbranch_execnz .LBB6_383
	s_branch .LBB6_384
.LBB6_1642:                             ;   in Loop: Header=BB6_358 Depth=4
	s_or_saveexec_b32 s62, s62
	v_mov_b32_e32 v4, 0x7f800001
	s_xor_b32 exec_lo, exec_lo, s62
	s_cbranch_execz .LBB6_388
.LBB6_1643:                             ;   in Loop: Header=BB6_358 Depth=4
	v_cmp_ne_u16_sdwa s63, v36, v2 src0_sel:BYTE_1 src1_sel:DWORD
	v_mov_b32_e32 v4, 0
	s_andn2_b32 s16, s16, exec_lo
	s_and_b32 s63, s63, exec_lo
	s_or_b32 s16, s16, s63
	s_or_b32 exec_lo, exec_lo, s62
	s_and_saveexec_b32 s62, s16
	s_cbranch_execnz .LBB6_389
	s_branch .LBB6_390
.LBB6_1644:                             ;   in Loop: Header=BB6_358 Depth=4
	s_or_saveexec_b32 s62, s62
	v_mov_b32_e32 v1, 0x7f800001
	s_xor_b32 exec_lo, exec_lo, s62
	s_cbranch_execz .LBB6_402
.LBB6_1645:                             ;   in Loop: Header=BB6_358 Depth=4
	v_cmp_ne_u16_e32 vcc_lo, 0, v4
	v_mov_b32_e32 v1, 0
	s_andn2_b32 s16, s16, exec_lo
	s_and_b32 s63, vcc_lo, exec_lo
	s_or_b32 s16, s16, s63
	s_or_b32 exec_lo, exec_lo, s62
	s_and_saveexec_b32 s62, s16
	s_cbranch_execnz .LBB6_403
	s_branch .LBB6_404
.LBB6_1646:                             ;   in Loop: Header=BB6_358 Depth=4
	s_or_saveexec_b32 s16, s16
	v_mov_b32_e32 v4, 0x7f800001
	s_xor_b32 exec_lo, exec_lo, s16
	s_cbranch_execz .LBB6_408
.LBB6_1647:                             ;   in Loop: Header=BB6_358 Depth=4
	v_cmp_ne_u16_e32 vcc_lo, 0, v5
	v_mov_b32_e32 v4, 0
	s_andn2_b32 s62, s62, exec_lo
	s_and_b32 s63, vcc_lo, exec_lo
	s_or_b32 s62, s62, s63
	s_or_b32 exec_lo, exec_lo, s16
	s_and_saveexec_b32 s16, s62
	s_cbranch_execnz .LBB6_409
	s_branch .LBB6_410
.LBB6_1648:                             ;   in Loop: Header=BB6_358 Depth=4
	s_or_saveexec_b32 s62, s62
	v_mov_b32_e32 v1, 0x7f800001
	s_xor_b32 exec_lo, exec_lo, s62
	s_cbranch_execz .LBB6_422
.LBB6_1649:                             ;   in Loop: Header=BB6_358 Depth=4
	v_cmp_ne_u16_sdwa s63, v48, v2 src0_sel:BYTE_3 src1_sel:DWORD
	v_mov_b32_e32 v1, 0
	s_andn2_b32 s16, s16, exec_lo
	s_and_b32 s63, s63, exec_lo
	s_or_b32 s16, s16, s63
	s_or_b32 exec_lo, exec_lo, s62
	s_and_saveexec_b32 s62, s16
	s_cbranch_execnz .LBB6_423
	s_branch .LBB6_424
.LBB6_1650:                             ;   in Loop: Header=BB6_358 Depth=4
	s_or_saveexec_b32 s62, s62
	v_mov_b32_e32 v4, 0x7f800001
	s_xor_b32 exec_lo, exec_lo, s62
	s_cbranch_execz .LBB6_428
.LBB6_1651:                             ;   in Loop: Header=BB6_358 Depth=4
	v_cmp_ne_u16_sdwa s63, v36, v2 src0_sel:BYTE_3 src1_sel:DWORD
	v_mov_b32_e32 v4, 0
	s_andn2_b32 s16, s16, exec_lo
	s_and_b32 s63, s63, exec_lo
	s_or_b32 s16, s16, s63
	s_or_b32 exec_lo, exec_lo, s62
	s_and_saveexec_b32 s62, s16
	s_cbranch_execnz .LBB6_429
	s_branch .LBB6_430
.LBB6_1652:                             ;   in Loop: Header=BB6_358 Depth=4
	s_or_saveexec_b32 s62, s62
	v_mov_b32_e32 v1, 0x7f800001
	s_xor_b32 exec_lo, exec_lo, s62
	s_cbranch_execz .LBB6_442
.LBB6_1653:                             ;   in Loop: Header=BB6_358 Depth=4
	v_cmp_ne_u16_sdwa s63, v49, v2 src0_sel:BYTE_0 src1_sel:DWORD
	v_mov_b32_e32 v1, 0
	s_andn2_b32 s16, s16, exec_lo
	s_and_b32 s63, s63, exec_lo
	s_or_b32 s16, s16, s63
	s_or_b32 exec_lo, exec_lo, s62
	s_and_saveexec_b32 s62, s16
	s_cbranch_execnz .LBB6_443
	s_branch .LBB6_444
.LBB6_1654:                             ;   in Loop: Header=BB6_358 Depth=4
	s_or_saveexec_b32 s16, s16
	v_mov_b32_e32 v4, 0x7f800001
	s_xor_b32 exec_lo, exec_lo, s16
	s_cbranch_execz .LBB6_448
.LBB6_1655:                             ;   in Loop: Header=BB6_358 Depth=4
	v_cmp_ne_u16_sdwa s63, v37, v2 src0_sel:BYTE_0 src1_sel:DWORD
	v_mov_b32_e32 v4, 0
	s_andn2_b32 s62, s62, exec_lo
	s_and_b32 s63, s63, exec_lo
	s_or_b32 s62, s62, s63
	s_or_b32 exec_lo, exec_lo, s16
	s_and_saveexec_b32 s16, s62
	s_cbranch_execnz .LBB6_449
	s_branch .LBB6_450
.LBB6_1656:                             ;   in Loop: Header=BB6_358 Depth=4
	s_or_saveexec_b32 s16, s16
	v_mov_b32_e32 v1, 0x7f800001
	s_xor_b32 exec_lo, exec_lo, s16
	s_cbranch_execz .LBB6_462
.LBB6_1657:                             ;   in Loop: Header=BB6_358 Depth=4
	v_cmp_ne_u16_sdwa s63, v49, v2 src0_sel:BYTE_1 src1_sel:DWORD
	v_mov_b32_e32 v1, 0
	s_andn2_b32 s62, s62, exec_lo
	s_and_b32 s63, s63, exec_lo
	s_or_b32 s62, s62, s63
	s_or_b32 exec_lo, exec_lo, s16
	s_and_saveexec_b32 s16, s62
	s_cbranch_execnz .LBB6_463
	s_branch .LBB6_464
.LBB6_1658:                             ;   in Loop: Header=BB6_358 Depth=4
	s_or_saveexec_b32 s16, s16
	v_mov_b32_e32 v4, 0x7f800001
	s_xor_b32 exec_lo, exec_lo, s16
	s_cbranch_execz .LBB6_468
.LBB6_1659:                             ;   in Loop: Header=BB6_358 Depth=4
	v_cmp_ne_u16_sdwa s63, v37, v2 src0_sel:BYTE_1 src1_sel:DWORD
	v_mov_b32_e32 v4, 0
	s_andn2_b32 s62, s62, exec_lo
	s_and_b32 s63, s63, exec_lo
	s_or_b32 s62, s62, s63
	s_or_b32 exec_lo, exec_lo, s16
	s_and_saveexec_b32 s16, s62
	s_cbranch_execnz .LBB6_469
	s_branch .LBB6_470
.LBB6_1660:                             ;   in Loop: Header=BB6_358 Depth=4
	s_or_saveexec_b32 s16, s16
	v_mov_b32_e32 v1, 0x7f800001
	s_xor_b32 exec_lo, exec_lo, s16
	s_cbranch_execz .LBB6_482
.LBB6_1661:                             ;   in Loop: Header=BB6_358 Depth=4
	v_cmp_ne_u16_e32 vcc_lo, 0, v4
	v_mov_b32_e32 v1, 0
	s_andn2_b32 s62, s62, exec_lo
	s_and_b32 s63, vcc_lo, exec_lo
	s_or_b32 s62, s62, s63
	s_or_b32 exec_lo, exec_lo, s16
	s_and_saveexec_b32 s16, s62
	s_cbranch_execnz .LBB6_483
	s_branch .LBB6_484
.LBB6_1662:                             ;   in Loop: Header=BB6_358 Depth=4
	s_or_saveexec_b32 s16, s16
	v_mov_b32_e32 v4, 0x7f800001
	s_xor_b32 exec_lo, exec_lo, s16
	s_cbranch_execz .LBB6_488
.LBB6_1663:                             ;   in Loop: Header=BB6_358 Depth=4
	v_cmp_ne_u16_e32 vcc_lo, 0, v5
	v_mov_b32_e32 v4, 0
	s_andn2_b32 s62, s62, exec_lo
	s_and_b32 s63, vcc_lo, exec_lo
	s_or_b32 s62, s62, s63
	s_or_b32 exec_lo, exec_lo, s16
	s_and_saveexec_b32 s16, s62
	s_cbranch_execnz .LBB6_489
	s_branch .LBB6_490
.LBB6_1664:                             ;   in Loop: Header=BB6_358 Depth=4
	s_or_saveexec_b32 s16, s16
	v_mov_b32_e32 v1, 0x7f800001
	s_xor_b32 exec_lo, exec_lo, s16
	s_cbranch_execz .LBB6_502
.LBB6_1665:                             ;   in Loop: Header=BB6_358 Depth=4
	v_cmp_ne_u16_sdwa s63, v49, v2 src0_sel:BYTE_3 src1_sel:DWORD
	v_mov_b32_e32 v1, 0
	s_andn2_b32 s62, s62, exec_lo
	s_and_b32 s63, s63, exec_lo
	s_or_b32 s62, s62, s63
	s_or_b32 exec_lo, exec_lo, s16
	s_and_saveexec_b32 s16, s62
	s_cbranch_execnz .LBB6_503
	s_branch .LBB6_504
.LBB6_1666:                             ;   in Loop: Header=BB6_358 Depth=4
	s_or_saveexec_b32 s16, s16
	v_mov_b32_e32 v4, 0x7f800001
	s_xor_b32 exec_lo, exec_lo, s16
	s_cbranch_execz .LBB6_508
.LBB6_1667:                             ;   in Loop: Header=BB6_358 Depth=4
	v_cmp_ne_u16_sdwa s63, v37, v2 src0_sel:BYTE_3 src1_sel:DWORD
	v_mov_b32_e32 v4, 0
	s_andn2_b32 s62, s62, exec_lo
	s_and_b32 s63, s63, exec_lo
	s_or_b32 s62, s62, s63
	s_or_b32 exec_lo, exec_lo, s16
	s_and_saveexec_b32 s16, s62
	s_cbranch_execnz .LBB6_509
	s_branch .LBB6_510
.LBB6_1668:                             ;   in Loop: Header=BB6_358 Depth=4
	s_or_saveexec_b32 s16, s16
	v_mov_b32_e32 v1, 0x7f800001
	s_xor_b32 exec_lo, exec_lo, s16
	s_cbranch_execz .LBB6_522
.LBB6_1669:                             ;   in Loop: Header=BB6_358 Depth=4
	v_cmp_ne_u16_sdwa s63, v50, v2 src0_sel:BYTE_0 src1_sel:DWORD
	v_mov_b32_e32 v1, 0
	s_andn2_b32 s62, s62, exec_lo
	s_and_b32 s63, s63, exec_lo
	s_or_b32 s62, s62, s63
	s_or_b32 exec_lo, exec_lo, s16
	s_and_saveexec_b32 s16, s62
	s_cbranch_execnz .LBB6_523
	s_branch .LBB6_524
.LBB6_1670:                             ;   in Loop: Header=BB6_358 Depth=4
	s_or_saveexec_b32 s16, s16
	v_mov_b32_e32 v4, 0x7f800001
	s_xor_b32 exec_lo, exec_lo, s16
	s_cbranch_execz .LBB6_528
.LBB6_1671:                             ;   in Loop: Header=BB6_358 Depth=4
	v_cmp_ne_u16_sdwa s63, v38, v2 src0_sel:BYTE_0 src1_sel:DWORD
	v_mov_b32_e32 v4, 0
	s_andn2_b32 s62, s62, exec_lo
	s_and_b32 s63, s63, exec_lo
	s_or_b32 s62, s62, s63
	s_or_b32 exec_lo, exec_lo, s16
	s_and_saveexec_b32 s16, s62
	s_cbranch_execnz .LBB6_529
	s_branch .LBB6_530
.LBB6_1672:                             ;   in Loop: Header=BB6_358 Depth=4
	s_or_saveexec_b32 s16, s16
	v_mov_b32_e32 v1, 0x7f800001
	s_xor_b32 exec_lo, exec_lo, s16
	s_cbranch_execz .LBB6_542
.LBB6_1673:                             ;   in Loop: Header=BB6_358 Depth=4
	v_cmp_ne_u16_sdwa s63, v50, v2 src0_sel:BYTE_1 src1_sel:DWORD
	v_mov_b32_e32 v1, 0
	s_andn2_b32 s62, s62, exec_lo
	s_and_b32 s63, s63, exec_lo
	s_or_b32 s62, s62, s63
	s_or_b32 exec_lo, exec_lo, s16
	s_and_saveexec_b32 s16, s62
	s_cbranch_execnz .LBB6_543
	s_branch .LBB6_544
.LBB6_1674:                             ;   in Loop: Header=BB6_358 Depth=4
	s_or_saveexec_b32 s16, s16
	v_mov_b32_e32 v4, 0x7f800001
	s_xor_b32 exec_lo, exec_lo, s16
	s_cbranch_execz .LBB6_548
.LBB6_1675:                             ;   in Loop: Header=BB6_358 Depth=4
	v_cmp_ne_u16_sdwa s63, v38, v2 src0_sel:BYTE_1 src1_sel:DWORD
	v_mov_b32_e32 v4, 0
	s_andn2_b32 s62, s62, exec_lo
	s_and_b32 s63, s63, exec_lo
	s_or_b32 s62, s62, s63
	s_or_b32 exec_lo, exec_lo, s16
	s_and_saveexec_b32 s16, s62
	s_cbranch_execnz .LBB6_549
	s_branch .LBB6_550
.LBB6_1676:                             ;   in Loop: Header=BB6_358 Depth=4
	s_or_saveexec_b32 s16, s16
	v_mov_b32_e32 v1, 0x7f800001
	s_xor_b32 exec_lo, exec_lo, s16
	s_cbranch_execz .LBB6_562
.LBB6_1677:                             ;   in Loop: Header=BB6_358 Depth=4
	v_cmp_ne_u16_e32 vcc_lo, 0, v4
	v_mov_b32_e32 v1, 0
	s_andn2_b32 s62, s62, exec_lo
	s_and_b32 s63, vcc_lo, exec_lo
	s_or_b32 s62, s62, s63
	s_or_b32 exec_lo, exec_lo, s16
	s_and_saveexec_b32 s16, s62
	s_cbranch_execnz .LBB6_563
	s_branch .LBB6_564
.LBB6_1678:                             ;   in Loop: Header=BB6_358 Depth=4
	s_or_saveexec_b32 s16, s16
	v_mov_b32_e32 v4, 0x7f800001
	s_xor_b32 exec_lo, exec_lo, s16
	s_cbranch_execz .LBB6_568
.LBB6_1679:                             ;   in Loop: Header=BB6_358 Depth=4
	v_cmp_ne_u16_e32 vcc_lo, 0, v5
	v_mov_b32_e32 v4, 0
	s_andn2_b32 s62, s62, exec_lo
	s_and_b32 s63, vcc_lo, exec_lo
	s_or_b32 s62, s62, s63
	s_or_b32 exec_lo, exec_lo, s16
	s_and_saveexec_b32 s16, s62
	s_cbranch_execnz .LBB6_569
	s_branch .LBB6_570
.LBB6_1680:                             ;   in Loop: Header=BB6_358 Depth=4
	s_or_saveexec_b32 s16, s16
	v_mov_b32_e32 v1, 0x7f800001
	s_xor_b32 exec_lo, exec_lo, s16
	s_cbranch_execz .LBB6_582
.LBB6_1681:                             ;   in Loop: Header=BB6_358 Depth=4
	v_cmp_ne_u16_sdwa s63, v50, v2 src0_sel:BYTE_3 src1_sel:DWORD
	v_mov_b32_e32 v1, 0
	s_andn2_b32 s62, s62, exec_lo
	s_and_b32 s63, s63, exec_lo
	s_or_b32 s62, s62, s63
	s_or_b32 exec_lo, exec_lo, s16
	s_and_saveexec_b32 s16, s62
	s_cbranch_execnz .LBB6_583
	s_branch .LBB6_584
.LBB6_1682:                             ;   in Loop: Header=BB6_358 Depth=4
	s_or_saveexec_b32 s16, s16
	v_mov_b32_e32 v4, 0x7f800001
	s_xor_b32 exec_lo, exec_lo, s16
	s_cbranch_execz .LBB6_588
.LBB6_1683:                             ;   in Loop: Header=BB6_358 Depth=4
	v_cmp_ne_u16_sdwa s63, v38, v2 src0_sel:BYTE_3 src1_sel:DWORD
	v_mov_b32_e32 v4, 0
	s_andn2_b32 s62, s62, exec_lo
	s_and_b32 s63, s63, exec_lo
	s_or_b32 s62, s62, s63
	s_or_b32 exec_lo, exec_lo, s16
	s_and_saveexec_b32 s16, s62
	s_cbranch_execnz .LBB6_589
	s_branch .LBB6_590
.LBB6_1684:                             ;   in Loop: Header=BB6_358 Depth=4
	s_or_saveexec_b32 s16, s16
	v_mov_b32_e32 v1, 0x7f800001
	s_xor_b32 exec_lo, exec_lo, s16
	s_cbranch_execz .LBB6_602
.LBB6_1685:                             ;   in Loop: Header=BB6_358 Depth=4
	v_cmp_ne_u16_sdwa s63, v51, v2 src0_sel:BYTE_0 src1_sel:DWORD
	v_mov_b32_e32 v1, 0
	s_andn2_b32 s62, s62, exec_lo
	s_and_b32 s63, s63, exec_lo
	s_or_b32 s62, s62, s63
	s_or_b32 exec_lo, exec_lo, s16
	s_and_saveexec_b32 s16, s62
	s_cbranch_execnz .LBB6_603
	s_branch .LBB6_604
.LBB6_1686:                             ;   in Loop: Header=BB6_358 Depth=4
	s_or_saveexec_b32 s16, s16
	v_mov_b32_e32 v4, 0x7f800001
	s_xor_b32 exec_lo, exec_lo, s16
	s_cbranch_execz .LBB6_608
.LBB6_1687:                             ;   in Loop: Header=BB6_358 Depth=4
	v_cmp_ne_u16_sdwa s63, v39, v2 src0_sel:BYTE_0 src1_sel:DWORD
	v_mov_b32_e32 v4, 0
	s_andn2_b32 s62, s62, exec_lo
	s_and_b32 s63, s63, exec_lo
	s_or_b32 s62, s62, s63
	s_or_b32 exec_lo, exec_lo, s16
	s_and_saveexec_b32 s16, s62
	s_cbranch_execnz .LBB6_609
	s_branch .LBB6_610
.LBB6_1688:                             ;   in Loop: Header=BB6_358 Depth=4
	s_or_saveexec_b32 s16, s16
	v_mov_b32_e32 v1, 0x7f800001
	s_xor_b32 exec_lo, exec_lo, s16
	s_cbranch_execz .LBB6_622
.LBB6_1689:                             ;   in Loop: Header=BB6_358 Depth=4
	v_cmp_ne_u16_sdwa s63, v51, v2 src0_sel:BYTE_1 src1_sel:DWORD
	v_mov_b32_e32 v1, 0
	s_andn2_b32 s62, s62, exec_lo
	s_and_b32 s63, s63, exec_lo
	s_or_b32 s62, s62, s63
	s_or_b32 exec_lo, exec_lo, s16
	s_and_saveexec_b32 s16, s62
	s_cbranch_execnz .LBB6_623
	s_branch .LBB6_624
.LBB6_1690:                             ;   in Loop: Header=BB6_358 Depth=4
	s_or_saveexec_b32 s16, s16
	v_mov_b32_e32 v4, 0x7f800001
	s_xor_b32 exec_lo, exec_lo, s16
	s_cbranch_execz .LBB6_628
.LBB6_1691:                             ;   in Loop: Header=BB6_358 Depth=4
	v_cmp_ne_u16_sdwa s63, v39, v2 src0_sel:BYTE_1 src1_sel:DWORD
	v_mov_b32_e32 v4, 0
	s_andn2_b32 s62, s62, exec_lo
	s_and_b32 s63, s63, exec_lo
	s_or_b32 s62, s62, s63
	s_or_b32 exec_lo, exec_lo, s16
	s_and_saveexec_b32 s16, s62
	s_cbranch_execnz .LBB6_629
	s_branch .LBB6_630
.LBB6_1692:                             ;   in Loop: Header=BB6_358 Depth=4
	s_or_saveexec_b32 s16, s16
	v_mov_b32_e32 v1, 0x7f800001
	s_xor_b32 exec_lo, exec_lo, s16
	s_cbranch_execz .LBB6_642
.LBB6_1693:                             ;   in Loop: Header=BB6_358 Depth=4
	v_cmp_ne_u16_e32 vcc_lo, 0, v4
	v_mov_b32_e32 v1, 0
	s_andn2_b32 s62, s62, exec_lo
	s_and_b32 s63, vcc_lo, exec_lo
	s_or_b32 s62, s62, s63
	s_or_b32 exec_lo, exec_lo, s16
	s_and_saveexec_b32 s16, s62
	s_cbranch_execnz .LBB6_643
	s_branch .LBB6_644
.LBB6_1694:                             ;   in Loop: Header=BB6_358 Depth=4
	s_or_saveexec_b32 s16, s16
	v_mov_b32_e32 v4, 0x7f800001
	s_xor_b32 exec_lo, exec_lo, s16
	s_cbranch_execz .LBB6_648
.LBB6_1695:                             ;   in Loop: Header=BB6_358 Depth=4
	v_cmp_ne_u16_e32 vcc_lo, 0, v5
	v_mov_b32_e32 v4, 0
	s_andn2_b32 s62, s62, exec_lo
	s_and_b32 s63, vcc_lo, exec_lo
	s_or_b32 s62, s62, s63
	s_or_b32 exec_lo, exec_lo, s16
	s_and_saveexec_b32 s16, s62
	s_cbranch_execnz .LBB6_649
	s_branch .LBB6_650
.LBB6_1696:                             ;   in Loop: Header=BB6_358 Depth=4
	s_or_saveexec_b32 s16, s16
	v_mov_b32_e32 v1, 0x7f800001
	s_xor_b32 exec_lo, exec_lo, s16
	s_cbranch_execz .LBB6_662
.LBB6_1697:                             ;   in Loop: Header=BB6_358 Depth=4
	v_cmp_ne_u16_sdwa s63, v51, v2 src0_sel:BYTE_3 src1_sel:DWORD
	v_mov_b32_e32 v1, 0
	s_andn2_b32 s62, s62, exec_lo
	s_and_b32 s63, s63, exec_lo
	s_or_b32 s62, s62, s63
	s_or_b32 exec_lo, exec_lo, s16
	s_and_saveexec_b32 s16, s62
	s_cbranch_execnz .LBB6_663
	s_branch .LBB6_664
.LBB6_1698:                             ;   in Loop: Header=BB6_358 Depth=4
	s_or_saveexec_b32 s16, s16
	v_mov_b32_e32 v4, 0x7f800001
	s_xor_b32 exec_lo, exec_lo, s16
	s_cbranch_execz .LBB6_668
.LBB6_1699:                             ;   in Loop: Header=BB6_358 Depth=4
	v_cmp_ne_u16_sdwa s63, v39, v2 src0_sel:BYTE_3 src1_sel:DWORD
	v_mov_b32_e32 v4, 0
	s_andn2_b32 s62, s62, exec_lo
	s_and_b32 s63, s63, exec_lo
	s_or_b32 s62, s62, s63
	s_or_b32 exec_lo, exec_lo, s16
	s_and_saveexec_b32 s16, s62
	s_cbranch_execnz .LBB6_669
	s_branch .LBB6_670
.LBB6_1700:                             ;   in Loop: Header=BB6_358 Depth=4
	s_or_saveexec_b32 s16, s16
	v_mov_b32_e32 v1, 0x7f800001
	s_xor_b32 exec_lo, exec_lo, s16
	s_cbranch_execz .LBB6_682
.LBB6_1701:                             ;   in Loop: Header=BB6_358 Depth=4
	v_cmp_ne_u16_sdwa s63, v32, v2 src0_sel:BYTE_0 src1_sel:DWORD
	v_mov_b32_e32 v1, 0
	s_andn2_b32 s62, s62, exec_lo
	s_and_b32 s63, s63, exec_lo
	s_or_b32 s62, s62, s63
	s_or_b32 exec_lo, exec_lo, s16
	s_and_saveexec_b32 s16, s62
	s_cbranch_execnz .LBB6_683
	s_branch .LBB6_684
.LBB6_1702:                             ;   in Loop: Header=BB6_358 Depth=4
	s_or_saveexec_b32 s16, s16
	v_mov_b32_e32 v4, 0x7f800001
	s_xor_b32 exec_lo, exec_lo, s16
	s_cbranch_execz .LBB6_688
.LBB6_1703:                             ;   in Loop: Header=BB6_358 Depth=4
	v_cmp_ne_u16_sdwa s63, v24, v2 src0_sel:BYTE_0 src1_sel:DWORD
	v_mov_b32_e32 v4, 0
	s_andn2_b32 s62, s62, exec_lo
	s_and_b32 s63, s63, exec_lo
	s_or_b32 s62, s62, s63
	s_or_b32 exec_lo, exec_lo, s16
	s_and_saveexec_b32 s16, s62
	s_cbranch_execnz .LBB6_689
	s_branch .LBB6_690
.LBB6_1704:                             ;   in Loop: Header=BB6_358 Depth=4
	s_or_saveexec_b32 s62, s62
	v_mov_b32_e32 v1, 0x7f800001
	s_xor_b32 exec_lo, exec_lo, s62
	s_cbranch_execz .LBB6_702
.LBB6_1705:                             ;   in Loop: Header=BB6_358 Depth=4
	v_cmp_ne_u16_sdwa s63, v32, v2 src0_sel:BYTE_1 src1_sel:DWORD
	v_mov_b32_e32 v1, 0
	s_andn2_b32 s16, s16, exec_lo
	s_and_b32 s63, s63, exec_lo
	s_or_b32 s16, s16, s63
	s_or_b32 exec_lo, exec_lo, s62
	s_and_saveexec_b32 s62, s16
	s_cbranch_execnz .LBB6_703
	s_branch .LBB6_704
.LBB6_1706:                             ;   in Loop: Header=BB6_358 Depth=4
	s_or_saveexec_b32 s62, s62
	v_mov_b32_e32 v4, 0x7f800001
	s_xor_b32 exec_lo, exec_lo, s62
	s_cbranch_execz .LBB6_708
.LBB6_1707:                             ;   in Loop: Header=BB6_358 Depth=4
	v_cmp_ne_u16_sdwa s63, v24, v2 src0_sel:BYTE_1 src1_sel:DWORD
	v_mov_b32_e32 v4, 0
	s_andn2_b32 s16, s16, exec_lo
	s_and_b32 s63, s63, exec_lo
	s_or_b32 s16, s16, s63
	s_or_b32 exec_lo, exec_lo, s62
	s_and_saveexec_b32 s62, s16
	s_cbranch_execnz .LBB6_709
	s_branch .LBB6_710
.LBB6_1708:                             ;   in Loop: Header=BB6_358 Depth=4
	s_or_saveexec_b32 s16, s16
	v_mov_b32_e32 v1, 0x7f800001
	s_xor_b32 exec_lo, exec_lo, s16
	s_cbranch_execz .LBB6_722
.LBB6_1709:                             ;   in Loop: Header=BB6_358 Depth=4
	v_cmp_ne_u16_e32 vcc_lo, 0, v4
	v_mov_b32_e32 v1, 0
	s_andn2_b32 s62, s62, exec_lo
	s_and_b32 s63, vcc_lo, exec_lo
	s_or_b32 s62, s62, s63
	s_or_b32 exec_lo, exec_lo, s16
	s_and_saveexec_b32 s16, s62
	s_cbranch_execnz .LBB6_723
	s_branch .LBB6_724
.LBB6_1710:                             ;   in Loop: Header=BB6_358 Depth=4
	s_or_saveexec_b32 s16, s16
	v_mov_b32_e32 v4, 0x7f800001
	s_xor_b32 exec_lo, exec_lo, s16
	s_cbranch_execz .LBB6_728
.LBB6_1711:                             ;   in Loop: Header=BB6_358 Depth=4
	v_cmp_ne_u16_e32 vcc_lo, 0, v5
	v_mov_b32_e32 v4, 0
	s_andn2_b32 s62, s62, exec_lo
	s_and_b32 s63, vcc_lo, exec_lo
	s_or_b32 s62, s62, s63
	s_or_b32 exec_lo, exec_lo, s16
	s_and_saveexec_b32 s16, s62
	s_cbranch_execnz .LBB6_729
	s_branch .LBB6_730
.LBB6_1712:                             ;   in Loop: Header=BB6_358 Depth=4
	s_or_saveexec_b32 s62, s62
	v_mov_b32_e32 v1, 0x7f800001
	s_xor_b32 exec_lo, exec_lo, s62
	s_cbranch_execz .LBB6_742
.LBB6_1713:                             ;   in Loop: Header=BB6_358 Depth=4
	v_cmp_ne_u16_sdwa s63, v32, v2 src0_sel:BYTE_3 src1_sel:DWORD
	v_mov_b32_e32 v1, 0
	s_andn2_b32 s16, s16, exec_lo
	s_and_b32 s63, s63, exec_lo
	s_or_b32 s16, s16, s63
	s_or_b32 exec_lo, exec_lo, s62
	s_and_saveexec_b32 s62, s16
	s_cbranch_execnz .LBB6_743
	s_branch .LBB6_744
.LBB6_1714:                             ;   in Loop: Header=BB6_358 Depth=4
	s_or_saveexec_b32 s62, s62
	v_mov_b32_e32 v4, 0x7f800001
	s_xor_b32 exec_lo, exec_lo, s62
	s_cbranch_execz .LBB6_748
.LBB6_1715:                             ;   in Loop: Header=BB6_358 Depth=4
	v_cmp_ne_u16_sdwa s63, v24, v2 src0_sel:BYTE_3 src1_sel:DWORD
	v_mov_b32_e32 v4, 0
	s_andn2_b32 s16, s16, exec_lo
	s_and_b32 s63, s63, exec_lo
	s_or_b32 s16, s16, s63
	s_or_b32 exec_lo, exec_lo, s62
	s_and_saveexec_b32 s62, s16
	s_cbranch_execnz .LBB6_749
	s_branch .LBB6_750
.LBB6_1716:                             ;   in Loop: Header=BB6_358 Depth=4
	s_or_saveexec_b32 s16, s16
	v_mov_b32_e32 v1, 0x7f800001
	s_xor_b32 exec_lo, exec_lo, s16
	s_cbranch_execz .LBB6_762
.LBB6_1717:                             ;   in Loop: Header=BB6_358 Depth=4
	v_cmp_ne_u16_sdwa s63, v33, v2 src0_sel:BYTE_0 src1_sel:DWORD
	v_mov_b32_e32 v1, 0
	s_andn2_b32 s62, s62, exec_lo
	s_and_b32 s63, s63, exec_lo
	s_or_b32 s62, s62, s63
	s_or_b32 exec_lo, exec_lo, s16
	s_and_saveexec_b32 s16, s62
	s_cbranch_execnz .LBB6_763
	s_branch .LBB6_764
.LBB6_1718:                             ;   in Loop: Header=BB6_358 Depth=4
	s_or_saveexec_b32 s16, s16
	v_mov_b32_e32 v4, 0x7f800001
	s_xor_b32 exec_lo, exec_lo, s16
	s_cbranch_execz .LBB6_768
.LBB6_1719:                             ;   in Loop: Header=BB6_358 Depth=4
	v_cmp_ne_u16_sdwa s63, v25, v2 src0_sel:BYTE_0 src1_sel:DWORD
	v_mov_b32_e32 v4, 0
	s_andn2_b32 s62, s62, exec_lo
	s_and_b32 s63, s63, exec_lo
	s_or_b32 s62, s62, s63
	s_or_b32 exec_lo, exec_lo, s16
	s_and_saveexec_b32 s16, s62
	s_cbranch_execnz .LBB6_769
	s_branch .LBB6_770
.LBB6_1720:                             ;   in Loop: Header=BB6_358 Depth=4
	s_or_saveexec_b32 s62, s62
	v_mov_b32_e32 v1, 0x7f800001
	s_xor_b32 exec_lo, exec_lo, s62
	s_cbranch_execz .LBB6_782
.LBB6_1721:                             ;   in Loop: Header=BB6_358 Depth=4
	v_cmp_ne_u16_sdwa s63, v33, v2 src0_sel:BYTE_1 src1_sel:DWORD
	v_mov_b32_e32 v1, 0
	s_andn2_b32 s16, s16, exec_lo
	s_and_b32 s63, s63, exec_lo
	s_or_b32 s16, s16, s63
	s_or_b32 exec_lo, exec_lo, s62
	s_and_saveexec_b32 s62, s16
	s_cbranch_execnz .LBB6_783
	s_branch .LBB6_784
.LBB6_1722:                             ;   in Loop: Header=BB6_358 Depth=4
	s_or_saveexec_b32 s62, s62
	v_mov_b32_e32 v4, 0x7f800001
	s_xor_b32 exec_lo, exec_lo, s62
	s_cbranch_execz .LBB6_788
.LBB6_1723:                             ;   in Loop: Header=BB6_358 Depth=4
	v_cmp_ne_u16_sdwa s63, v25, v2 src0_sel:BYTE_1 src1_sel:DWORD
	v_mov_b32_e32 v4, 0
	s_andn2_b32 s16, s16, exec_lo
	s_and_b32 s63, s63, exec_lo
	s_or_b32 s16, s16, s63
	s_or_b32 exec_lo, exec_lo, s62
	s_and_saveexec_b32 s62, s16
	s_cbranch_execnz .LBB6_789
	s_branch .LBB6_790
.LBB6_1724:                             ;   in Loop: Header=BB6_358 Depth=4
	s_or_saveexec_b32 s16, s16
	v_mov_b32_e32 v1, 0x7f800001
	s_xor_b32 exec_lo, exec_lo, s16
	s_cbranch_execz .LBB6_802
.LBB6_1725:                             ;   in Loop: Header=BB6_358 Depth=4
	v_cmp_ne_u16_e32 vcc_lo, 0, v4
	v_mov_b32_e32 v1, 0
	s_andn2_b32 s62, s62, exec_lo
	s_and_b32 s63, vcc_lo, exec_lo
	s_or_b32 s62, s62, s63
	s_or_b32 exec_lo, exec_lo, s16
	s_and_saveexec_b32 s16, s62
	s_cbranch_execnz .LBB6_803
	s_branch .LBB6_804
.LBB6_1726:                             ;   in Loop: Header=BB6_358 Depth=4
	s_or_saveexec_b32 s16, s16
	v_mov_b32_e32 v4, 0x7f800001
	s_xor_b32 exec_lo, exec_lo, s16
	s_cbranch_execz .LBB6_808
.LBB6_1727:                             ;   in Loop: Header=BB6_358 Depth=4
	v_cmp_ne_u16_e32 vcc_lo, 0, v5
	v_mov_b32_e32 v4, 0
	s_andn2_b32 s62, s62, exec_lo
	s_and_b32 s63, vcc_lo, exec_lo
	s_or_b32 s62, s62, s63
	s_or_b32 exec_lo, exec_lo, s16
	s_and_saveexec_b32 s16, s62
	s_cbranch_execnz .LBB6_809
	s_branch .LBB6_810
.LBB6_1728:                             ;   in Loop: Header=BB6_358 Depth=4
	s_or_saveexec_b32 s62, s62
	v_mov_b32_e32 v1, 0x7f800001
	s_xor_b32 exec_lo, exec_lo, s62
	s_cbranch_execz .LBB6_822
.LBB6_1729:                             ;   in Loop: Header=BB6_358 Depth=4
	v_cmp_ne_u16_sdwa s63, v33, v2 src0_sel:BYTE_3 src1_sel:DWORD
	v_mov_b32_e32 v1, 0
	s_andn2_b32 s16, s16, exec_lo
	s_and_b32 s63, s63, exec_lo
	s_or_b32 s16, s16, s63
	s_or_b32 exec_lo, exec_lo, s62
	s_and_saveexec_b32 s62, s16
	s_cbranch_execnz .LBB6_823
	s_branch .LBB6_824
.LBB6_1730:                             ;   in Loop: Header=BB6_358 Depth=4
	s_or_saveexec_b32 s62, s62
	v_mov_b32_e32 v4, 0x7f800001
	s_xor_b32 exec_lo, exec_lo, s62
	s_cbranch_execz .LBB6_828
.LBB6_1731:                             ;   in Loop: Header=BB6_358 Depth=4
	v_cmp_ne_u16_sdwa s63, v25, v2 src0_sel:BYTE_3 src1_sel:DWORD
	v_mov_b32_e32 v4, 0
	s_andn2_b32 s16, s16, exec_lo
	s_and_b32 s63, s63, exec_lo
	s_or_b32 s16, s16, s63
	s_or_b32 exec_lo, exec_lo, s62
	s_and_saveexec_b32 s62, s16
	s_cbranch_execnz .LBB6_829
	s_branch .LBB6_830
.LBB6_1732:                             ;   in Loop: Header=BB6_358 Depth=4
	s_or_saveexec_b32 s16, s16
	v_mov_b32_e32 v1, 0x7f800001
	s_xor_b32 exec_lo, exec_lo, s16
	s_cbranch_execz .LBB6_842
.LBB6_1733:                             ;   in Loop: Header=BB6_358 Depth=4
	v_cmp_ne_u16_sdwa s63, v34, v2 src0_sel:BYTE_0 src1_sel:DWORD
	v_mov_b32_e32 v1, 0
	s_andn2_b32 s62, s62, exec_lo
	s_and_b32 s63, s63, exec_lo
	s_or_b32 s62, s62, s63
	s_or_b32 exec_lo, exec_lo, s16
	s_and_saveexec_b32 s16, s62
	s_cbranch_execnz .LBB6_843
	s_branch .LBB6_844
.LBB6_1734:                             ;   in Loop: Header=BB6_358 Depth=4
	s_or_saveexec_b32 s16, s16
	v_mov_b32_e32 v4, 0x7f800001
	s_xor_b32 exec_lo, exec_lo, s16
	s_cbranch_execz .LBB6_848
.LBB6_1735:                             ;   in Loop: Header=BB6_358 Depth=4
	v_cmp_ne_u16_sdwa s63, v26, v2 src0_sel:BYTE_0 src1_sel:DWORD
	v_mov_b32_e32 v4, 0
	s_andn2_b32 s62, s62, exec_lo
	s_and_b32 s63, s63, exec_lo
	s_or_b32 s62, s62, s63
	s_or_b32 exec_lo, exec_lo, s16
	s_and_saveexec_b32 s16, s62
	s_cbranch_execnz .LBB6_849
	s_branch .LBB6_850
.LBB6_1736:                             ;   in Loop: Header=BB6_358 Depth=4
	s_or_saveexec_b32 s62, s62
	v_mov_b32_e32 v1, 0x7f800001
	s_xor_b32 exec_lo, exec_lo, s62
	s_cbranch_execz .LBB6_862
.LBB6_1737:                             ;   in Loop: Header=BB6_358 Depth=4
	v_cmp_ne_u16_sdwa s63, v34, v2 src0_sel:BYTE_1 src1_sel:DWORD
	v_mov_b32_e32 v1, 0
	s_andn2_b32 s16, s16, exec_lo
	s_and_b32 s63, s63, exec_lo
	s_or_b32 s16, s16, s63
	s_or_b32 exec_lo, exec_lo, s62
	s_and_saveexec_b32 s62, s16
	s_cbranch_execnz .LBB6_863
	s_branch .LBB6_864
.LBB6_1738:                             ;   in Loop: Header=BB6_358 Depth=4
	s_or_saveexec_b32 s62, s62
	v_mov_b32_e32 v4, 0x7f800001
	s_xor_b32 exec_lo, exec_lo, s62
	s_cbranch_execz .LBB6_868
.LBB6_1739:                             ;   in Loop: Header=BB6_358 Depth=4
	v_cmp_ne_u16_sdwa s63, v26, v2 src0_sel:BYTE_1 src1_sel:DWORD
	v_mov_b32_e32 v4, 0
	s_andn2_b32 s16, s16, exec_lo
	s_and_b32 s63, s63, exec_lo
	s_or_b32 s16, s16, s63
	s_or_b32 exec_lo, exec_lo, s62
	s_and_saveexec_b32 s62, s16
	s_cbranch_execnz .LBB6_869
	s_branch .LBB6_870
.LBB6_1740:                             ;   in Loop: Header=BB6_358 Depth=4
	s_or_saveexec_b32 s16, s16
	v_mov_b32_e32 v1, 0x7f800001
	s_xor_b32 exec_lo, exec_lo, s16
	s_cbranch_execz .LBB6_882
.LBB6_1741:                             ;   in Loop: Header=BB6_358 Depth=4
	v_cmp_ne_u16_e32 vcc_lo, 0, v5
	v_mov_b32_e32 v1, 0
	s_andn2_b32 s62, s62, exec_lo
	s_and_b32 s63, vcc_lo, exec_lo
	s_or_b32 s62, s62, s63
	s_or_b32 exec_lo, exec_lo, s16
	s_and_saveexec_b32 s16, s62
	s_cbranch_execnz .LBB6_883
	s_branch .LBB6_884
.LBB6_1742:                             ;   in Loop: Header=BB6_358 Depth=4
	s_or_saveexec_b32 s16, s16
	v_mov_b32_e32 v5, 0x7f800001
	s_xor_b32 exec_lo, exec_lo, s16
	s_cbranch_execz .LBB6_888
.LBB6_1743:                             ;   in Loop: Header=BB6_358 Depth=4
	v_cmp_ne_u16_e32 vcc_lo, 0, v31
	v_mov_b32_e32 v5, 0
	s_andn2_b32 s62, s62, exec_lo
	s_and_b32 s63, vcc_lo, exec_lo
	s_or_b32 s62, s62, s63
	s_or_b32 exec_lo, exec_lo, s16
	s_and_saveexec_b32 s16, s62
	s_cbranch_execnz .LBB6_889
	s_branch .LBB6_890
.LBB6_1744:                             ;   in Loop: Header=BB6_358 Depth=4
	s_or_saveexec_b32 s62, s62
	v_mov_b32_e32 v1, 0x7f800001
	s_xor_b32 exec_lo, exec_lo, s62
	s_cbranch_execz .LBB6_902
.LBB6_1745:                             ;   in Loop: Header=BB6_358 Depth=4
	v_cmp_ne_u16_sdwa s63, v34, v2 src0_sel:BYTE_3 src1_sel:DWORD
	v_mov_b32_e32 v1, 0
	s_andn2_b32 s16, s16, exec_lo
	s_and_b32 s63, s63, exec_lo
	s_or_b32 s16, s16, s63
	s_or_b32 exec_lo, exec_lo, s62
	s_and_saveexec_b32 s62, s16
	s_cbranch_execnz .LBB6_903
	s_branch .LBB6_904
.LBB6_1746:                             ;   in Loop: Header=BB6_358 Depth=4
	s_or_saveexec_b32 s62, s62
	v_mov_b32_e32 v31, 0x7f800001
	s_xor_b32 exec_lo, exec_lo, s62
	s_cbranch_execz .LBB6_908
.LBB6_1747:                             ;   in Loop: Header=BB6_358 Depth=4
	v_cmp_ne_u16_sdwa s63, v26, v2 src0_sel:BYTE_3 src1_sel:DWORD
	v_mov_b32_e32 v31, 0
	s_andn2_b32 s16, s16, exec_lo
	s_and_b32 s63, s63, exec_lo
	s_or_b32 s16, s16, s63
	s_or_b32 exec_lo, exec_lo, s62
	s_and_saveexec_b32 s62, s16
	s_cbranch_execnz .LBB6_909
	s_branch .LBB6_910
.LBB6_1748:                             ;   in Loop: Header=BB6_358 Depth=4
	s_or_saveexec_b32 s16, s16
	v_mov_b32_e32 v1, 0x7f800001
	s_xor_b32 exec_lo, exec_lo, s16
	s_cbranch_execz .LBB6_922
.LBB6_1749:                             ;   in Loop: Header=BB6_358 Depth=4
	v_cmp_ne_u16_sdwa s63, v35, v2 src0_sel:BYTE_0 src1_sel:DWORD
	v_mov_b32_e32 v1, 0
	s_andn2_b32 s62, s62, exec_lo
	s_and_b32 s63, s63, exec_lo
	s_or_b32 s62, s62, s63
	s_or_b32 exec_lo, exec_lo, s16
	s_and_saveexec_b32 s16, s62
	s_cbranch_execnz .LBB6_923
	s_branch .LBB6_924
.LBB6_1750:                             ;   in Loop: Header=BB6_358 Depth=4
	s_or_saveexec_b32 s16, s16
	v_mov_b32_e32 v31, 0x7f800001
	s_xor_b32 exec_lo, exec_lo, s16
	s_cbranch_execz .LBB6_928
.LBB6_1751:                             ;   in Loop: Header=BB6_358 Depth=4
	v_cmp_ne_u16_sdwa s63, v27, v2 src0_sel:BYTE_0 src1_sel:DWORD
	v_mov_b32_e32 v31, 0
	s_andn2_b32 s62, s62, exec_lo
	s_and_b32 s63, s63, exec_lo
	s_or_b32 s62, s62, s63
	s_or_b32 exec_lo, exec_lo, s16
	s_and_saveexec_b32 s16, s62
	s_cbranch_execnz .LBB6_929
	s_branch .LBB6_930
.LBB6_1752:                             ;   in Loop: Header=BB6_358 Depth=4
	s_or_saveexec_b32 s62, s62
	v_mov_b32_e32 v1, 0x7f800001
	s_xor_b32 exec_lo, exec_lo, s62
	s_cbranch_execz .LBB6_942
.LBB6_1753:                             ;   in Loop: Header=BB6_358 Depth=4
	v_cmp_ne_u16_sdwa s63, v35, v2 src0_sel:BYTE_1 src1_sel:DWORD
	v_mov_b32_e32 v1, 0
	s_andn2_b32 s16, s16, exec_lo
	s_and_b32 s63, s63, exec_lo
	s_or_b32 s16, s16, s63
	s_or_b32 exec_lo, exec_lo, s62
	s_and_saveexec_b32 s62, s16
	s_cbranch_execnz .LBB6_943
	s_branch .LBB6_944
.LBB6_1754:                             ;   in Loop: Header=BB6_358 Depth=4
	s_or_saveexec_b32 s62, s62
	v_mov_b32_e32 v31, 0x7f800001
	s_xor_b32 exec_lo, exec_lo, s62
	s_cbranch_execz .LBB6_948
.LBB6_1755:                             ;   in Loop: Header=BB6_358 Depth=4
	v_cmp_ne_u16_sdwa s63, v27, v2 src0_sel:BYTE_1 src1_sel:DWORD
	v_mov_b32_e32 v31, 0
	s_andn2_b32 s16, s16, exec_lo
	s_and_b32 s63, s63, exec_lo
	s_or_b32 s16, s16, s63
	s_or_b32 exec_lo, exec_lo, s62
	s_and_saveexec_b32 s62, s16
	s_cbranch_execnz .LBB6_949
	s_branch .LBB6_950
.LBB6_1756:                             ;   in Loop: Header=BB6_358 Depth=4
	s_or_saveexec_b32 s16, s16
	v_mov_b32_e32 v1, 0x7f800001
	s_xor_b32 exec_lo, exec_lo, s16
	s_cbranch_execz .LBB6_962
.LBB6_1757:                             ;   in Loop: Header=BB6_358 Depth=4
	v_cmp_ne_u16_e32 vcc_lo, 0, v31
	v_mov_b32_e32 v1, 0
	s_andn2_b32 s62, s62, exec_lo
	s_and_b32 s63, vcc_lo, exec_lo
	s_or_b32 s62, s62, s63
	s_or_b32 exec_lo, exec_lo, s16
	s_and_saveexec_b32 s16, s62
	s_cbranch_execnz .LBB6_963
	s_branch .LBB6_964
.LBB6_1758:                             ;   in Loop: Header=BB6_358 Depth=4
	s_or_saveexec_b32 s16, s16
	v_mov_b32_e32 v31, 0x7f800001
	s_xor_b32 exec_lo, exec_lo, s16
	s_cbranch_execz .LBB6_968
.LBB6_1759:                             ;   in Loop: Header=BB6_358 Depth=4
	v_cmp_ne_u16_e32 vcc_lo, 0, v83
	v_mov_b32_e32 v31, 0
	s_andn2_b32 s62, s62, exec_lo
	s_and_b32 s63, vcc_lo, exec_lo
	s_or_b32 s62, s62, s63
	s_or_b32 exec_lo, exec_lo, s16
	s_and_saveexec_b32 s16, s62
	s_cbranch_execnz .LBB6_969
	s_branch .LBB6_970
.LBB6_1760:                             ;   in Loop: Header=BB6_358 Depth=4
	s_or_saveexec_b32 s62, s62
	v_mov_b32_e32 v1, 0x7f800001
	s_xor_b32 exec_lo, exec_lo, s62
	s_cbranch_execz .LBB6_982
.LBB6_1761:                             ;   in Loop: Header=BB6_358 Depth=4
	v_cmp_ne_u16_sdwa s63, v35, v2 src0_sel:BYTE_3 src1_sel:DWORD
	v_mov_b32_e32 v1, 0
	s_andn2_b32 s16, s16, exec_lo
	s_and_b32 s63, s63, exec_lo
	s_or_b32 s16, s16, s63
	s_or_b32 exec_lo, exec_lo, s62
	s_and_saveexec_b32 s62, s16
	s_cbranch_execnz .LBB6_983
	s_branch .LBB6_984
.LBB6_1762:                             ;   in Loop: Header=BB6_358 Depth=4
	s_or_saveexec_b32 s62, s62
	v_mov_b32_e32 v31, 0x7f800001
	s_xor_b32 exec_lo, exec_lo, s62
	s_cbranch_execz .LBB6_988
.LBB6_1763:                             ;   in Loop: Header=BB6_358 Depth=4
	v_cmp_ne_u16_sdwa s63, v27, v2 src0_sel:BYTE_3 src1_sel:DWORD
	v_mov_b32_e32 v31, 0
	s_andn2_b32 s16, s16, exec_lo
	s_and_b32 s63, s63, exec_lo
	s_or_b32 s16, s16, s63
	s_or_b32 exec_lo, exec_lo, s62
	s_and_saveexec_b32 s62, s16
	s_cbranch_execnz .LBB6_989
	s_branch .LBB6_990
.LBB6_1764:                             ;   in Loop: Header=BB6_358 Depth=4
	s_or_saveexec_b32 s16, s16
	v_mov_b32_e32 v1, 0x7f800001
	s_xor_b32 exec_lo, exec_lo, s16
	s_cbranch_execz .LBB6_1002
.LBB6_1765:                             ;   in Loop: Header=BB6_358 Depth=4
	v_cmp_ne_u16_sdwa s63, v20, v2 src0_sel:BYTE_0 src1_sel:DWORD
	v_mov_b32_e32 v1, 0
	s_andn2_b32 s62, s62, exec_lo
	s_and_b32 s63, s63, exec_lo
	s_or_b32 s62, s62, s63
	s_or_b32 exec_lo, exec_lo, s16
	s_and_saveexec_b32 s16, s62
	s_cbranch_execnz .LBB6_1003
	s_branch .LBB6_1004
.LBB6_1766:                             ;   in Loop: Header=BB6_358 Depth=4
	s_or_saveexec_b32 s16, s16
	v_mov_b32_e32 v31, 0x7f800001
	s_xor_b32 exec_lo, exec_lo, s16
	s_cbranch_execz .LBB6_1008
.LBB6_1767:                             ;   in Loop: Header=BB6_358 Depth=4
	v_cmp_ne_u16_sdwa s63, v16, v2 src0_sel:BYTE_0 src1_sel:DWORD
	v_mov_b32_e32 v31, 0
	s_andn2_b32 s62, s62, exec_lo
	s_and_b32 s63, s63, exec_lo
	s_or_b32 s62, s62, s63
	s_or_b32 exec_lo, exec_lo, s16
	s_and_saveexec_b32 s16, s62
	s_cbranch_execnz .LBB6_1009
	s_branch .LBB6_1010
.LBB6_1768:                             ;   in Loop: Header=BB6_358 Depth=4
	s_or_saveexec_b32 s62, s62
	v_mov_b32_e32 v1, 0x7f800001
	s_xor_b32 exec_lo, exec_lo, s62
	s_cbranch_execz .LBB6_1022
.LBB6_1769:                             ;   in Loop: Header=BB6_358 Depth=4
	v_cmp_ne_u16_sdwa s63, v20, v2 src0_sel:BYTE_1 src1_sel:DWORD
	v_mov_b32_e32 v1, 0
	s_andn2_b32 s16, s16, exec_lo
	s_and_b32 s63, s63, exec_lo
	s_or_b32 s16, s16, s63
	s_or_b32 exec_lo, exec_lo, s62
	s_and_saveexec_b32 s62, s16
	s_cbranch_execnz .LBB6_1023
	s_branch .LBB6_1024
.LBB6_1770:                             ;   in Loop: Header=BB6_358 Depth=4
	s_or_saveexec_b32 s62, s62
	v_mov_b32_e32 v31, 0x7f800001
	s_xor_b32 exec_lo, exec_lo, s62
	s_cbranch_execz .LBB6_1028
.LBB6_1771:                             ;   in Loop: Header=BB6_358 Depth=4
	v_cmp_ne_u16_sdwa s63, v16, v2 src0_sel:BYTE_1 src1_sel:DWORD
	v_mov_b32_e32 v31, 0
	s_andn2_b32 s16, s16, exec_lo
	s_and_b32 s63, s63, exec_lo
	s_or_b32 s16, s16, s63
	s_or_b32 exec_lo, exec_lo, s62
	s_and_saveexec_b32 s62, s16
	s_cbranch_execnz .LBB6_1029
	s_branch .LBB6_1030
.LBB6_1772:                             ;   in Loop: Header=BB6_358 Depth=4
	s_or_saveexec_b32 s16, s16
	v_mov_b32_e32 v1, 0x7f800001
	s_xor_b32 exec_lo, exec_lo, s16
	s_cbranch_execz .LBB6_1042
.LBB6_1773:                             ;   in Loop: Header=BB6_358 Depth=4
	v_cmp_ne_u16_e32 vcc_lo, 0, v86
	v_mov_b32_e32 v1, 0
	s_andn2_b32 s62, s62, exec_lo
	s_and_b32 s63, vcc_lo, exec_lo
	s_or_b32 s62, s62, s63
	s_or_b32 exec_lo, exec_lo, s16
	s_and_saveexec_b32 s16, s62
	s_cbranch_execnz .LBB6_1043
	s_branch .LBB6_1044
.LBB6_1774:                             ;   in Loop: Header=BB6_358 Depth=4
	s_or_saveexec_b32 s16, s16
	v_mov_b32_e32 v86, 0x7f800001
	s_xor_b32 exec_lo, exec_lo, s16
	s_cbranch_execz .LBB6_1048
.LBB6_1775:                             ;   in Loop: Header=BB6_358 Depth=4
	v_cmp_ne_u16_e32 vcc_lo, 0, v87
	v_mov_b32_e32 v86, 0
	s_andn2_b32 s62, s62, exec_lo
	s_and_b32 s63, vcc_lo, exec_lo
	s_or_b32 s62, s62, s63
	s_or_b32 exec_lo, exec_lo, s16
	s_and_saveexec_b32 s16, s62
	s_cbranch_execnz .LBB6_1049
	s_branch .LBB6_1050
.LBB6_1776:                             ;   in Loop: Header=BB6_358 Depth=4
	s_or_saveexec_b32 s62, s62
	v_mov_b32_e32 v86, 0x7f800001
	s_xor_b32 exec_lo, exec_lo, s62
	s_cbranch_execz .LBB6_1062
.LBB6_1777:                             ;   in Loop: Header=BB6_358 Depth=4
	v_cmp_ne_u16_sdwa s63, v20, v2 src0_sel:BYTE_3 src1_sel:DWORD
	v_mov_b32_e32 v86, 0
	s_andn2_b32 s16, s16, exec_lo
	s_and_b32 s63, s63, exec_lo
	s_or_b32 s16, s16, s63
	s_or_b32 exec_lo, exec_lo, s62
	s_and_saveexec_b32 s62, s16
	s_cbranch_execnz .LBB6_1063
	s_branch .LBB6_1064
.LBB6_1778:                             ;   in Loop: Header=BB6_358 Depth=4
	s_or_saveexec_b32 s62, s62
	v_mov_b32_e32 v20, 0x7f800001
	s_xor_b32 exec_lo, exec_lo, s62
	s_cbranch_execz .LBB6_1068
.LBB6_1779:                             ;   in Loop: Header=BB6_358 Depth=4
	v_cmp_ne_u16_sdwa s63, v16, v2 src0_sel:BYTE_3 src1_sel:DWORD
	v_mov_b32_e32 v20, 0
	s_andn2_b32 s16, s16, exec_lo
	s_and_b32 s63, s63, exec_lo
	s_or_b32 s16, s16, s63
	s_or_b32 exec_lo, exec_lo, s62
	s_and_saveexec_b32 s62, s16
	s_cbranch_execnz .LBB6_1069
	s_branch .LBB6_1070
.LBB6_1780:                             ;   in Loop: Header=BB6_358 Depth=4
	s_or_saveexec_b32 s16, s16
	v_mov_b32_e32 v20, 0x7f800001
	s_xor_b32 exec_lo, exec_lo, s16
	s_cbranch_execz .LBB6_1082
.LBB6_1781:                             ;   in Loop: Header=BB6_358 Depth=4
	v_cmp_ne_u16_sdwa s63, v21, v2 src0_sel:BYTE_0 src1_sel:DWORD
	v_mov_b32_e32 v20, 0
	s_andn2_b32 s62, s62, exec_lo
	s_and_b32 s63, s63, exec_lo
	s_or_b32 s62, s62, s63
	s_or_b32 exec_lo, exec_lo, s16
	s_and_saveexec_b32 s16, s62
	s_cbranch_execnz .LBB6_1083
	s_branch .LBB6_1084
.LBB6_1782:                             ;   in Loop: Header=BB6_358 Depth=4
	s_or_saveexec_b32 s16, s16
	v_mov_b32_e32 v86, 0x7f800001
	s_xor_b32 exec_lo, exec_lo, s16
	s_cbranch_execz .LBB6_1088
.LBB6_1783:                             ;   in Loop: Header=BB6_358 Depth=4
	v_cmp_ne_u16_sdwa s63, v17, v2 src0_sel:BYTE_0 src1_sel:DWORD
	v_mov_b32_e32 v86, 0
	s_andn2_b32 s62, s62, exec_lo
	s_and_b32 s63, s63, exec_lo
	s_or_b32 s62, s62, s63
	s_or_b32 exec_lo, exec_lo, s16
	s_and_saveexec_b32 s16, s62
	s_cbranch_execnz .LBB6_1089
	s_branch .LBB6_1090
.LBB6_1784:                             ;   in Loop: Header=BB6_358 Depth=4
	s_or_saveexec_b32 s62, s62
	v_mov_b32_e32 v86, 0x7f800001
	s_xor_b32 exec_lo, exec_lo, s62
	s_cbranch_execz .LBB6_1102
.LBB6_1785:                             ;   in Loop: Header=BB6_358 Depth=4
	v_cmp_ne_u16_sdwa s63, v21, v2 src0_sel:BYTE_1 src1_sel:DWORD
	v_mov_b32_e32 v86, 0
	s_andn2_b32 s16, s16, exec_lo
	s_and_b32 s63, s63, exec_lo
	s_or_b32 s16, s16, s63
	s_or_b32 exec_lo, exec_lo, s62
	s_and_saveexec_b32 s62, s16
	s_cbranch_execnz .LBB6_1103
	s_branch .LBB6_1104
.LBB6_1786:                             ;   in Loop: Header=BB6_358 Depth=4
	s_or_saveexec_b32 s62, s62
	v_mov_b32_e32 v87, 0x7f800001
	s_xor_b32 exec_lo, exec_lo, s62
	s_cbranch_execz .LBB6_1108
.LBB6_1787:                             ;   in Loop: Header=BB6_358 Depth=4
	v_cmp_ne_u16_sdwa s63, v17, v2 src0_sel:BYTE_1 src1_sel:DWORD
	v_mov_b32_e32 v87, 0
	s_andn2_b32 s16, s16, exec_lo
	s_and_b32 s63, s63, exec_lo
	s_or_b32 s16, s16, s63
	s_or_b32 exec_lo, exec_lo, s62
	s_and_saveexec_b32 s62, s16
	s_cbranch_execnz .LBB6_1109
	s_branch .LBB6_1110
.LBB6_1788:                             ;   in Loop: Header=BB6_358 Depth=4
	s_or_saveexec_b32 s16, s16
	v_mov_b32_e32 v86, 0x7f800001
	s_xor_b32 exec_lo, exec_lo, s16
	s_cbranch_execz .LBB6_1122
.LBB6_1789:                             ;   in Loop: Header=BB6_358 Depth=4
	v_cmp_ne_u16_e32 vcc_lo, 0, v87
	v_mov_b32_e32 v86, 0
	s_andn2_b32 s62, s62, exec_lo
	s_and_b32 s63, vcc_lo, exec_lo
	s_or_b32 s62, s62, s63
	s_or_b32 exec_lo, exec_lo, s16
	s_and_saveexec_b32 s16, s62
	s_cbranch_execnz .LBB6_1123
	s_branch .LBB6_1124
.LBB6_1790:                             ;   in Loop: Header=BB6_358 Depth=4
	s_or_saveexec_b32 s16, s16
	v_mov_b32_e32 v87, 0x7f800001
	s_xor_b32 exec_lo, exec_lo, s16
	s_cbranch_execz .LBB6_1128
.LBB6_1791:                             ;   in Loop: Header=BB6_358 Depth=4
	v_cmp_ne_u16_e32 vcc_lo, 0, v98
	v_mov_b32_e32 v87, 0
	s_andn2_b32 s62, s62, exec_lo
	s_and_b32 s63, vcc_lo, exec_lo
	s_or_b32 s62, s62, s63
	s_or_b32 exec_lo, exec_lo, s16
	s_and_saveexec_b32 s16, s62
	s_cbranch_execnz .LBB6_1129
	s_branch .LBB6_1130
.LBB6_1792:                             ;   in Loop: Header=BB6_358 Depth=4
	s_or_saveexec_b32 s62, s62
	v_mov_b32_e32 v86, 0x7f800001
	s_xor_b32 exec_lo, exec_lo, s62
	s_cbranch_execz .LBB6_1142
.LBB6_1793:                             ;   in Loop: Header=BB6_358 Depth=4
	v_cmp_ne_u16_sdwa s63, v21, v2 src0_sel:BYTE_3 src1_sel:DWORD
	v_mov_b32_e32 v86, 0
	s_andn2_b32 s16, s16, exec_lo
	s_and_b32 s63, s63, exec_lo
	s_or_b32 s16, s16, s63
	s_or_b32 exec_lo, exec_lo, s62
	s_and_saveexec_b32 s62, s16
	s_cbranch_execnz .LBB6_1143
	s_branch .LBB6_1144
.LBB6_1794:                             ;   in Loop: Header=BB6_358 Depth=4
	s_or_saveexec_b32 s62, s62
	v_mov_b32_e32 v21, 0x7f800001
	s_xor_b32 exec_lo, exec_lo, s62
	s_cbranch_execz .LBB6_1148
.LBB6_1795:                             ;   in Loop: Header=BB6_358 Depth=4
	v_cmp_ne_u16_sdwa s63, v17, v2 src0_sel:BYTE_3 src1_sel:DWORD
	v_mov_b32_e32 v21, 0
	s_andn2_b32 s16, s16, exec_lo
	s_and_b32 s63, s63, exec_lo
	s_or_b32 s16, s16, s63
	s_or_b32 exec_lo, exec_lo, s62
	s_and_saveexec_b32 s62, s16
	s_cbranch_execnz .LBB6_1149
	s_branch .LBB6_1150
.LBB6_1796:                             ;   in Loop: Header=BB6_358 Depth=4
	s_or_saveexec_b32 s16, s16
	v_mov_b32_e32 v21, 0x7f800001
	s_xor_b32 exec_lo, exec_lo, s16
	s_cbranch_execz .LBB6_1162
.LBB6_1797:                             ;   in Loop: Header=BB6_358 Depth=4
	v_cmp_ne_u16_sdwa s63, v22, v2 src0_sel:BYTE_0 src1_sel:DWORD
	v_mov_b32_e32 v21, 0
	s_andn2_b32 s62, s62, exec_lo
	s_and_b32 s63, s63, exec_lo
	s_or_b32 s62, s62, s63
	s_or_b32 exec_lo, exec_lo, s16
	s_and_saveexec_b32 s16, s62
	s_cbranch_execnz .LBB6_1163
	s_branch .LBB6_1164
.LBB6_1798:                             ;   in Loop: Header=BB6_358 Depth=4
	s_or_saveexec_b32 s16, s16
	v_mov_b32_e32 v86, 0x7f800001
	s_xor_b32 exec_lo, exec_lo, s16
	s_cbranch_execz .LBB6_1168
.LBB6_1799:                             ;   in Loop: Header=BB6_358 Depth=4
	v_cmp_ne_u16_sdwa s63, v18, v2 src0_sel:BYTE_0 src1_sel:DWORD
	v_mov_b32_e32 v86, 0
	s_andn2_b32 s62, s62, exec_lo
	s_and_b32 s63, s63, exec_lo
	s_or_b32 s62, s62, s63
	s_or_b32 exec_lo, exec_lo, s16
	s_and_saveexec_b32 s16, s62
	s_cbranch_execnz .LBB6_1169
	s_branch .LBB6_1170
.LBB6_1800:                             ;   in Loop: Header=BB6_358 Depth=4
	s_or_saveexec_b32 s62, s62
	v_mov_b32_e32 v86, 0x7f800001
	s_xor_b32 exec_lo, exec_lo, s62
	s_cbranch_execz .LBB6_1182
.LBB6_1801:                             ;   in Loop: Header=BB6_358 Depth=4
	v_cmp_ne_u16_sdwa s63, v22, v2 src0_sel:BYTE_1 src1_sel:DWORD
	v_mov_b32_e32 v86, 0
	s_andn2_b32 s16, s16, exec_lo
	s_and_b32 s63, s63, exec_lo
	s_or_b32 s16, s16, s63
	s_or_b32 exec_lo, exec_lo, s62
	s_and_saveexec_b32 s62, s16
	s_cbranch_execnz .LBB6_1183
	s_branch .LBB6_1184
.LBB6_1802:                             ;   in Loop: Header=BB6_358 Depth=4
	s_or_saveexec_b32 s62, s62
	v_mov_b32_e32 v87, 0x7f800001
	s_xor_b32 exec_lo, exec_lo, s62
	s_cbranch_execz .LBB6_1188
.LBB6_1803:                             ;   in Loop: Header=BB6_358 Depth=4
	v_cmp_ne_u16_sdwa s63, v18, v2 src0_sel:BYTE_1 src1_sel:DWORD
	v_mov_b32_e32 v87, 0
	s_andn2_b32 s16, s16, exec_lo
	s_and_b32 s63, s63, exec_lo
	s_or_b32 s16, s16, s63
	s_or_b32 exec_lo, exec_lo, s62
	s_and_saveexec_b32 s62, s16
	s_cbranch_execnz .LBB6_1189
	s_branch .LBB6_1190
.LBB6_1804:                             ;   in Loop: Header=BB6_358 Depth=4
	s_or_saveexec_b32 s16, s16
	v_mov_b32_e32 v86, 0x7f800001
	s_xor_b32 exec_lo, exec_lo, s16
	s_cbranch_execz .LBB6_1202
.LBB6_1805:                             ;   in Loop: Header=BB6_358 Depth=4
	v_cmp_ne_u16_e32 vcc_lo, 0, v87
	v_mov_b32_e32 v86, 0
	s_andn2_b32 s62, s62, exec_lo
	s_and_b32 s63, vcc_lo, exec_lo
	s_or_b32 s62, s62, s63
	s_or_b32 exec_lo, exec_lo, s16
	s_and_saveexec_b32 s16, s62
	s_cbranch_execnz .LBB6_1203
	s_branch .LBB6_1204
.LBB6_1806:                             ;   in Loop: Header=BB6_358 Depth=4
	s_or_saveexec_b32 s16, s16
	v_mov_b32_e32 v87, 0x7f800001
	s_xor_b32 exec_lo, exec_lo, s16
	s_cbranch_execz .LBB6_1208
.LBB6_1807:                             ;   in Loop: Header=BB6_358 Depth=4
	v_cmp_ne_u16_e32 vcc_lo, 0, v98
	v_mov_b32_e32 v87, 0
	s_andn2_b32 s62, s62, exec_lo
	s_and_b32 s63, vcc_lo, exec_lo
	s_or_b32 s62, s62, s63
	s_or_b32 exec_lo, exec_lo, s16
	s_and_saveexec_b32 s16, s62
	s_cbranch_execnz .LBB6_1209
	s_branch .LBB6_1210
.LBB6_1808:                             ;   in Loop: Header=BB6_358 Depth=4
	s_or_saveexec_b32 s62, s62
	v_mov_b32_e32 v86, 0x7f800001
	s_xor_b32 exec_lo, exec_lo, s62
	s_cbranch_execz .LBB6_1222
.LBB6_1809:                             ;   in Loop: Header=BB6_358 Depth=4
	v_cmp_ne_u16_sdwa s63, v22, v2 src0_sel:BYTE_3 src1_sel:DWORD
	v_mov_b32_e32 v86, 0
	s_andn2_b32 s16, s16, exec_lo
	s_and_b32 s63, s63, exec_lo
	s_or_b32 s16, s16, s63
	s_or_b32 exec_lo, exec_lo, s62
	s_and_saveexec_b32 s62, s16
	s_cbranch_execnz .LBB6_1223
	s_branch .LBB6_1224
.LBB6_1810:                             ;   in Loop: Header=BB6_358 Depth=4
	s_or_saveexec_b32 s62, s62
	v_mov_b32_e32 v22, 0x7f800001
	s_xor_b32 exec_lo, exec_lo, s62
	s_cbranch_execz .LBB6_1228
.LBB6_1811:                             ;   in Loop: Header=BB6_358 Depth=4
	v_cmp_ne_u16_sdwa s63, v18, v2 src0_sel:BYTE_3 src1_sel:DWORD
	v_mov_b32_e32 v22, 0
	s_andn2_b32 s16, s16, exec_lo
	s_and_b32 s63, s63, exec_lo
	s_or_b32 s16, s16, s63
	s_or_b32 exec_lo, exec_lo, s62
	s_and_saveexec_b32 s62, s16
	s_cbranch_execnz .LBB6_1229
	s_branch .LBB6_1230
.LBB6_1812:                             ;   in Loop: Header=BB6_358 Depth=4
	s_or_saveexec_b32 s16, s16
	v_mov_b32_e32 v22, 0x7f800001
	s_xor_b32 exec_lo, exec_lo, s16
	s_cbranch_execz .LBB6_1242
.LBB6_1813:                             ;   in Loop: Header=BB6_358 Depth=4
	v_cmp_ne_u16_sdwa s63, v23, v2 src0_sel:BYTE_0 src1_sel:DWORD
	v_mov_b32_e32 v22, 0
	s_andn2_b32 s62, s62, exec_lo
	s_and_b32 s63, s63, exec_lo
	s_or_b32 s62, s62, s63
	s_or_b32 exec_lo, exec_lo, s16
	s_and_saveexec_b32 s16, s62
	s_cbranch_execnz .LBB6_1243
	s_branch .LBB6_1244
.LBB6_1814:                             ;   in Loop: Header=BB6_358 Depth=4
	s_or_saveexec_b32 s16, s16
	v_mov_b32_e32 v86, 0x7f800001
	s_xor_b32 exec_lo, exec_lo, s16
	s_cbranch_execz .LBB6_1248
.LBB6_1815:                             ;   in Loop: Header=BB6_358 Depth=4
	v_cmp_ne_u16_sdwa s63, v19, v2 src0_sel:BYTE_0 src1_sel:DWORD
	v_mov_b32_e32 v86, 0
	s_andn2_b32 s62, s62, exec_lo
	s_and_b32 s63, s63, exec_lo
	s_or_b32 s62, s62, s63
	s_or_b32 exec_lo, exec_lo, s16
	s_and_saveexec_b32 s16, s62
	s_cbranch_execnz .LBB6_1249
	s_branch .LBB6_1250
.LBB6_1816:                             ;   in Loop: Header=BB6_358 Depth=4
	s_or_saveexec_b32 s62, s62
	v_mov_b32_e32 v86, 0x7f800001
	s_xor_b32 exec_lo, exec_lo, s62
	s_cbranch_execz .LBB6_1262
.LBB6_1817:                             ;   in Loop: Header=BB6_358 Depth=4
	v_cmp_ne_u16_sdwa s63, v23, v2 src0_sel:BYTE_1 src1_sel:DWORD
	v_mov_b32_e32 v86, 0
	s_andn2_b32 s16, s16, exec_lo
	s_and_b32 s63, s63, exec_lo
	s_or_b32 s16, s16, s63
	s_or_b32 exec_lo, exec_lo, s62
	s_and_saveexec_b32 s62, s16
	s_cbranch_execnz .LBB6_1263
	s_branch .LBB6_1264
.LBB6_1818:                             ;   in Loop: Header=BB6_358 Depth=4
	s_or_saveexec_b32 s62, s62
	v_mov_b32_e32 v87, 0x7f800001
	s_xor_b32 exec_lo, exec_lo, s62
	s_cbranch_execz .LBB6_1268
.LBB6_1819:                             ;   in Loop: Header=BB6_358 Depth=4
	v_cmp_ne_u16_sdwa s63, v19, v2 src0_sel:BYTE_1 src1_sel:DWORD
	v_mov_b32_e32 v87, 0
	s_andn2_b32 s16, s16, exec_lo
	s_and_b32 s63, s63, exec_lo
	s_or_b32 s16, s16, s63
	s_or_b32 exec_lo, exec_lo, s62
	s_and_saveexec_b32 s62, s16
	s_cbranch_execnz .LBB6_1269
	s_branch .LBB6_1270
.LBB6_1820:                             ;   in Loop: Header=BB6_358 Depth=4
	s_or_saveexec_b32 s16, s16
	v_mov_b32_e32 v86, 0x7f800001
	s_xor_b32 exec_lo, exec_lo, s16
	s_cbranch_execz .LBB6_1282
.LBB6_1821:                             ;   in Loop: Header=BB6_358 Depth=4
	v_cmp_ne_u16_e32 vcc_lo, 0, v87
	v_mov_b32_e32 v86, 0
	s_andn2_b32 s62, s62, exec_lo
	s_and_b32 s63, vcc_lo, exec_lo
	s_or_b32 s62, s62, s63
	s_or_b32 exec_lo, exec_lo, s16
	s_and_saveexec_b32 s16, s62
	s_cbranch_execnz .LBB6_1283
	s_branch .LBB6_1284
.LBB6_1822:                             ;   in Loop: Header=BB6_358 Depth=4
	s_or_saveexec_b32 s16, s16
	v_mov_b32_e32 v87, 0x7f800001
	s_xor_b32 exec_lo, exec_lo, s16
	s_cbranch_execz .LBB6_1288
.LBB6_1823:                             ;   in Loop: Header=BB6_358 Depth=4
	v_cmp_ne_u16_e32 vcc_lo, 0, v98
	v_mov_b32_e32 v87, 0
	s_andn2_b32 s62, s62, exec_lo
	s_and_b32 s63, vcc_lo, exec_lo
	s_or_b32 s62, s62, s63
	s_or_b32 exec_lo, exec_lo, s16
	s_and_saveexec_b32 s16, s62
	s_cbranch_execnz .LBB6_1289
	s_branch .LBB6_1290
.LBB6_1824:                             ;   in Loop: Header=BB6_358 Depth=4
	s_or_saveexec_b32 s62, s62
	v_mov_b32_e32 v86, 0x7f800001
	s_xor_b32 exec_lo, exec_lo, s62
	s_cbranch_execz .LBB6_1302
.LBB6_1825:                             ;   in Loop: Header=BB6_358 Depth=4
	v_cmp_ne_u16_sdwa s63, v23, v2 src0_sel:BYTE_3 src1_sel:DWORD
	v_mov_b32_e32 v86, 0
	s_andn2_b32 s16, s16, exec_lo
	s_and_b32 s63, s63, exec_lo
	s_or_b32 s16, s16, s63
	s_or_b32 exec_lo, exec_lo, s62
	s_and_saveexec_b32 s62, s16
	s_cbranch_execnz .LBB6_1303
	s_branch .LBB6_1304
.LBB6_1826:                             ;   in Loop: Header=BB6_358 Depth=4
	s_or_saveexec_b32 s62, s62
	v_mov_b32_e32 v23, 0x7f800001
	s_xor_b32 exec_lo, exec_lo, s62
	s_cbranch_execz .LBB6_1308
.LBB6_1827:                             ;   in Loop: Header=BB6_358 Depth=4
	v_cmp_ne_u16_sdwa s63, v19, v2 src0_sel:BYTE_3 src1_sel:DWORD
	v_mov_b32_e32 v23, 0
	s_andn2_b32 s16, s16, exec_lo
	s_and_b32 s63, s63, exec_lo
	s_or_b32 s16, s16, s63
	s_or_b32 exec_lo, exec_lo, s62
	s_and_saveexec_b32 s62, s16
	s_cbranch_execnz .LBB6_1309
	s_branch .LBB6_1310
.LBB6_1828:                             ;   in Loop: Header=BB6_358 Depth=4
	s_or_saveexec_b32 s16, s16
	v_mov_b32_e32 v23, 0x7f800001
	s_xor_b32 exec_lo, exec_lo, s16
	s_cbranch_execz .LBB6_1322
.LBB6_1829:                             ;   in Loop: Header=BB6_358 Depth=4
	v_cmp_ne_u16_sdwa s63, v12, v2 src0_sel:BYTE_0 src1_sel:DWORD
	v_mov_b32_e32 v23, 0
	s_andn2_b32 s62, s62, exec_lo
	s_and_b32 s63, s63, exec_lo
	s_or_b32 s62, s62, s63
	s_or_b32 exec_lo, exec_lo, s16
	s_and_saveexec_b32 s16, s62
	s_cbranch_execnz .LBB6_1323
	s_branch .LBB6_1324
.LBB6_1830:                             ;   in Loop: Header=BB6_358 Depth=4
	s_or_saveexec_b32 s16, s16
	v_mov_b32_e32 v86, 0x7f800001
	s_xor_b32 exec_lo, exec_lo, s16
	s_cbranch_execz .LBB6_1328
.LBB6_1831:                             ;   in Loop: Header=BB6_358 Depth=4
	v_cmp_ne_u16_sdwa s63, v8, v2 src0_sel:BYTE_0 src1_sel:DWORD
	v_mov_b32_e32 v86, 0
	s_andn2_b32 s62, s62, exec_lo
	s_and_b32 s63, s63, exec_lo
	s_or_b32 s62, s62, s63
	s_or_b32 exec_lo, exec_lo, s16
	s_and_saveexec_b32 s16, s62
	s_cbranch_execnz .LBB6_1329
	s_branch .LBB6_1330
.LBB6_1832:                             ;   in Loop: Header=BB6_358 Depth=4
	s_or_saveexec_b32 s62, s62
	v_mov_b32_e32 v86, 0x7f800001
	s_xor_b32 exec_lo, exec_lo, s62
	s_cbranch_execz .LBB6_1342
.LBB6_1833:                             ;   in Loop: Header=BB6_358 Depth=4
	v_cmp_ne_u16_sdwa s63, v12, v2 src0_sel:BYTE_1 src1_sel:DWORD
	v_mov_b32_e32 v86, 0
	s_andn2_b32 s16, s16, exec_lo
	s_and_b32 s63, s63, exec_lo
	s_or_b32 s16, s16, s63
	s_or_b32 exec_lo, exec_lo, s62
	s_and_saveexec_b32 s62, s16
	s_cbranch_execnz .LBB6_1343
	s_branch .LBB6_1344
.LBB6_1834:                             ;   in Loop: Header=BB6_358 Depth=4
	s_or_saveexec_b32 s62, s62
	v_mov_b32_e32 v87, 0x7f800001
	s_xor_b32 exec_lo, exec_lo, s62
	s_cbranch_execz .LBB6_1348
.LBB6_1835:                             ;   in Loop: Header=BB6_358 Depth=4
	v_cmp_ne_u16_sdwa s63, v8, v2 src0_sel:BYTE_1 src1_sel:DWORD
	v_mov_b32_e32 v87, 0
	s_andn2_b32 s16, s16, exec_lo
	s_and_b32 s63, s63, exec_lo
	s_or_b32 s16, s16, s63
	s_or_b32 exec_lo, exec_lo, s62
	s_and_saveexec_b32 s62, s16
	s_cbranch_execnz .LBB6_1349
	s_branch .LBB6_1350
.LBB6_1836:                             ;   in Loop: Header=BB6_358 Depth=4
	s_or_saveexec_b32 s16, s16
	v_mov_b32_e32 v86, 0x7f800001
	s_xor_b32 exec_lo, exec_lo, s16
	s_cbranch_execz .LBB6_1362
.LBB6_1837:                             ;   in Loop: Header=BB6_358 Depth=4
	v_cmp_ne_u16_e32 vcc_lo, 0, v87
	v_mov_b32_e32 v86, 0
	s_andn2_b32 s62, s62, exec_lo
	s_and_b32 s63, vcc_lo, exec_lo
	s_or_b32 s62, s62, s63
	s_or_b32 exec_lo, exec_lo, s16
	s_and_saveexec_b32 s16, s62
	s_cbranch_execnz .LBB6_1363
	s_branch .LBB6_1364
.LBB6_1838:                             ;   in Loop: Header=BB6_358 Depth=4
	s_or_saveexec_b32 s16, s16
	v_mov_b32_e32 v87, 0x7f800001
	s_xor_b32 exec_lo, exec_lo, s16
	s_cbranch_execz .LBB6_1368
.LBB6_1839:                             ;   in Loop: Header=BB6_358 Depth=4
	v_cmp_ne_u16_e32 vcc_lo, 0, v99
	v_mov_b32_e32 v87, 0
	s_andn2_b32 s62, s62, exec_lo
	s_and_b32 s63, vcc_lo, exec_lo
	s_or_b32 s62, s62, s63
	s_or_b32 exec_lo, exec_lo, s16
	s_and_saveexec_b32 s16, s62
	s_cbranch_execnz .LBB6_1369
	s_branch .LBB6_1370
.LBB6_1840:                             ;   in Loop: Header=BB6_358 Depth=4
	s_or_saveexec_b32 s62, s62
	v_mov_b32_e32 v86, 0x7f800001
	s_xor_b32 exec_lo, exec_lo, s62
	s_cbranch_execz .LBB6_1382
.LBB6_1841:                             ;   in Loop: Header=BB6_358 Depth=4
	v_cmp_ne_u16_sdwa s63, v12, v2 src0_sel:BYTE_3 src1_sel:DWORD
	v_mov_b32_e32 v86, 0
	s_andn2_b32 s16, s16, exec_lo
	s_and_b32 s63, s63, exec_lo
	s_or_b32 s16, s16, s63
	s_or_b32 exec_lo, exec_lo, s62
	s_and_saveexec_b32 s62, s16
	s_cbranch_execnz .LBB6_1383
	s_branch .LBB6_1384
.LBB6_1842:                             ;   in Loop: Header=BB6_358 Depth=4
	s_or_saveexec_b32 s62, s62
	v_mov_b32_e32 v12, 0x7f800001
	s_xor_b32 exec_lo, exec_lo, s62
	s_cbranch_execz .LBB6_1388
.LBB6_1843:                             ;   in Loop: Header=BB6_358 Depth=4
	v_cmp_ne_u16_sdwa s63, v8, v2 src0_sel:BYTE_3 src1_sel:DWORD
	v_mov_b32_e32 v12, 0
	s_andn2_b32 s16, s16, exec_lo
	s_and_b32 s63, s63, exec_lo
	s_or_b32 s16, s16, s63
	s_or_b32 exec_lo, exec_lo, s62
	s_and_saveexec_b32 s62, s16
	s_cbranch_execnz .LBB6_1389
	s_branch .LBB6_1390
.LBB6_1844:                             ;   in Loop: Header=BB6_358 Depth=4
	s_or_saveexec_b32 s16, s16
	v_mov_b32_e32 v12, 0x7f800001
	s_xor_b32 exec_lo, exec_lo, s16
	s_cbranch_execz .LBB6_1402
.LBB6_1845:                             ;   in Loop: Header=BB6_358 Depth=4
	v_cmp_ne_u16_sdwa s63, v13, v2 src0_sel:BYTE_0 src1_sel:DWORD
	v_mov_b32_e32 v12, 0
	s_andn2_b32 s62, s62, exec_lo
	s_and_b32 s63, s63, exec_lo
	s_or_b32 s62, s62, s63
	s_or_b32 exec_lo, exec_lo, s16
	s_and_saveexec_b32 s16, s62
	s_cbranch_execnz .LBB6_1403
	s_branch .LBB6_1404
.LBB6_1846:                             ;   in Loop: Header=BB6_358 Depth=4
	s_or_saveexec_b32 s16, s16
	v_mov_b32_e32 v86, 0x7f800001
	s_xor_b32 exec_lo, exec_lo, s16
	s_cbranch_execz .LBB6_1408
.LBB6_1847:                             ;   in Loop: Header=BB6_358 Depth=4
	v_cmp_ne_u16_sdwa s63, v9, v2 src0_sel:BYTE_0 src1_sel:DWORD
	v_mov_b32_e32 v86, 0
	s_andn2_b32 s62, s62, exec_lo
	s_and_b32 s63, s63, exec_lo
	s_or_b32 s62, s62, s63
	s_or_b32 exec_lo, exec_lo, s16
	s_and_saveexec_b32 s16, s62
	s_cbranch_execnz .LBB6_1409
	s_branch .LBB6_1410
.LBB6_1848:                             ;   in Loop: Header=BB6_358 Depth=4
	s_or_saveexec_b32 s62, s62
	v_mov_b32_e32 v86, 0x7f800001
	s_xor_b32 exec_lo, exec_lo, s62
	s_cbranch_execz .LBB6_1422
.LBB6_1849:                             ;   in Loop: Header=BB6_358 Depth=4
	v_cmp_ne_u16_sdwa s63, v13, v2 src0_sel:BYTE_1 src1_sel:DWORD
	v_mov_b32_e32 v86, 0
	s_andn2_b32 s16, s16, exec_lo
	s_and_b32 s63, s63, exec_lo
	s_or_b32 s16, s16, s63
	s_or_b32 exec_lo, exec_lo, s62
	s_and_saveexec_b32 s62, s16
	s_cbranch_execnz .LBB6_1423
	s_branch .LBB6_1424
.LBB6_1850:                             ;   in Loop: Header=BB6_358 Depth=4
	s_or_saveexec_b32 s62, s62
	v_mov_b32_e32 v87, 0x7f800001
	s_xor_b32 exec_lo, exec_lo, s62
	s_cbranch_execz .LBB6_1428
.LBB6_1851:                             ;   in Loop: Header=BB6_358 Depth=4
	v_cmp_ne_u16_sdwa s63, v9, v2 src0_sel:BYTE_1 src1_sel:DWORD
	v_mov_b32_e32 v87, 0
	s_andn2_b32 s16, s16, exec_lo
	s_and_b32 s63, s63, exec_lo
	s_or_b32 s16, s16, s63
	s_or_b32 exec_lo, exec_lo, s62
	s_and_saveexec_b32 s62, s16
	s_cbranch_execnz .LBB6_1429
	s_branch .LBB6_1430
.LBB6_1852:                             ;   in Loop: Header=BB6_358 Depth=4
	s_or_saveexec_b32 s16, s16
	v_mov_b32_e32 v86, 0x7f800001
	s_xor_b32 exec_lo, exec_lo, s16
	s_cbranch_execz .LBB6_1442
.LBB6_1853:                             ;   in Loop: Header=BB6_358 Depth=4
	v_cmp_ne_u16_e32 vcc_lo, 0, v87
	v_mov_b32_e32 v86, 0
	s_andn2_b32 s62, s62, exec_lo
	s_and_b32 s63, vcc_lo, exec_lo
	s_or_b32 s62, s62, s63
	s_or_b32 exec_lo, exec_lo, s16
	s_and_saveexec_b32 s16, s62
	s_cbranch_execnz .LBB6_1443
	s_branch .LBB6_1444
.LBB6_1854:                             ;   in Loop: Header=BB6_358 Depth=4
	s_or_saveexec_b32 s16, s16
	v_mov_b32_e32 v87, 0x7f800001
	s_xor_b32 exec_lo, exec_lo, s16
	s_cbranch_execz .LBB6_1448
.LBB6_1855:                             ;   in Loop: Header=BB6_358 Depth=4
	v_cmp_ne_u16_e32 vcc_lo, 0, v46
	v_mov_b32_e32 v87, 0
	s_andn2_b32 s62, s62, exec_lo
	s_and_b32 s63, vcc_lo, exec_lo
	s_or_b32 s62, s62, s63
	s_or_b32 exec_lo, exec_lo, s16
	s_and_saveexec_b32 s16, s62
	s_cbranch_execnz .LBB6_1449
	s_branch .LBB6_1450
.LBB6_1856:                             ;   in Loop: Header=BB6_358 Depth=4
	s_or_saveexec_b32 s62, s62
	v_mov_b32_e32 v86, 0x7f800001
	s_xor_b32 exec_lo, exec_lo, s62
	s_cbranch_execz .LBB6_1462
.LBB6_1857:                             ;   in Loop: Header=BB6_358 Depth=4
	v_cmp_ne_u16_sdwa s63, v13, v2 src0_sel:BYTE_3 src1_sel:DWORD
	v_mov_b32_e32 v86, 0
	s_andn2_b32 s16, s16, exec_lo
	s_and_b32 s63, s63, exec_lo
	s_or_b32 s16, s16, s63
	s_or_b32 exec_lo, exec_lo, s62
	s_and_saveexec_b32 s62, s16
	s_cbranch_execnz .LBB6_1463
	s_branch .LBB6_1464
.LBB6_1858:                             ;   in Loop: Header=BB6_358 Depth=4
	s_or_saveexec_b32 s62, s62
	v_mov_b32_e32 v13, 0x7f800001
	s_xor_b32 exec_lo, exec_lo, s62
	s_cbranch_execz .LBB6_1468
.LBB6_1859:                             ;   in Loop: Header=BB6_358 Depth=4
	v_cmp_ne_u16_sdwa s63, v9, v2 src0_sel:BYTE_3 src1_sel:DWORD
	v_mov_b32_e32 v13, 0
	s_andn2_b32 s16, s16, exec_lo
	s_and_b32 s63, s63, exec_lo
	s_or_b32 s16, s16, s63
	s_or_b32 exec_lo, exec_lo, s62
	s_and_saveexec_b32 s62, s16
	s_cbranch_execnz .LBB6_1469
	s_branch .LBB6_1470
.LBB6_1860:                             ;   in Loop: Header=BB6_358 Depth=4
	s_or_saveexec_b32 s16, s16
	v_mov_b32_e32 v13, 0x7f800001
	s_xor_b32 exec_lo, exec_lo, s16
	s_cbranch_execz .LBB6_1482
.LBB6_1861:                             ;   in Loop: Header=BB6_358 Depth=4
	v_cmp_ne_u16_sdwa s63, v14, v2 src0_sel:BYTE_0 src1_sel:DWORD
	v_mov_b32_e32 v13, 0
	s_andn2_b32 s62, s62, exec_lo
	s_and_b32 s63, s63, exec_lo
	s_or_b32 s62, s62, s63
	s_or_b32 exec_lo, exec_lo, s16
	s_and_saveexec_b32 s16, s62
	s_cbranch_execnz .LBB6_1483
	s_branch .LBB6_1484
.LBB6_1862:                             ;   in Loop: Header=BB6_358 Depth=4
	s_or_saveexec_b32 s16, s16
	v_mov_b32_e32 v86, 0x7f800001
	s_xor_b32 exec_lo, exec_lo, s16
	s_cbranch_execz .LBB6_1488
.LBB6_1863:                             ;   in Loop: Header=BB6_358 Depth=4
	v_cmp_ne_u16_sdwa s63, v10, v2 src0_sel:BYTE_0 src1_sel:DWORD
	v_mov_b32_e32 v86, 0
	s_andn2_b32 s62, s62, exec_lo
	s_and_b32 s63, s63, exec_lo
	s_or_b32 s62, s62, s63
	s_or_b32 exec_lo, exec_lo, s16
	s_and_saveexec_b32 s16, s62
	s_cbranch_execnz .LBB6_1489
	s_branch .LBB6_1490
.LBB6_1864:                             ;   in Loop: Header=BB6_358 Depth=4
	s_or_saveexec_b32 s62, s62
	v_mov_b32_e32 v86, 0x7f800001
	s_xor_b32 exec_lo, exec_lo, s62
	s_cbranch_execz .LBB6_1502
.LBB6_1865:                             ;   in Loop: Header=BB6_358 Depth=4
	v_cmp_ne_u16_sdwa s63, v14, v2 src0_sel:BYTE_1 src1_sel:DWORD
	v_mov_b32_e32 v86, 0
	s_andn2_b32 s16, s16, exec_lo
	s_and_b32 s63, s63, exec_lo
	s_or_b32 s16, s16, s63
	s_or_b32 exec_lo, exec_lo, s62
	s_and_saveexec_b32 s62, s16
	s_cbranch_execnz .LBB6_1503
	s_branch .LBB6_1504
.LBB6_1866:                             ;   in Loop: Header=BB6_358 Depth=4
	s_or_saveexec_b32 s62, s62
	v_mov_b32_e32 v87, 0x7f800001
	s_xor_b32 exec_lo, exec_lo, s62
	s_cbranch_execz .LBB6_1508
.LBB6_1867:                             ;   in Loop: Header=BB6_358 Depth=4
	v_cmp_ne_u16_sdwa s63, v10, v2 src0_sel:BYTE_1 src1_sel:DWORD
	v_mov_b32_e32 v87, 0
	s_andn2_b32 s16, s16, exec_lo
	s_and_b32 s63, s63, exec_lo
	s_or_b32 s16, s16, s63
	s_or_b32 exec_lo, exec_lo, s62
	s_and_saveexec_b32 s62, s16
	s_cbranch_execnz .LBB6_1509
	s_branch .LBB6_1510
.LBB6_1868:                             ;   in Loop: Header=BB6_358 Depth=4
	s_or_saveexec_b32 s16, s16
	v_mov_b32_e32 v86, 0x7f800001
	s_xor_b32 exec_lo, exec_lo, s16
	s_cbranch_execz .LBB6_1522
.LBB6_1869:                             ;   in Loop: Header=BB6_358 Depth=4
	v_cmp_ne_u16_e32 vcc_lo, 0, v87
	v_mov_b32_e32 v86, 0
	s_andn2_b32 s62, s62, exec_lo
	s_and_b32 s63, vcc_lo, exec_lo
	s_or_b32 s62, s62, s63
	s_or_b32 exec_lo, exec_lo, s16
	s_and_saveexec_b32 s16, s62
	s_cbranch_execnz .LBB6_1523
	s_branch .LBB6_1524
.LBB6_1870:                             ;   in Loop: Header=BB6_358 Depth=4
	s_or_saveexec_b32 s16, s16
	v_mov_b32_e32 v87, 0x7f800001
	s_xor_b32 exec_lo, exec_lo, s16
	s_cbranch_execz .LBB6_1528
.LBB6_1871:                             ;   in Loop: Header=BB6_358 Depth=4
	v_cmp_ne_u16_e32 vcc_lo, 0, v58
	v_mov_b32_e32 v87, 0
	s_andn2_b32 s62, s62, exec_lo
	s_and_b32 s63, vcc_lo, exec_lo
	s_or_b32 s62, s62, s63
	s_or_b32 exec_lo, exec_lo, s16
	s_and_saveexec_b32 s16, s62
	s_cbranch_execnz .LBB6_1529
	s_branch .LBB6_1530
.LBB6_1872:                             ;   in Loop: Header=BB6_358 Depth=4
	s_or_saveexec_b32 s62, s62
	v_mov_b32_e32 v86, 0x7f800001
	s_xor_b32 exec_lo, exec_lo, s62
	s_cbranch_execz .LBB6_1542
.LBB6_1873:                             ;   in Loop: Header=BB6_358 Depth=4
	v_cmp_ne_u16_sdwa s63, v14, v2 src0_sel:BYTE_3 src1_sel:DWORD
	v_mov_b32_e32 v86, 0
	s_andn2_b32 s16, s16, exec_lo
	s_and_b32 s63, s63, exec_lo
	s_or_b32 s16, s16, s63
	s_or_b32 exec_lo, exec_lo, s62
	s_and_saveexec_b32 s62, s16
	s_cbranch_execnz .LBB6_1543
	s_branch .LBB6_1544
.LBB6_1874:                             ;   in Loop: Header=BB6_358 Depth=4
	s_or_saveexec_b32 s62, s62
	v_mov_b32_e32 v14, 0x7f800001
	s_xor_b32 exec_lo, exec_lo, s62
	s_cbranch_execz .LBB6_1548
.LBB6_1875:                             ;   in Loop: Header=BB6_358 Depth=4
	v_cmp_ne_u16_sdwa s63, v10, v2 src0_sel:BYTE_3 src1_sel:DWORD
	v_mov_b32_e32 v14, 0
	s_andn2_b32 s16, s16, exec_lo
	s_and_b32 s63, s63, exec_lo
	s_or_b32 s16, s16, s63
	s_or_b32 exec_lo, exec_lo, s62
	s_and_saveexec_b32 s62, s16
	s_cbranch_execnz .LBB6_1549
	s_branch .LBB6_1550
.LBB6_1876:                             ;   in Loop: Header=BB6_358 Depth=4
	s_or_saveexec_b32 s16, s16
	v_mov_b32_e32 v14, 0x7f800001
	s_xor_b32 exec_lo, exec_lo, s16
	s_cbranch_execz .LBB6_1562
.LBB6_1877:                             ;   in Loop: Header=BB6_358 Depth=4
	v_cmp_ne_u16_sdwa s63, v15, v2 src0_sel:BYTE_0 src1_sel:DWORD
	v_mov_b32_e32 v14, 0
	s_andn2_b32 s62, s62, exec_lo
	s_and_b32 s63, s63, exec_lo
	s_or_b32 s62, s62, s63
	s_or_b32 exec_lo, exec_lo, s16
	s_and_saveexec_b32 s16, s62
	s_cbranch_execnz .LBB6_1563
	s_branch .LBB6_1564
.LBB6_1878:                             ;   in Loop: Header=BB6_358 Depth=4
	s_or_saveexec_b32 s16, s16
	v_mov_b32_e32 v86, 0x7f800001
	s_xor_b32 exec_lo, exec_lo, s16
	s_cbranch_execz .LBB6_1568
.LBB6_1879:                             ;   in Loop: Header=BB6_358 Depth=4
	v_cmp_ne_u16_sdwa s63, v11, v2 src0_sel:BYTE_0 src1_sel:DWORD
	v_mov_b32_e32 v86, 0
	s_andn2_b32 s62, s62, exec_lo
	s_and_b32 s63, s63, exec_lo
	s_or_b32 s62, s62, s63
	s_or_b32 exec_lo, exec_lo, s16
	s_and_saveexec_b32 s16, s62
	s_cbranch_execnz .LBB6_1569
	s_branch .LBB6_1570
.LBB6_1880:                             ;   in Loop: Header=BB6_358 Depth=4
	s_or_saveexec_b32 s62, s62
	v_mov_b32_e32 v86, 0x7f800001
	s_xor_b32 exec_lo, exec_lo, s62
	s_cbranch_execz .LBB6_1582
.LBB6_1881:                             ;   in Loop: Header=BB6_358 Depth=4
	v_cmp_ne_u16_sdwa s63, v15, v2 src0_sel:BYTE_1 src1_sel:DWORD
	v_mov_b32_e32 v86, 0
	s_andn2_b32 s16, s16, exec_lo
	s_and_b32 s63, s63, exec_lo
	s_or_b32 s16, s16, s63
	s_or_b32 exec_lo, exec_lo, s62
	s_and_saveexec_b32 s62, s16
	s_cbranch_execnz .LBB6_1583
	s_branch .LBB6_1584
.LBB6_1882:                             ;   in Loop: Header=BB6_358 Depth=4
	s_or_saveexec_b32 s62, s62
	v_mov_b32_e32 v87, 0x7f800001
	s_xor_b32 exec_lo, exec_lo, s62
	s_cbranch_execz .LBB6_1588
.LBB6_1883:                             ;   in Loop: Header=BB6_358 Depth=4
	v_cmp_ne_u16_sdwa s63, v11, v2 src0_sel:BYTE_1 src1_sel:DWORD
	v_mov_b32_e32 v87, 0
	s_andn2_b32 s16, s16, exec_lo
	s_and_b32 s63, s63, exec_lo
	s_or_b32 s16, s16, s63
	s_or_b32 exec_lo, exec_lo, s62
	s_and_saveexec_b32 s62, s16
	s_cbranch_execnz .LBB6_1589
	s_branch .LBB6_1590
.LBB6_1884:                             ;   in Loop: Header=BB6_358 Depth=4
	s_or_saveexec_b32 s16, s16
	v_mov_b32_e32 v86, 0x7f800001
	s_xor_b32 exec_lo, exec_lo, s16
	s_cbranch_execz .LBB6_1602
.LBB6_1885:                             ;   in Loop: Header=BB6_358 Depth=4
	v_cmp_ne_u16_e32 vcc_lo, 0, v87
	v_mov_b32_e32 v86, 0
	s_andn2_b32 s62, s62, exec_lo
	s_and_b32 s63, vcc_lo, exec_lo
	s_or_b32 s62, s62, s63
	s_or_b32 exec_lo, exec_lo, s16
	s_and_saveexec_b32 s16, s62
	s_cbranch_execnz .LBB6_1603
	s_branch .LBB6_1604
.LBB6_1886:                             ;   in Loop: Header=BB6_358 Depth=4
	s_or_saveexec_b32 s16, s16
	v_mov_b32_e32 v87, 0x7f800001
	s_xor_b32 exec_lo, exec_lo, s16
	s_cbranch_execz .LBB6_1608
.LBB6_1887:                             ;   in Loop: Header=BB6_358 Depth=4
	v_cmp_ne_u16_e32 vcc_lo, 0, v79
	v_mov_b32_e32 v87, 0
	s_andn2_b32 s62, s62, exec_lo
	s_and_b32 s63, vcc_lo, exec_lo
	s_or_b32 s62, s62, s63
	s_or_b32 exec_lo, exec_lo, s16
	s_and_saveexec_b32 s16, s62
	s_cbranch_execnz .LBB6_1609
	s_branch .LBB6_1610
.LBB6_1888:                             ;   in Loop: Header=BB6_358 Depth=4
	s_or_saveexec_b32 s62, s62
	v_mov_b32_e32 v86, 0x7f800001
	s_xor_b32 exec_lo, exec_lo, s62
	s_cbranch_execz .LBB6_1622
.LBB6_1889:                             ;   in Loop: Header=BB6_358 Depth=4
	v_cmp_ne_u16_sdwa s63, v15, v2 src0_sel:BYTE_3 src1_sel:DWORD
	v_mov_b32_e32 v86, 0
	s_andn2_b32 s16, s16, exec_lo
	s_and_b32 s63, s63, exec_lo
	s_or_b32 s16, s16, s63
	s_or_b32 exec_lo, exec_lo, s62
	s_and_saveexec_b32 s62, s16
	s_cbranch_execnz .LBB6_1623
	s_branch .LBB6_1624
.LBB6_1890:                             ;   in Loop: Header=BB6_358 Depth=4
	s_or_saveexec_b32 s62, s62
	v_mov_b32_e32 v15, 0x7f800001
	s_xor_b32 exec_lo, exec_lo, s62
	s_cbranch_execz .LBB6_1628
.LBB6_1891:                             ;   in Loop: Header=BB6_358 Depth=4
	v_cmp_ne_u16_sdwa s63, v11, v2 src0_sel:BYTE_3 src1_sel:DWORD
	v_mov_b32_e32 v15, 0
	s_andn2_b32 s16, s16, exec_lo
	s_and_b32 s63, s63, exec_lo
	s_or_b32 s16, s16, s63
	s_or_b32 exec_lo, exec_lo, s62
	s_and_saveexec_b32 s62, s16
	s_cbranch_execnz .LBB6_1629
	s_branch .LBB6_1630
.LBB6_1892:                             ;   in Loop: Header=BB6_274 Depth=3
	s_or_b32 exec_lo, exec_lo, s61
.LBB6_1893:                             ;   in Loop: Header=BB6_274 Depth=3
	s_or_b32 exec_lo, exec_lo, s17
	v_lshlrev_b32_e32 v1, 11, v110
	v_mov_b32_e32 v4, 0
	s_mov_b32 s16, 0
	s_mov_b32 s61, exec_lo
                                        ; implicit-def: $vgpr5
                                        ; implicit-def: $vgpr14
                                        ; implicit-def: $vgpr8
	v_cmpx_ne_u32_e64 v3, v1
	s_cbranch_execz .LBB6_2285
; %bb.1894:                             ;   in Loop: Header=BB6_274 Depth=3
	buffer_load_dword v5, off, s[0:3], s33 offset:200 ; 4-byte Folded Reload
	v_lshlrev_b32_e32 v4, 5, v101
	v_sub_nc_u32_e32 v8, v3, v1
	s_mov_b32 s62, exec_lo
	v_ashrrev_i32_e32 v9, 31, v8
	v_lshrrev_b32_e32 v9, 23, v9
	v_add_nc_u32_e32 v9, v8, v9
	v_and_b32_e32 v22, 0xfffffe00, v9
	v_ashrrev_i32_e32 v9, 9, v9
	v_sub_nc_u32_e32 v24, v8, v22
	v_cmp_lt_i32_e32 vcc_lo, 15, v24
	v_add_co_ci_u32_e64 v9, null, 0, v9, vcc_lo
	s_waitcnt vmcnt(0)
	v_sub_nc_u32_e32 v4, v5, v4
	v_ashrrev_i32_e32 v5, 31, v4
	v_lshrrev_b32_e32 v5, 27, v5
	v_add_nc_u32_e32 v5, v4, v5
	v_and_b32_e32 v10, 0xffffffe0, v5
	v_sub_nc_u32_e32 v23, v4, v10
	v_ashrrev_i32_e32 v10, 5, v5
	v_lshlrev_b32_e32 v4, 4, v23
	v_sub_nc_u32_e32 v25, v9, v10
	v_lshl_add_u32 v5, v10, 9, v4
	v_sub_nc_u32_e32 v4, v8, v5
	v_cmpx_lt_i32_e32 15, v4
	s_cbranch_execz .LBB6_2282
; %bb.1895:                             ;   in Loop: Header=BB6_274 Depth=3
	s_trap 2
	ds_read_b64 v[8:9], v0
	v_add_nc_u32_e32 v5, v5, v1
	s_mov_b32 s63, 0
	v_ashrrev_i32_e32 v10, 31, v5
	v_add_co_u32 v16, s16, v5, v112
	v_add_co_ci_u32_e64 v17, null, v10, v113, s16
	s_waitcnt lgkmcnt(0)
	v_add_co_u32 v18, s16, v8, v5
	v_add_co_ci_u32_e64 v19, null, v9, v10, s16
	v_add_co_u32 v20, s16, v5, v114
	v_add_co_ci_u32_e64 v21, null, v10, v115, s16
	s_branch .LBB6_1899
.LBB6_1896:                             ;   in Loop: Header=BB6_1899 Depth=4
	s_or_b32 exec_lo, exec_lo, s16
	v_lshrrev_b32_e32 v34, 21, v34
	v_min_i32_e32 v35, 31, v15
	v_cmp_gt_i32_e64 s16, 32, v15
	v_and_b32_sdwa v11, v11, v60 dst_sel:DWORD dst_unused:UNUSED_PAD src0_sel:BYTE_3 src1_sel:DWORD
	v_lshlrev_b32_e32 v35, 2, v35
	v_cndmask_b32_e64 v34, 3, v34, s16
	v_and_b32_e32 v35, 0xfc, v35
	v_and_b32_e32 v36, 3, v34
	v_or_b32_e32 v15, v15, v34
	v_or3_b32 v11, v11, v35, v36
	v_cmp_ne_u32_e64 s16, 0, v15
	v_lshlrev_b32_e32 v11, 8, v11
	v_cndmask_b32_e64 v15, 0, v11, s16
.LBB6_1897:                             ;   in Loop: Header=BB6_1899 Depth=4
	s_or_b32 exec_lo, exec_lo, s73
.LBB6_1898:                             ;   in Loop: Header=BB6_1899 Depth=4
	s_or_b32 exec_lo, exec_lo, s72
	v_or_b32_sdwa v9, v9, v29 dst_sel:WORD_1 dst_unused:UNUSED_PAD src0_sel:DWORD src1_sel:DWORD
	v_or_b32_sdwa v8, v8, v27 dst_sel:WORD_1 dst_unused:UNUSED_PAD src0_sel:DWORD src1_sel:DWORD
	;; [unrolled: 1-line block ×4, first 2 shown]
	v_sub_nc_u32_e32 v4, v4, v75
	v_or3_b32 v9, v28, v12, v9
	v_or3_b32 v8, v26, v5, v8
	;; [unrolled: 1-line block ×4, first 2 shown]
	v_add_co_u32 v16, s16, v16, v75
	v_add_co_ci_u32_e64 v17, null, 0, v17, s16
	v_add_co_u32 v18, s16, v18, v75
	global_store_dwordx4 v[20:21], v[8:11], off glc slc
	v_add_co_ci_u32_e64 v19, null, 0, v19, s16
	v_cmp_gt_i32_e64 s16, 16, v4
	v_add_co_u32 v20, s17, v20, v75
	v_add_co_ci_u32_e64 v21, null, 0, v21, s17
	v_sub_nc_u32_e32 v25, v25, v47
	s_or_b32 s63, s16, s63
	s_andn2_b32 exec_lo, exec_lo, s63
	s_cbranch_execz .LBB6_2281
.LBB6_1899:                             ;   Parent Loop BB6_47 Depth=1
                                        ;     Parent Loop BB6_271 Depth=2
                                        ;       Parent Loop BB6_274 Depth=3
                                        ; =>      This Inner Loop Header: Depth=4
	global_load_dwordx4 v[12:15], v[16:17], off slc
	global_load_dwordx4 v[8:11], v[18:19], off slc
	s_mov_b32 s16, 0
	s_waitcnt vmcnt(1)
	v_cmp_gt_i16_sdwa s17, v12, v59 src0_sel:BYTE_0 src1_sel:DWORD
	s_and_saveexec_b32 s72, s17
	s_xor_b32 s17, exec_lo, s72
	s_cbranch_execz .LBB6_2217
; %bb.1900:                             ;   in Loop: Header=BB6_1899 Depth=4
	v_cmp_eq_u16_sdwa s73, v12, v60 src0_sel:BYTE_0 src1_sel:DWORD
	s_mov_b32 s16, -1
	s_and_saveexec_b32 s72, s73
; %bb.1901:                             ;   in Loop: Header=BB6_1899 Depth=4
	s_xor_b32 s16, exec_lo, -1
; %bb.1902:                             ;   in Loop: Header=BB6_1899 Depth=4
	s_or_b32 exec_lo, exec_lo, s72
	s_and_b32 s16, s16, exec_lo
	s_or_saveexec_b32 s17, s17
	v_mov_b32_e32 v5, 0x7f800001
	s_xor_b32 exec_lo, exec_lo, s17
	s_cbranch_execnz .LBB6_2218
.LBB6_1903:                             ;   in Loop: Header=BB6_1899 Depth=4
	s_or_b32 exec_lo, exec_lo, s17
	s_and_saveexec_b32 s17, s16
	s_cbranch_execz .LBB6_1905
.LBB6_1904:                             ;   in Loop: Header=BB6_1899 Depth=4
	v_and_b32_e32 v5, 3, v12
	v_bfe_u32 v28, v12, 2, 5
	v_lshlrev_b32_e32 v29, 24, v12
	v_ffbh_u32_e32 v26, v5
	v_cmp_eq_u32_e64 s16, 0, v28
	v_min_u32_e32 v26, 32, v26
	v_subrev_nc_u32_e32 v27, 29, v26
	v_sub_nc_u32_e32 v26, 30, v26
	v_lshlrev_b32_e32 v27, v27, v12
	v_cndmask_b32_e64 v26, v28, v26, s16
	v_and_b32_e32 v27, 3, v27
	v_lshl_add_u32 v26, v26, 23, 0x37800000
	v_cndmask_b32_e64 v5, v5, v27, s16
	v_and_b32_e32 v27, 0x80000000, v29
	v_lshlrev_b32_e32 v5, 21, v5
	v_or3_b32 v5, v27, v26, v5
.LBB6_1905:                             ;   in Loop: Header=BB6_1899 Depth=4
	s_or_b32 exec_lo, exec_lo, s17
	s_waitcnt vmcnt(0)
	v_cmp_gt_i16_sdwa s17, v8, v59 src0_sel:BYTE_0 src1_sel:DWORD
	s_mov_b32 s16, 0
	s_and_saveexec_b32 s72, s17
	s_xor_b32 s17, exec_lo, s72
	s_cbranch_execz .LBB6_2219
; %bb.1906:                             ;   in Loop: Header=BB6_1899 Depth=4
	v_cmp_eq_u16_sdwa s73, v8, v60 src0_sel:BYTE_0 src1_sel:DWORD
	s_mov_b32 s16, -1
	s_and_saveexec_b32 s72, s73
; %bb.1907:                             ;   in Loop: Header=BB6_1899 Depth=4
	s_xor_b32 s16, exec_lo, -1
; %bb.1908:                             ;   in Loop: Header=BB6_1899 Depth=4
	s_or_b32 exec_lo, exec_lo, s72
	s_and_b32 s16, s16, exec_lo
	s_or_saveexec_b32 s17, s17
	v_mov_b32_e32 v26, 0x7f800001
	s_xor_b32 exec_lo, exec_lo, s17
	s_cbranch_execnz .LBB6_2220
.LBB6_1909:                             ;   in Loop: Header=BB6_1899 Depth=4
	s_or_b32 exec_lo, exec_lo, s17
	s_and_saveexec_b32 s17, s16
	s_cbranch_execz .LBB6_1911
.LBB6_1910:                             ;   in Loop: Header=BB6_1899 Depth=4
	v_and_b32_e32 v26, 3, v8
	v_bfe_u32 v29, v8, 2, 5
	v_lshlrev_b32_e32 v30, 24, v8
	v_ffbh_u32_e32 v27, v26
	v_cmp_eq_u32_e64 s16, 0, v29
	v_min_u32_e32 v27, 32, v27
	v_subrev_nc_u32_e32 v28, 29, v27
	v_sub_nc_u32_e32 v27, 30, v27
	v_lshlrev_b32_e32 v28, v28, v8
	v_cndmask_b32_e64 v27, v29, v27, s16
	v_and_b32_e32 v28, 3, v28
	v_lshl_add_u32 v27, v27, 23, 0x37800000
	v_cndmask_b32_e64 v26, v26, v28, s16
	v_and_b32_e32 v28, 0x80000000, v30
	v_lshlrev_b32_e32 v26, 21, v26
	v_or3_b32 v26, v28, v27, v26
.LBB6_1911:                             ;   in Loop: Header=BB6_1899 Depth=4
	s_or_b32 exec_lo, exec_lo, s17
	v_mul_f32_e32 v26, v5, v26
	v_and_b32_e32 v5, 0x7f800000, v26
	v_cmp_ne_u32_e64 s16, 0x7f800000, v5
	v_mov_b32_e32 v5, 0x80
	s_and_saveexec_b32 s72, s16
	s_cbranch_execz .LBB6_1919
; %bb.1912:                             ;   in Loop: Header=BB6_1899 Depth=4
	v_mov_b32_e32 v5, 0
	s_mov_b32 s73, exec_lo
	v_cmpx_ne_u32_e32 0, v26
	s_cbranch_execz .LBB6_1918
; %bb.1913:                             ;   in Loop: Header=BB6_1899 Depth=4
	v_bfe_u32 v5, v26, 23, 8
	v_and_b32_e32 v27, 0x7fffff, v26
	v_sub_nc_u32_e32 v28, 0x70, v5
	v_cmp_gt_u32_e64 s16, 0x71, v5
	v_or_b32_e32 v29, 0x800000, v27
	v_cndmask_b32_e64 v28, 0, v28, s16
	v_cmp_eq_u32_e64 s16, 0, v5
	v_add_nc_u32_e32 v5, 0xffffff91, v5
	v_cndmask_b32_e64 v28, v28, 0x6f, s16
	v_cndmask_b32_e64 v27, v29, v27, s16
	;; [unrolled: 1-line block ×3, first 2 shown]
	v_lshl_add_u32 v29, 0x200000, v28, -1
	v_lshrrev_b32_e32 v30, v28, v27
	v_lshlrev_b32_e64 v32, v28, 0x100000
	v_add_nc_u32_e32 v28, v28, v5
	v_and_b32_e32 v27, v29, v27
	v_bfe_u32 v31, v30, 21, 1
	v_cmp_eq_u32_e64 s17, v27, v32
	v_add_nc_u32_e32 v29, -1, v31
	v_cndmask_b32_e64 v27, 0, v29, s17
	v_lshrrev_b32_e32 v29, 23, v30
	s_mov_b32 s17, exec_lo
	v_add_nc_u32_e32 v27, v27, v30
	v_xor_b32_e32 v29, 1, v29
	v_and_b32_e32 v5, 0x1fffff, v27
	v_add_nc_u32_e32 v27, v5, v30
                                        ; implicit-def: $vgpr5
	v_cmpx_ne_u32_e64 v28, v29
	s_xor_b32 s17, exec_lo, s17
; %bb.1914:                             ;   in Loop: Header=BB6_1899 Depth=4
	v_cmp_lt_u32_e64 s16, 0xffffff, v27
	v_sub_nc_u32_e32 v5, v28, v29
	v_cndmask_b32_e64 v28, 0, 1, s16
	v_add_co_ci_u32_e64 v5, null, 0, v5, s16
	v_lshrrev_b32_e32 v27, v28, v27
; %bb.1915:                             ;   in Loop: Header=BB6_1899 Depth=4
	s_andn2_saveexec_b32 s16, s17
; %bb.1916:                             ;   in Loop: Header=BB6_1899 Depth=4
	v_bfe_u32 v5, v27, 23, 1
; %bb.1917:                             ;   in Loop: Header=BB6_1899 Depth=4
	s_or_b32 exec_lo, exec_lo, s16
	v_lshrrev_b32_e32 v27, 21, v27
	v_min_i32_e32 v28, 31, v5
	v_cmp_gt_i32_e64 s16, 32, v5
	v_and_b32_sdwa v26, v26, v60 dst_sel:DWORD dst_unused:UNUSED_PAD src0_sel:BYTE_3 src1_sel:DWORD
	v_lshlrev_b32_e32 v28, 2, v28
	v_cndmask_b32_e64 v27, 3, v27, s16
	v_and_b32_e32 v28, 0xfc, v28
	v_and_b32_e32 v29, 3, v27
	v_or_b32_e32 v5, v5, v27
	v_or3_b32 v26, v28, v26, v29
	v_cmp_ne_u32_e64 s16, 0, v5
	v_cndmask_b32_e64 v5, 0, v26, s16
.LBB6_1918:                             ;   in Loop: Header=BB6_1899 Depth=4
	s_or_b32 exec_lo, exec_lo, s73
.LBB6_1919:                             ;   in Loop: Header=BB6_1899 Depth=4
	s_or_b32 exec_lo, exec_lo, s72
	v_cmp_gt_i16_sdwa s17, v12, v59 src0_sel:BYTE_1 src1_sel:DWORD
	s_mov_b32 s16, 0
	s_and_saveexec_b32 s72, s17
	s_xor_b32 s17, exec_lo, s72
	s_cbranch_execz .LBB6_2221
; %bb.1920:                             ;   in Loop: Header=BB6_1899 Depth=4
	v_cmp_eq_u16_sdwa s73, v12, v60 src0_sel:BYTE_1 src1_sel:DWORD
	s_mov_b32 s16, -1
	s_and_saveexec_b32 s72, s73
; %bb.1921:                             ;   in Loop: Header=BB6_1899 Depth=4
	s_xor_b32 s16, exec_lo, -1
; %bb.1922:                             ;   in Loop: Header=BB6_1899 Depth=4
	s_or_b32 exec_lo, exec_lo, s72
	s_and_b32 s16, s16, exec_lo
	s_or_saveexec_b32 s17, s17
	v_mov_b32_e32 v26, 0x7f800001
	s_xor_b32 exec_lo, exec_lo, s17
	s_cbranch_execnz .LBB6_2222
.LBB6_1923:                             ;   in Loop: Header=BB6_1899 Depth=4
	s_or_b32 exec_lo, exec_lo, s17
	s_and_saveexec_b32 s17, s16
	s_cbranch_execz .LBB6_1925
.LBB6_1924:                             ;   in Loop: Header=BB6_1899 Depth=4
	v_and_b32_sdwa v26, v61, v12 dst_sel:DWORD dst_unused:UNUSED_PAD src0_sel:DWORD src1_sel:BYTE_1
	v_and_b32_e32 v27, 3, v26
	v_bfe_u32 v30, v26, 2, 5
	v_ffbh_u32_e32 v28, v27
	v_cmp_eq_u32_e64 s16, 0, v30
	v_min_u32_e32 v28, 32, v28
	v_subrev_nc_u32_e32 v29, 29, v28
	v_sub_nc_u32_e32 v28, 30, v28
	v_lshlrev_b32_e32 v26, v29, v26
	v_lshlrev_b32_sdwa v29, v62, v12 dst_sel:DWORD dst_unused:UNUSED_PAD src0_sel:DWORD src1_sel:BYTE_1
	v_cndmask_b32_e64 v28, v30, v28, s16
	v_and_b32_e32 v26, 3, v26
	v_lshl_add_u32 v28, v28, 23, 0x37800000
	v_cndmask_b32_e64 v26, v27, v26, s16
	v_and_b32_e32 v27, 0x80000000, v29
	v_lshlrev_b32_e32 v26, 21, v26
	v_or3_b32 v26, v27, v28, v26
.LBB6_1925:                             ;   in Loop: Header=BB6_1899 Depth=4
	s_or_b32 exec_lo, exec_lo, s17
	v_cmp_gt_i16_sdwa s17, v8, v59 src0_sel:BYTE_1 src1_sel:DWORD
	s_mov_b32 s16, 0
	s_and_saveexec_b32 s72, s17
	s_xor_b32 s17, exec_lo, s72
	s_cbranch_execz .LBB6_2223
; %bb.1926:                             ;   in Loop: Header=BB6_1899 Depth=4
	v_cmp_eq_u16_sdwa s73, v8, v60 src0_sel:BYTE_1 src1_sel:DWORD
	s_mov_b32 s16, -1
	s_and_saveexec_b32 s72, s73
; %bb.1927:                             ;   in Loop: Header=BB6_1899 Depth=4
	s_xor_b32 s16, exec_lo, -1
; %bb.1928:                             ;   in Loop: Header=BB6_1899 Depth=4
	s_or_b32 exec_lo, exec_lo, s72
	s_and_b32 s16, s16, exec_lo
	s_or_saveexec_b32 s17, s17
	v_mov_b32_e32 v27, 0x7f800001
	s_xor_b32 exec_lo, exec_lo, s17
	s_cbranch_execnz .LBB6_2224
.LBB6_1929:                             ;   in Loop: Header=BB6_1899 Depth=4
	s_or_b32 exec_lo, exec_lo, s17
	s_and_saveexec_b32 s17, s16
	s_cbranch_execz .LBB6_1931
.LBB6_1930:                             ;   in Loop: Header=BB6_1899 Depth=4
	v_and_b32_sdwa v27, v61, v8 dst_sel:DWORD dst_unused:UNUSED_PAD src0_sel:DWORD src1_sel:BYTE_1
	v_and_b32_e32 v28, 3, v27
	v_bfe_u32 v31, v27, 2, 5
	v_ffbh_u32_e32 v29, v28
	v_cmp_eq_u32_e64 s16, 0, v31
	v_min_u32_e32 v29, 32, v29
	v_subrev_nc_u32_e32 v30, 29, v29
	v_sub_nc_u32_e32 v29, 30, v29
	v_lshlrev_b32_e32 v27, v30, v27
	v_lshlrev_b32_sdwa v30, v62, v8 dst_sel:DWORD dst_unused:UNUSED_PAD src0_sel:DWORD src1_sel:BYTE_1
	v_cndmask_b32_e64 v29, v31, v29, s16
	v_and_b32_e32 v27, 3, v27
	v_lshl_add_u32 v29, v29, 23, 0x37800000
	v_cndmask_b32_e64 v27, v28, v27, s16
	v_and_b32_e32 v28, 0x80000000, v30
	v_lshlrev_b32_e32 v27, 21, v27
	v_or3_b32 v27, v28, v29, v27
.LBB6_1931:                             ;   in Loop: Header=BB6_1899 Depth=4
	s_or_b32 exec_lo, exec_lo, s17
	v_mul_f32_e32 v27, v26, v27
	v_and_b32_e32 v26, 0x7f800000, v27
	v_cmp_ne_u32_e64 s16, 0x7f800000, v26
	v_mov_b32_e32 v26, 0x8000
	s_and_saveexec_b32 s72, s16
	s_cbranch_execz .LBB6_1939
; %bb.1932:                             ;   in Loop: Header=BB6_1899 Depth=4
	v_mov_b32_e32 v26, 0
	s_mov_b32 s73, exec_lo
	v_cmpx_ne_u32_e32 0, v27
	s_cbranch_execz .LBB6_1938
; %bb.1933:                             ;   in Loop: Header=BB6_1899 Depth=4
	v_bfe_u32 v26, v27, 23, 8
	v_and_b32_e32 v28, 0x7fffff, v27
	v_sub_nc_u32_e32 v29, 0x70, v26
	v_cmp_gt_u32_e64 s16, 0x71, v26
	v_or_b32_e32 v30, 0x800000, v28
	v_cndmask_b32_e64 v29, 0, v29, s16
	v_cmp_eq_u32_e64 s16, 0, v26
	v_add_nc_u32_e32 v26, 0xffffff91, v26
	v_cndmask_b32_e64 v29, v29, 0x6f, s16
	v_cndmask_b32_e64 v28, v30, v28, s16
	;; [unrolled: 1-line block ×3, first 2 shown]
	v_lshl_add_u32 v30, 0x200000, v29, -1
	v_lshrrev_b32_e32 v31, v29, v28
	v_lshlrev_b32_e64 v33, v29, 0x100000
	v_add_nc_u32_e32 v29, v29, v26
	v_and_b32_e32 v28, v30, v28
	v_bfe_u32 v32, v31, 21, 1
	v_cmp_eq_u32_e64 s17, v28, v33
	v_add_nc_u32_e32 v30, -1, v32
	v_cndmask_b32_e64 v28, 0, v30, s17
	v_lshrrev_b32_e32 v30, 23, v31
	s_mov_b32 s17, exec_lo
	v_add_nc_u32_e32 v28, v28, v31
	v_xor_b32_e32 v30, 1, v30
	v_and_b32_e32 v26, 0x1fffff, v28
	v_add_nc_u32_e32 v28, v26, v31
                                        ; implicit-def: $vgpr26
	v_cmpx_ne_u32_e64 v29, v30
	s_xor_b32 s17, exec_lo, s17
; %bb.1934:                             ;   in Loop: Header=BB6_1899 Depth=4
	v_cmp_lt_u32_e64 s16, 0xffffff, v28
	v_sub_nc_u32_e32 v26, v29, v30
	v_cndmask_b32_e64 v29, 0, 1, s16
	v_add_co_ci_u32_e64 v26, null, 0, v26, s16
	v_lshrrev_b32_e32 v28, v29, v28
; %bb.1935:                             ;   in Loop: Header=BB6_1899 Depth=4
	s_andn2_saveexec_b32 s16, s17
; %bb.1936:                             ;   in Loop: Header=BB6_1899 Depth=4
	v_bfe_u32 v26, v28, 23, 1
; %bb.1937:                             ;   in Loop: Header=BB6_1899 Depth=4
	s_or_b32 exec_lo, exec_lo, s16
	v_lshrrev_b32_e32 v28, 21, v28
	v_min_i32_e32 v29, 31, v26
	v_cmp_gt_i32_e64 s16, 32, v26
	v_and_b32_sdwa v27, v27, v60 dst_sel:DWORD dst_unused:UNUSED_PAD src0_sel:BYTE_3 src1_sel:DWORD
	v_lshlrev_b32_e32 v29, 2, v29
	v_cndmask_b32_e64 v28, 3, v28, s16
	v_and_b32_e32 v29, 0xfc, v29
	v_and_b32_e32 v30, 3, v28
	v_or_b32_e32 v26, v26, v28
	v_or3_b32 v27, v27, v29, v30
	v_cmp_ne_u32_e64 s16, 0, v26
	v_lshlrev_b32_e32 v27, 8, v27
	v_cndmask_b32_e64 v26, 0, v27, s16
.LBB6_1938:                             ;   in Loop: Header=BB6_1899 Depth=4
	s_or_b32 exec_lo, exec_lo, s73
.LBB6_1939:                             ;   in Loop: Header=BB6_1899 Depth=4
	s_or_b32 exec_lo, exec_lo, s72
	v_and_b32_sdwa v28, v12, v63 dst_sel:DWORD dst_unused:UNUSED_PAD src0_sel:WORD_1 src1_sel:DWORD
	s_mov_b32 s17, 0
	s_mov_b32 s72, exec_lo
	v_cmpx_lt_i16_e32 0x7f, v28
	s_xor_b32 s72, exec_lo, s72
	s_cbranch_execz .LBB6_2225
; %bb.1940:                             ;   in Loop: Header=BB6_1899 Depth=4
	s_mov_b32 s17, -1
	s_mov_b32 s73, exec_lo
	v_cmpx_eq_u16_e32 0x80, v28
; %bb.1941:                             ;   in Loop: Header=BB6_1899 Depth=4
	s_xor_b32 s17, exec_lo, -1
; %bb.1942:                             ;   in Loop: Header=BB6_1899 Depth=4
	s_or_b32 exec_lo, exec_lo, s73
	s_and_b32 s17, s17, exec_lo
                                        ; implicit-def: $vgpr28
	s_or_saveexec_b32 s72, s72
	v_mov_b32_e32 v27, 0x7f800001
	s_xor_b32 exec_lo, exec_lo, s72
	s_cbranch_execnz .LBB6_2226
.LBB6_1943:                             ;   in Loop: Header=BB6_1899 Depth=4
	s_or_b32 exec_lo, exec_lo, s72
	s_and_saveexec_b32 s72, s17
	s_cbranch_execz .LBB6_1945
.LBB6_1944:                             ;   in Loop: Header=BB6_1899 Depth=4
	v_bfe_u32 v27, v12, 16, 2
	v_bfe_u32 v30, v12, 18, 5
	v_lshlrev_b32_e32 v31, 8, v12
	v_ffbh_u32_e32 v28, v27
	v_cmp_eq_u32_e64 s16, 0, v30
	v_min_u32_e32 v28, 32, v28
	v_subrev_nc_u32_e32 v29, 29, v28
	v_sub_nc_u32_e32 v28, 30, v28
	v_lshlrev_b32_sdwa v29, v29, v12 dst_sel:DWORD dst_unused:UNUSED_PAD src0_sel:DWORD src1_sel:WORD_1
	v_cndmask_b32_e64 v28, v30, v28, s16
	v_and_b32_e32 v29, 3, v29
	v_lshl_add_u32 v28, v28, 23, 0x37800000
	v_cndmask_b32_e64 v27, v27, v29, s16
	v_and_b32_e32 v29, 0x80000000, v31
	v_lshlrev_b32_e32 v27, 21, v27
	v_or3_b32 v27, v29, v28, v27
.LBB6_1945:                             ;   in Loop: Header=BB6_1899 Depth=4
	s_or_b32 exec_lo, exec_lo, s72
	v_and_b32_sdwa v29, v8, v63 dst_sel:DWORD dst_unused:UNUSED_PAD src0_sel:WORD_1 src1_sel:DWORD
	s_mov_b32 s17, 0
	s_mov_b32 s72, exec_lo
	v_cmpx_lt_i16_e32 0x7f, v29
	s_xor_b32 s72, exec_lo, s72
	s_cbranch_execz .LBB6_2227
; %bb.1946:                             ;   in Loop: Header=BB6_1899 Depth=4
	s_mov_b32 s17, -1
	s_mov_b32 s73, exec_lo
	v_cmpx_eq_u16_e32 0x80, v29
; %bb.1947:                             ;   in Loop: Header=BB6_1899 Depth=4
	s_xor_b32 s17, exec_lo, -1
; %bb.1948:                             ;   in Loop: Header=BB6_1899 Depth=4
	s_or_b32 exec_lo, exec_lo, s73
	s_and_b32 s17, s17, exec_lo
                                        ; implicit-def: $vgpr29
	s_or_saveexec_b32 s72, s72
	v_mov_b32_e32 v28, 0x7f800001
	s_xor_b32 exec_lo, exec_lo, s72
	s_cbranch_execnz .LBB6_2228
.LBB6_1949:                             ;   in Loop: Header=BB6_1899 Depth=4
	s_or_b32 exec_lo, exec_lo, s72
	s_and_saveexec_b32 s72, s17
	s_cbranch_execz .LBB6_1951
.LBB6_1950:                             ;   in Loop: Header=BB6_1899 Depth=4
	v_and_b32_sdwa v28, v8, v72 dst_sel:DWORD dst_unused:UNUSED_PAD src0_sel:WORD_1 src1_sel:DWORD
	v_bfe_u32 v31, v8, 18, 5
	v_lshlrev_b32_sdwa v32, v62, v8 dst_sel:DWORD dst_unused:UNUSED_PAD src0_sel:DWORD src1_sel:WORD_1
	v_ffbh_u32_e32 v29, v28
	v_cmp_eq_u32_e64 s16, 0, v31
	v_min_u32_e32 v29, 32, v29
	v_subrev_nc_u32_e32 v30, 29, v29
	v_sub_nc_u32_e32 v29, 30, v29
	v_lshlrev_b32_sdwa v30, v30, v8 dst_sel:DWORD dst_unused:UNUSED_PAD src0_sel:DWORD src1_sel:WORD_1
	v_cndmask_b32_e64 v29, v31, v29, s16
	v_and_b32_e32 v30, 3, v30
	v_lshl_add_u32 v29, v29, 23, 0x37800000
	v_cndmask_b32_e64 v28, v28, v30, s16
	v_and_b32_e32 v30, 0x80000000, v32
	v_lshlrev_b32_e32 v28, 21, v28
	v_or3_b32 v28, v30, v29, v28
.LBB6_1951:                             ;   in Loop: Header=BB6_1899 Depth=4
	s_or_b32 exec_lo, exec_lo, s72
	v_mul_f32_e32 v28, v27, v28
	v_and_b32_e32 v27, 0x7f800000, v28
	v_cmp_ne_u32_e64 s16, 0x7f800000, v27
	v_mov_b32_e32 v27, 0x80
	s_and_saveexec_b32 s72, s16
	s_cbranch_execz .LBB6_1959
; %bb.1952:                             ;   in Loop: Header=BB6_1899 Depth=4
	v_mov_b32_e32 v27, 0
	s_mov_b32 s73, exec_lo
	v_cmpx_ne_u32_e32 0, v28
	s_cbranch_execz .LBB6_1958
; %bb.1953:                             ;   in Loop: Header=BB6_1899 Depth=4
	v_bfe_u32 v27, v28, 23, 8
	v_and_b32_e32 v29, 0x7fffff, v28
	v_sub_nc_u32_e32 v30, 0x70, v27
	v_cmp_gt_u32_e64 s16, 0x71, v27
	v_or_b32_e32 v31, 0x800000, v29
	v_cndmask_b32_e64 v30, 0, v30, s16
	v_cmp_eq_u32_e64 s16, 0, v27
	v_add_nc_u32_e32 v27, 0xffffff91, v27
	v_cndmask_b32_e64 v30, v30, 0x6f, s16
	v_cndmask_b32_e64 v29, v31, v29, s16
	;; [unrolled: 1-line block ×3, first 2 shown]
	v_lshl_add_u32 v31, 0x200000, v30, -1
	v_lshrrev_b32_e32 v32, v30, v29
	v_lshlrev_b32_e64 v34, v30, 0x100000
	v_add_nc_u32_e32 v30, v30, v27
	v_and_b32_e32 v29, v31, v29
	v_bfe_u32 v33, v32, 21, 1
	v_cmp_eq_u32_e64 s17, v29, v34
	v_add_nc_u32_e32 v31, -1, v33
	v_cndmask_b32_e64 v29, 0, v31, s17
	v_lshrrev_b32_e32 v31, 23, v32
	s_mov_b32 s17, exec_lo
	v_add_nc_u32_e32 v29, v29, v32
	v_xor_b32_e32 v31, 1, v31
	v_and_b32_e32 v27, 0x1fffff, v29
	v_add_nc_u32_e32 v29, v27, v32
                                        ; implicit-def: $vgpr27
	v_cmpx_ne_u32_e64 v30, v31
	s_xor_b32 s17, exec_lo, s17
; %bb.1954:                             ;   in Loop: Header=BB6_1899 Depth=4
	v_cmp_lt_u32_e64 s16, 0xffffff, v29
	v_sub_nc_u32_e32 v27, v30, v31
	v_cndmask_b32_e64 v30, 0, 1, s16
	v_add_co_ci_u32_e64 v27, null, 0, v27, s16
	v_lshrrev_b32_e32 v29, v30, v29
; %bb.1955:                             ;   in Loop: Header=BB6_1899 Depth=4
	s_andn2_saveexec_b32 s16, s17
; %bb.1956:                             ;   in Loop: Header=BB6_1899 Depth=4
	v_bfe_u32 v27, v29, 23, 1
; %bb.1957:                             ;   in Loop: Header=BB6_1899 Depth=4
	s_or_b32 exec_lo, exec_lo, s16
	v_lshrrev_b32_e32 v29, 21, v29
	v_min_i32_e32 v30, 31, v27
	v_cmp_gt_i32_e64 s16, 32, v27
	v_and_b32_sdwa v28, v28, v60 dst_sel:DWORD dst_unused:UNUSED_PAD src0_sel:BYTE_3 src1_sel:DWORD
	v_lshlrev_b32_e32 v30, 2, v30
	v_cndmask_b32_e64 v29, 3, v29, s16
	v_and_b32_e32 v30, 0xfc, v30
	v_and_b32_e32 v31, 3, v29
	v_or_b32_e32 v27, v27, v29
	v_or3_b32 v28, v30, v28, v31
	v_cmp_ne_u32_e64 s16, 0, v27
	v_cndmask_b32_e64 v27, 0, v28, s16
.LBB6_1958:                             ;   in Loop: Header=BB6_1899 Depth=4
	s_or_b32 exec_lo, exec_lo, s73
.LBB6_1959:                             ;   in Loop: Header=BB6_1899 Depth=4
	s_or_b32 exec_lo, exec_lo, s72
	v_cmp_gt_i16_sdwa s17, v12, v59 src0_sel:BYTE_3 src1_sel:DWORD
	s_mov_b32 s16, 0
	s_and_saveexec_b32 s72, s17
	s_xor_b32 s17, exec_lo, s72
	s_cbranch_execz .LBB6_2229
; %bb.1960:                             ;   in Loop: Header=BB6_1899 Depth=4
	v_cmp_eq_u16_sdwa s73, v12, v60 src0_sel:BYTE_3 src1_sel:DWORD
	s_mov_b32 s16, -1
	s_and_saveexec_b32 s72, s73
; %bb.1961:                             ;   in Loop: Header=BB6_1899 Depth=4
	s_xor_b32 s16, exec_lo, -1
; %bb.1962:                             ;   in Loop: Header=BB6_1899 Depth=4
	s_or_b32 exec_lo, exec_lo, s72
	s_and_b32 s16, s16, exec_lo
	s_or_saveexec_b32 s17, s17
	v_mov_b32_e32 v28, 0x7f800001
	s_xor_b32 exec_lo, exec_lo, s17
	s_cbranch_execnz .LBB6_2230
.LBB6_1963:                             ;   in Loop: Header=BB6_1899 Depth=4
	s_or_b32 exec_lo, exec_lo, s17
	s_and_saveexec_b32 s17, s16
	s_cbranch_execz .LBB6_1965
.LBB6_1964:                             ;   in Loop: Header=BB6_1899 Depth=4
	v_bfe_u32 v28, v12, 24, 2
	v_bfe_u32 v31, v12, 26, 5
	v_ffbh_u32_e32 v29, v28
	v_cmp_eq_u32_e64 s16, 0, v31
	v_min_u32_e32 v29, 32, v29
	v_subrev_nc_u32_e32 v30, 29, v29
	v_sub_nc_u32_e32 v29, 30, v29
	v_lshlrev_b32_sdwa v30, v30, v12 dst_sel:DWORD dst_unused:UNUSED_PAD src0_sel:DWORD src1_sel:BYTE_3
	v_cndmask_b32_e64 v29, v31, v29, s16
	v_and_b32_e32 v12, 0x80000000, v12
	v_and_b32_e32 v30, 3, v30
	v_lshl_add_u32 v29, v29, 23, 0x37800000
	v_cndmask_b32_e64 v28, v28, v30, s16
	v_lshlrev_b32_e32 v28, 21, v28
	v_or3_b32 v28, v12, v29, v28
.LBB6_1965:                             ;   in Loop: Header=BB6_1899 Depth=4
	s_or_b32 exec_lo, exec_lo, s17
	v_cmp_gt_i16_sdwa s17, v8, v59 src0_sel:BYTE_3 src1_sel:DWORD
	s_mov_b32 s16, 0
	s_and_saveexec_b32 s72, s17
	s_xor_b32 s17, exec_lo, s72
	s_cbranch_execz .LBB6_2231
; %bb.1966:                             ;   in Loop: Header=BB6_1899 Depth=4
	v_cmp_eq_u16_sdwa s73, v8, v60 src0_sel:BYTE_3 src1_sel:DWORD
	s_mov_b32 s16, -1
	s_and_saveexec_b32 s72, s73
; %bb.1967:                             ;   in Loop: Header=BB6_1899 Depth=4
	s_xor_b32 s16, exec_lo, -1
; %bb.1968:                             ;   in Loop: Header=BB6_1899 Depth=4
	s_or_b32 exec_lo, exec_lo, s72
	s_and_b32 s16, s16, exec_lo
	s_or_saveexec_b32 s17, s17
	v_mov_b32_e32 v12, 0x7f800001
	s_xor_b32 exec_lo, exec_lo, s17
	s_cbranch_execnz .LBB6_2232
.LBB6_1969:                             ;   in Loop: Header=BB6_1899 Depth=4
	s_or_b32 exec_lo, exec_lo, s17
	s_and_saveexec_b32 s17, s16
	s_cbranch_execz .LBB6_1971
.LBB6_1970:                             ;   in Loop: Header=BB6_1899 Depth=4
	v_and_b32_sdwa v12, v8, v72 dst_sel:DWORD dst_unused:UNUSED_PAD src0_sel:BYTE_3 src1_sel:DWORD
	v_bfe_u32 v31, v8, 26, 5
	v_ffbh_u32_e32 v29, v12
	v_cmp_eq_u32_e64 s16, 0, v31
	v_min_u32_e32 v29, 32, v29
	v_subrev_nc_u32_e32 v30, 29, v29
	v_sub_nc_u32_e32 v29, 30, v29
	v_lshlrev_b32_sdwa v30, v30, v8 dst_sel:DWORD dst_unused:UNUSED_PAD src0_sel:DWORD src1_sel:BYTE_3
	v_cndmask_b32_e64 v29, v31, v29, s16
	v_and_b32_e32 v8, 0x80000000, v8
	v_and_b32_e32 v30, 3, v30
	v_lshl_add_u32 v29, v29, 23, 0x37800000
	v_cndmask_b32_e64 v12, v12, v30, s16
	v_lshlrev_b32_e32 v12, 21, v12
	v_or3_b32 v12, v8, v29, v12
.LBB6_1971:                             ;   in Loop: Header=BB6_1899 Depth=4
	s_or_b32 exec_lo, exec_lo, s17
	v_mul_f32_e32 v12, v28, v12
	v_and_b32_e32 v8, 0x7f800000, v12
	v_cmp_ne_u32_e64 s16, 0x7f800000, v8
	v_mov_b32_e32 v8, 0x8000
	s_and_saveexec_b32 s72, s16
	s_cbranch_execz .LBB6_1979
; %bb.1972:                             ;   in Loop: Header=BB6_1899 Depth=4
	v_mov_b32_e32 v8, 0
	s_mov_b32 s73, exec_lo
	v_cmpx_ne_u32_e32 0, v12
	s_cbranch_execz .LBB6_1978
; %bb.1973:                             ;   in Loop: Header=BB6_1899 Depth=4
	v_bfe_u32 v8, v12, 23, 8
	v_and_b32_e32 v28, 0x7fffff, v12
	v_sub_nc_u32_e32 v29, 0x70, v8
	v_cmp_gt_u32_e64 s16, 0x71, v8
	v_or_b32_e32 v30, 0x800000, v28
	v_cndmask_b32_e64 v29, 0, v29, s16
	v_cmp_eq_u32_e64 s16, 0, v8
	v_add_nc_u32_e32 v8, 0xffffff91, v8
	v_cndmask_b32_e64 v29, v29, 0x6f, s16
	v_cndmask_b32_e64 v28, v30, v28, s16
	;; [unrolled: 1-line block ×3, first 2 shown]
	v_lshl_add_u32 v30, 0x200000, v29, -1
	v_lshrrev_b32_e32 v31, v29, v28
	v_lshlrev_b32_e64 v33, v29, 0x100000
	v_add_nc_u32_e32 v29, v29, v8
	v_and_b32_e32 v28, v30, v28
	v_bfe_u32 v32, v31, 21, 1
	v_cmp_eq_u32_e64 s17, v28, v33
	v_add_nc_u32_e32 v30, -1, v32
	v_cndmask_b32_e64 v28, 0, v30, s17
	v_lshrrev_b32_e32 v30, 23, v31
	s_mov_b32 s17, exec_lo
	v_add_nc_u32_e32 v28, v28, v31
	v_xor_b32_e32 v30, 1, v30
	v_and_b32_e32 v8, 0x1fffff, v28
	v_add_nc_u32_e32 v28, v8, v31
                                        ; implicit-def: $vgpr8
	v_cmpx_ne_u32_e64 v29, v30
	s_xor_b32 s17, exec_lo, s17
; %bb.1974:                             ;   in Loop: Header=BB6_1899 Depth=4
	v_cmp_lt_u32_e64 s16, 0xffffff, v28
	v_sub_nc_u32_e32 v8, v29, v30
	v_cndmask_b32_e64 v29, 0, 1, s16
	v_add_co_ci_u32_e64 v8, null, 0, v8, s16
	v_lshrrev_b32_e32 v28, v29, v28
; %bb.1975:                             ;   in Loop: Header=BB6_1899 Depth=4
	s_andn2_saveexec_b32 s16, s17
; %bb.1976:                             ;   in Loop: Header=BB6_1899 Depth=4
	v_bfe_u32 v8, v28, 23, 1
; %bb.1977:                             ;   in Loop: Header=BB6_1899 Depth=4
	s_or_b32 exec_lo, exec_lo, s16
	v_lshrrev_b32_e32 v28, 21, v28
	v_min_i32_e32 v29, 31, v8
	v_cmp_gt_i32_e64 s16, 32, v8
	v_and_b32_sdwa v12, v12, v60 dst_sel:DWORD dst_unused:UNUSED_PAD src0_sel:BYTE_3 src1_sel:DWORD
	v_lshlrev_b32_e32 v29, 2, v29
	v_cndmask_b32_e64 v28, 3, v28, s16
	v_and_b32_e32 v29, 0xfc, v29
	v_and_b32_e32 v30, 3, v28
	v_or_b32_e32 v8, v8, v28
	v_or3_b32 v12, v12, v29, v30
	v_cmp_ne_u32_e64 s16, 0, v8
	v_lshlrev_b32_e32 v12, 8, v12
	v_cndmask_b32_e64 v8, 0, v12, s16
.LBB6_1978:                             ;   in Loop: Header=BB6_1899 Depth=4
	s_or_b32 exec_lo, exec_lo, s73
.LBB6_1979:                             ;   in Loop: Header=BB6_1899 Depth=4
	s_or_b32 exec_lo, exec_lo, s72
	v_cmp_gt_i16_sdwa s17, v13, v59 src0_sel:BYTE_0 src1_sel:DWORD
	s_mov_b32 s16, 0
	s_and_saveexec_b32 s72, s17
	s_xor_b32 s17, exec_lo, s72
	s_cbranch_execz .LBB6_2233
; %bb.1980:                             ;   in Loop: Header=BB6_1899 Depth=4
	v_cmp_eq_u16_sdwa s73, v13, v60 src0_sel:BYTE_0 src1_sel:DWORD
	s_mov_b32 s16, -1
	s_and_saveexec_b32 s72, s73
; %bb.1981:                             ;   in Loop: Header=BB6_1899 Depth=4
	s_xor_b32 s16, exec_lo, -1
; %bb.1982:                             ;   in Loop: Header=BB6_1899 Depth=4
	s_or_b32 exec_lo, exec_lo, s72
	s_and_b32 s16, s16, exec_lo
	s_or_saveexec_b32 s17, s17
	v_mov_b32_e32 v12, 0x7f800001
	s_xor_b32 exec_lo, exec_lo, s17
	s_cbranch_execnz .LBB6_2234
.LBB6_1983:                             ;   in Loop: Header=BB6_1899 Depth=4
	s_or_b32 exec_lo, exec_lo, s17
	s_and_saveexec_b32 s17, s16
	s_cbranch_execz .LBB6_1985
.LBB6_1984:                             ;   in Loop: Header=BB6_1899 Depth=4
	v_and_b32_e32 v12, 3, v13
	v_bfe_u32 v30, v13, 2, 5
	v_lshlrev_b32_e32 v31, 24, v13
	v_ffbh_u32_e32 v28, v12
	v_cmp_eq_u32_e64 s16, 0, v30
	v_min_u32_e32 v28, 32, v28
	v_subrev_nc_u32_e32 v29, 29, v28
	v_sub_nc_u32_e32 v28, 30, v28
	v_lshlrev_b32_e32 v29, v29, v13
	v_cndmask_b32_e64 v28, v30, v28, s16
	v_and_b32_e32 v29, 3, v29
	v_lshl_add_u32 v28, v28, 23, 0x37800000
	v_cndmask_b32_e64 v12, v12, v29, s16
	v_and_b32_e32 v29, 0x80000000, v31
	v_lshlrev_b32_e32 v12, 21, v12
	v_or3_b32 v12, v29, v28, v12
.LBB6_1985:                             ;   in Loop: Header=BB6_1899 Depth=4
	s_or_b32 exec_lo, exec_lo, s17
	v_cmp_gt_i16_sdwa s17, v9, v59 src0_sel:BYTE_0 src1_sel:DWORD
	s_mov_b32 s16, 0
	s_and_saveexec_b32 s72, s17
	s_xor_b32 s17, exec_lo, s72
	s_cbranch_execz .LBB6_2235
; %bb.1986:                             ;   in Loop: Header=BB6_1899 Depth=4
	v_cmp_eq_u16_sdwa s73, v9, v60 src0_sel:BYTE_0 src1_sel:DWORD
	s_mov_b32 s16, -1
	s_and_saveexec_b32 s72, s73
; %bb.1987:                             ;   in Loop: Header=BB6_1899 Depth=4
	s_xor_b32 s16, exec_lo, -1
; %bb.1988:                             ;   in Loop: Header=BB6_1899 Depth=4
	s_or_b32 exec_lo, exec_lo, s72
	s_and_b32 s16, s16, exec_lo
	s_or_saveexec_b32 s17, s17
	v_mov_b32_e32 v28, 0x7f800001
	s_xor_b32 exec_lo, exec_lo, s17
	s_cbranch_execnz .LBB6_2236
.LBB6_1989:                             ;   in Loop: Header=BB6_1899 Depth=4
	s_or_b32 exec_lo, exec_lo, s17
	s_and_saveexec_b32 s17, s16
	s_cbranch_execz .LBB6_1991
.LBB6_1990:                             ;   in Loop: Header=BB6_1899 Depth=4
	v_and_b32_e32 v28, 3, v9
	v_bfe_u32 v31, v9, 2, 5
	v_lshlrev_b32_e32 v32, 24, v9
	v_ffbh_u32_e32 v29, v28
	v_cmp_eq_u32_e64 s16, 0, v31
	v_min_u32_e32 v29, 32, v29
	v_subrev_nc_u32_e32 v30, 29, v29
	v_sub_nc_u32_e32 v29, 30, v29
	v_lshlrev_b32_e32 v30, v30, v9
	v_cndmask_b32_e64 v29, v31, v29, s16
	v_and_b32_e32 v30, 3, v30
	v_lshl_add_u32 v29, v29, 23, 0x37800000
	v_cndmask_b32_e64 v28, v28, v30, s16
	v_and_b32_e32 v30, 0x80000000, v32
	v_lshlrev_b32_e32 v28, 21, v28
	v_or3_b32 v28, v30, v29, v28
.LBB6_1991:                             ;   in Loop: Header=BB6_1899 Depth=4
	s_or_b32 exec_lo, exec_lo, s17
	v_mul_f32_e32 v28, v12, v28
	v_and_b32_e32 v12, 0x7f800000, v28
	v_cmp_ne_u32_e64 s16, 0x7f800000, v12
	v_mov_b32_e32 v12, 0x80
	s_and_saveexec_b32 s72, s16
	s_cbranch_execz .LBB6_1999
; %bb.1992:                             ;   in Loop: Header=BB6_1899 Depth=4
	v_mov_b32_e32 v12, 0
	s_mov_b32 s73, exec_lo
	v_cmpx_ne_u32_e32 0, v28
	s_cbranch_execz .LBB6_1998
; %bb.1993:                             ;   in Loop: Header=BB6_1899 Depth=4
	v_bfe_u32 v12, v28, 23, 8
	v_and_b32_e32 v29, 0x7fffff, v28
	v_sub_nc_u32_e32 v30, 0x70, v12
	v_cmp_gt_u32_e64 s16, 0x71, v12
	v_or_b32_e32 v31, 0x800000, v29
	v_cndmask_b32_e64 v30, 0, v30, s16
	v_cmp_eq_u32_e64 s16, 0, v12
	v_add_nc_u32_e32 v12, 0xffffff91, v12
	v_cndmask_b32_e64 v30, v30, 0x6f, s16
	v_cndmask_b32_e64 v29, v31, v29, s16
	;; [unrolled: 1-line block ×3, first 2 shown]
	v_lshl_add_u32 v31, 0x200000, v30, -1
	v_lshrrev_b32_e32 v32, v30, v29
	v_lshlrev_b32_e64 v34, v30, 0x100000
	v_add_nc_u32_e32 v30, v30, v12
	v_and_b32_e32 v29, v31, v29
	v_bfe_u32 v33, v32, 21, 1
	v_cmp_eq_u32_e64 s17, v29, v34
	v_add_nc_u32_e32 v31, -1, v33
	v_cndmask_b32_e64 v29, 0, v31, s17
	v_lshrrev_b32_e32 v31, 23, v32
	s_mov_b32 s17, exec_lo
	v_add_nc_u32_e32 v29, v29, v32
	v_xor_b32_e32 v31, 1, v31
	v_and_b32_e32 v12, 0x1fffff, v29
	v_add_nc_u32_e32 v29, v12, v32
                                        ; implicit-def: $vgpr12
	v_cmpx_ne_u32_e64 v30, v31
	s_xor_b32 s17, exec_lo, s17
; %bb.1994:                             ;   in Loop: Header=BB6_1899 Depth=4
	v_cmp_lt_u32_e64 s16, 0xffffff, v29
	v_sub_nc_u32_e32 v12, v30, v31
	v_cndmask_b32_e64 v30, 0, 1, s16
	v_add_co_ci_u32_e64 v12, null, 0, v12, s16
	v_lshrrev_b32_e32 v29, v30, v29
; %bb.1995:                             ;   in Loop: Header=BB6_1899 Depth=4
	s_andn2_saveexec_b32 s16, s17
; %bb.1996:                             ;   in Loop: Header=BB6_1899 Depth=4
	v_bfe_u32 v12, v29, 23, 1
; %bb.1997:                             ;   in Loop: Header=BB6_1899 Depth=4
	s_or_b32 exec_lo, exec_lo, s16
	v_lshrrev_b32_e32 v29, 21, v29
	v_min_i32_e32 v30, 31, v12
	v_cmp_gt_i32_e64 s16, 32, v12
	v_and_b32_sdwa v28, v28, v60 dst_sel:DWORD dst_unused:UNUSED_PAD src0_sel:BYTE_3 src1_sel:DWORD
	v_lshlrev_b32_e32 v30, 2, v30
	v_cndmask_b32_e64 v29, 3, v29, s16
	v_and_b32_e32 v30, 0xfc, v30
	v_and_b32_e32 v31, 3, v29
	v_or_b32_e32 v12, v12, v29
	v_or3_b32 v28, v30, v28, v31
	v_cmp_ne_u32_e64 s16, 0, v12
	v_cndmask_b32_e64 v12, 0, v28, s16
.LBB6_1998:                             ;   in Loop: Header=BB6_1899 Depth=4
	s_or_b32 exec_lo, exec_lo, s73
.LBB6_1999:                             ;   in Loop: Header=BB6_1899 Depth=4
	s_or_b32 exec_lo, exec_lo, s72
	v_cmp_gt_i16_sdwa s17, v13, v59 src0_sel:BYTE_1 src1_sel:DWORD
	s_mov_b32 s16, 0
	s_and_saveexec_b32 s72, s17
	s_xor_b32 s17, exec_lo, s72
	s_cbranch_execz .LBB6_2237
; %bb.2000:                             ;   in Loop: Header=BB6_1899 Depth=4
	v_cmp_eq_u16_sdwa s73, v13, v60 src0_sel:BYTE_1 src1_sel:DWORD
	s_mov_b32 s16, -1
	s_and_saveexec_b32 s72, s73
; %bb.2001:                             ;   in Loop: Header=BB6_1899 Depth=4
	s_xor_b32 s16, exec_lo, -1
; %bb.2002:                             ;   in Loop: Header=BB6_1899 Depth=4
	s_or_b32 exec_lo, exec_lo, s72
	s_and_b32 s16, s16, exec_lo
	s_or_saveexec_b32 s17, s17
	v_mov_b32_e32 v28, 0x7f800001
	s_xor_b32 exec_lo, exec_lo, s17
	s_cbranch_execnz .LBB6_2238
.LBB6_2003:                             ;   in Loop: Header=BB6_1899 Depth=4
	s_or_b32 exec_lo, exec_lo, s17
	s_and_saveexec_b32 s17, s16
	s_cbranch_execz .LBB6_2005
.LBB6_2004:                             ;   in Loop: Header=BB6_1899 Depth=4
	v_and_b32_sdwa v28, v61, v13 dst_sel:DWORD dst_unused:UNUSED_PAD src0_sel:DWORD src1_sel:BYTE_1
	v_and_b32_e32 v29, 3, v28
	v_bfe_u32 v32, v28, 2, 5
	v_ffbh_u32_e32 v30, v29
	v_cmp_eq_u32_e64 s16, 0, v32
	v_min_u32_e32 v30, 32, v30
	v_subrev_nc_u32_e32 v31, 29, v30
	v_sub_nc_u32_e32 v30, 30, v30
	v_lshlrev_b32_e32 v28, v31, v28
	v_lshlrev_b32_sdwa v31, v62, v13 dst_sel:DWORD dst_unused:UNUSED_PAD src0_sel:DWORD src1_sel:BYTE_1
	v_cndmask_b32_e64 v30, v32, v30, s16
	v_and_b32_e32 v28, 3, v28
	v_lshl_add_u32 v30, v30, 23, 0x37800000
	v_cndmask_b32_e64 v28, v29, v28, s16
	v_and_b32_e32 v29, 0x80000000, v31
	v_lshlrev_b32_e32 v28, 21, v28
	v_or3_b32 v28, v29, v30, v28
.LBB6_2005:                             ;   in Loop: Header=BB6_1899 Depth=4
	s_or_b32 exec_lo, exec_lo, s17
	v_cmp_gt_i16_sdwa s17, v9, v59 src0_sel:BYTE_1 src1_sel:DWORD
	s_mov_b32 s16, 0
	s_and_saveexec_b32 s72, s17
	s_xor_b32 s17, exec_lo, s72
	s_cbranch_execz .LBB6_2239
; %bb.2006:                             ;   in Loop: Header=BB6_1899 Depth=4
	v_cmp_eq_u16_sdwa s73, v9, v60 src0_sel:BYTE_1 src1_sel:DWORD
	s_mov_b32 s16, -1
	s_and_saveexec_b32 s72, s73
; %bb.2007:                             ;   in Loop: Header=BB6_1899 Depth=4
	s_xor_b32 s16, exec_lo, -1
; %bb.2008:                             ;   in Loop: Header=BB6_1899 Depth=4
	s_or_b32 exec_lo, exec_lo, s72
	s_and_b32 s16, s16, exec_lo
	s_or_saveexec_b32 s17, s17
	v_mov_b32_e32 v29, 0x7f800001
	s_xor_b32 exec_lo, exec_lo, s17
	s_cbranch_execnz .LBB6_2240
.LBB6_2009:                             ;   in Loop: Header=BB6_1899 Depth=4
	s_or_b32 exec_lo, exec_lo, s17
	s_and_saveexec_b32 s17, s16
	s_cbranch_execz .LBB6_2011
.LBB6_2010:                             ;   in Loop: Header=BB6_1899 Depth=4
	v_and_b32_sdwa v29, v61, v9 dst_sel:DWORD dst_unused:UNUSED_PAD src0_sel:DWORD src1_sel:BYTE_1
	v_and_b32_e32 v30, 3, v29
	v_bfe_u32 v33, v29, 2, 5
	v_ffbh_u32_e32 v31, v30
	v_cmp_eq_u32_e64 s16, 0, v33
	v_min_u32_e32 v31, 32, v31
	v_subrev_nc_u32_e32 v32, 29, v31
	v_sub_nc_u32_e32 v31, 30, v31
	v_lshlrev_b32_e32 v29, v32, v29
	v_lshlrev_b32_sdwa v32, v62, v9 dst_sel:DWORD dst_unused:UNUSED_PAD src0_sel:DWORD src1_sel:BYTE_1
	v_cndmask_b32_e64 v31, v33, v31, s16
	v_and_b32_e32 v29, 3, v29
	v_lshl_add_u32 v31, v31, 23, 0x37800000
	v_cndmask_b32_e64 v29, v30, v29, s16
	v_and_b32_e32 v30, 0x80000000, v32
	v_lshlrev_b32_e32 v29, 21, v29
	v_or3_b32 v29, v30, v31, v29
.LBB6_2011:                             ;   in Loop: Header=BB6_1899 Depth=4
	s_or_b32 exec_lo, exec_lo, s17
	v_mul_f32_e32 v29, v28, v29
	v_and_b32_e32 v28, 0x7f800000, v29
	v_cmp_ne_u32_e64 s16, 0x7f800000, v28
	v_mov_b32_e32 v28, 0x8000
	s_and_saveexec_b32 s72, s16
	s_cbranch_execz .LBB6_2019
; %bb.2012:                             ;   in Loop: Header=BB6_1899 Depth=4
	v_mov_b32_e32 v28, 0
	s_mov_b32 s73, exec_lo
	v_cmpx_ne_u32_e32 0, v29
	s_cbranch_execz .LBB6_2018
; %bb.2013:                             ;   in Loop: Header=BB6_1899 Depth=4
	v_bfe_u32 v28, v29, 23, 8
	v_and_b32_e32 v30, 0x7fffff, v29
	v_sub_nc_u32_e32 v31, 0x70, v28
	v_cmp_gt_u32_e64 s16, 0x71, v28
	v_or_b32_e32 v32, 0x800000, v30
	v_cndmask_b32_e64 v31, 0, v31, s16
	v_cmp_eq_u32_e64 s16, 0, v28
	v_add_nc_u32_e32 v28, 0xffffff91, v28
	v_cndmask_b32_e64 v31, v31, 0x6f, s16
	v_cndmask_b32_e64 v30, v32, v30, s16
	;; [unrolled: 1-line block ×3, first 2 shown]
	v_lshl_add_u32 v32, 0x200000, v31, -1
	v_lshrrev_b32_e32 v33, v31, v30
	v_lshlrev_b32_e64 v35, v31, 0x100000
	v_add_nc_u32_e32 v31, v31, v28
	v_and_b32_e32 v30, v32, v30
	v_bfe_u32 v34, v33, 21, 1
	v_cmp_eq_u32_e64 s17, v30, v35
	v_add_nc_u32_e32 v32, -1, v34
	v_cndmask_b32_e64 v30, 0, v32, s17
	v_lshrrev_b32_e32 v32, 23, v33
	s_mov_b32 s17, exec_lo
	v_add_nc_u32_e32 v30, v30, v33
	v_xor_b32_e32 v32, 1, v32
	v_and_b32_e32 v28, 0x1fffff, v30
	v_add_nc_u32_e32 v30, v28, v33
                                        ; implicit-def: $vgpr28
	v_cmpx_ne_u32_e64 v31, v32
	s_xor_b32 s17, exec_lo, s17
; %bb.2014:                             ;   in Loop: Header=BB6_1899 Depth=4
	v_cmp_lt_u32_e64 s16, 0xffffff, v30
	v_sub_nc_u32_e32 v28, v31, v32
	v_cndmask_b32_e64 v31, 0, 1, s16
	v_add_co_ci_u32_e64 v28, null, 0, v28, s16
	v_lshrrev_b32_e32 v30, v31, v30
; %bb.2015:                             ;   in Loop: Header=BB6_1899 Depth=4
	s_andn2_saveexec_b32 s16, s17
; %bb.2016:                             ;   in Loop: Header=BB6_1899 Depth=4
	v_bfe_u32 v28, v30, 23, 1
; %bb.2017:                             ;   in Loop: Header=BB6_1899 Depth=4
	s_or_b32 exec_lo, exec_lo, s16
	v_lshrrev_b32_e32 v30, 21, v30
	v_min_i32_e32 v31, 31, v28
	v_cmp_gt_i32_e64 s16, 32, v28
	v_and_b32_sdwa v29, v29, v60 dst_sel:DWORD dst_unused:UNUSED_PAD src0_sel:BYTE_3 src1_sel:DWORD
	v_lshlrev_b32_e32 v31, 2, v31
	v_cndmask_b32_e64 v30, 3, v30, s16
	v_and_b32_e32 v31, 0xfc, v31
	v_and_b32_e32 v32, 3, v30
	v_or_b32_e32 v28, v28, v30
	v_or3_b32 v29, v29, v31, v32
	v_cmp_ne_u32_e64 s16, 0, v28
	v_lshlrev_b32_e32 v29, 8, v29
	v_cndmask_b32_e64 v28, 0, v29, s16
.LBB6_2018:                             ;   in Loop: Header=BB6_1899 Depth=4
	s_or_b32 exec_lo, exec_lo, s73
.LBB6_2019:                             ;   in Loop: Header=BB6_1899 Depth=4
	s_or_b32 exec_lo, exec_lo, s72
	v_and_b32_sdwa v30, v13, v63 dst_sel:DWORD dst_unused:UNUSED_PAD src0_sel:WORD_1 src1_sel:DWORD
	s_mov_b32 s17, 0
	s_mov_b32 s72, exec_lo
	v_cmpx_lt_i16_e32 0x7f, v30
	s_xor_b32 s72, exec_lo, s72
	s_cbranch_execz .LBB6_2241
; %bb.2020:                             ;   in Loop: Header=BB6_1899 Depth=4
	s_mov_b32 s17, -1
	s_mov_b32 s73, exec_lo
	v_cmpx_eq_u16_e32 0x80, v30
; %bb.2021:                             ;   in Loop: Header=BB6_1899 Depth=4
	s_xor_b32 s17, exec_lo, -1
; %bb.2022:                             ;   in Loop: Header=BB6_1899 Depth=4
	s_or_b32 exec_lo, exec_lo, s73
	s_and_b32 s17, s17, exec_lo
                                        ; implicit-def: $vgpr30
	s_or_saveexec_b32 s72, s72
	v_mov_b32_e32 v29, 0x7f800001
	s_xor_b32 exec_lo, exec_lo, s72
	s_cbranch_execnz .LBB6_2242
.LBB6_2023:                             ;   in Loop: Header=BB6_1899 Depth=4
	s_or_b32 exec_lo, exec_lo, s72
	s_and_saveexec_b32 s72, s17
	s_cbranch_execz .LBB6_2025
.LBB6_2024:                             ;   in Loop: Header=BB6_1899 Depth=4
	v_bfe_u32 v29, v13, 16, 2
	v_bfe_u32 v32, v13, 18, 5
	v_lshlrev_b32_e32 v33, 8, v13
	v_ffbh_u32_e32 v30, v29
	v_cmp_eq_u32_e64 s16, 0, v32
	v_min_u32_e32 v30, 32, v30
	v_subrev_nc_u32_e32 v31, 29, v30
	v_sub_nc_u32_e32 v30, 30, v30
	v_lshlrev_b32_sdwa v31, v31, v13 dst_sel:DWORD dst_unused:UNUSED_PAD src0_sel:DWORD src1_sel:WORD_1
	v_cndmask_b32_e64 v30, v32, v30, s16
	v_and_b32_e32 v31, 3, v31
	v_lshl_add_u32 v30, v30, 23, 0x37800000
	v_cndmask_b32_e64 v29, v29, v31, s16
	v_and_b32_e32 v31, 0x80000000, v33
	v_lshlrev_b32_e32 v29, 21, v29
	v_or3_b32 v29, v31, v30, v29
.LBB6_2025:                             ;   in Loop: Header=BB6_1899 Depth=4
	s_or_b32 exec_lo, exec_lo, s72
	v_and_b32_sdwa v31, v9, v63 dst_sel:DWORD dst_unused:UNUSED_PAD src0_sel:WORD_1 src1_sel:DWORD
	s_mov_b32 s17, 0
	s_mov_b32 s72, exec_lo
	v_cmpx_lt_i16_e32 0x7f, v31
	s_xor_b32 s72, exec_lo, s72
	s_cbranch_execz .LBB6_2243
; %bb.2026:                             ;   in Loop: Header=BB6_1899 Depth=4
	s_mov_b32 s17, -1
	s_mov_b32 s73, exec_lo
	v_cmpx_eq_u16_e32 0x80, v31
; %bb.2027:                             ;   in Loop: Header=BB6_1899 Depth=4
	s_xor_b32 s17, exec_lo, -1
; %bb.2028:                             ;   in Loop: Header=BB6_1899 Depth=4
	s_or_b32 exec_lo, exec_lo, s73
	s_and_b32 s17, s17, exec_lo
                                        ; implicit-def: $vgpr31
	s_or_saveexec_b32 s72, s72
	v_mov_b32_e32 v30, 0x7f800001
	s_xor_b32 exec_lo, exec_lo, s72
	s_cbranch_execnz .LBB6_2244
.LBB6_2029:                             ;   in Loop: Header=BB6_1899 Depth=4
	s_or_b32 exec_lo, exec_lo, s72
	s_and_saveexec_b32 s72, s17
	s_cbranch_execz .LBB6_2031
.LBB6_2030:                             ;   in Loop: Header=BB6_1899 Depth=4
	v_and_b32_sdwa v30, v9, v72 dst_sel:DWORD dst_unused:UNUSED_PAD src0_sel:WORD_1 src1_sel:DWORD
	v_bfe_u32 v33, v9, 18, 5
	v_lshlrev_b32_sdwa v34, v62, v9 dst_sel:DWORD dst_unused:UNUSED_PAD src0_sel:DWORD src1_sel:WORD_1
	v_ffbh_u32_e32 v31, v30
	v_cmp_eq_u32_e64 s16, 0, v33
	v_min_u32_e32 v31, 32, v31
	v_subrev_nc_u32_e32 v32, 29, v31
	v_sub_nc_u32_e32 v31, 30, v31
	v_lshlrev_b32_sdwa v32, v32, v9 dst_sel:DWORD dst_unused:UNUSED_PAD src0_sel:DWORD src1_sel:WORD_1
	v_cndmask_b32_e64 v31, v33, v31, s16
	v_and_b32_e32 v32, 3, v32
	v_lshl_add_u32 v31, v31, 23, 0x37800000
	v_cndmask_b32_e64 v30, v30, v32, s16
	v_and_b32_e32 v32, 0x80000000, v34
	v_lshlrev_b32_e32 v30, 21, v30
	v_or3_b32 v30, v32, v31, v30
.LBB6_2031:                             ;   in Loop: Header=BB6_1899 Depth=4
	s_or_b32 exec_lo, exec_lo, s72
	v_mul_f32_e32 v30, v29, v30
	v_and_b32_e32 v29, 0x7f800000, v30
	v_cmp_ne_u32_e64 s16, 0x7f800000, v29
	v_mov_b32_e32 v29, 0x80
	s_and_saveexec_b32 s72, s16
	s_cbranch_execz .LBB6_2039
; %bb.2032:                             ;   in Loop: Header=BB6_1899 Depth=4
	v_mov_b32_e32 v29, 0
	s_mov_b32 s73, exec_lo
	v_cmpx_ne_u32_e32 0, v30
	s_cbranch_execz .LBB6_2038
; %bb.2033:                             ;   in Loop: Header=BB6_1899 Depth=4
	v_bfe_u32 v29, v30, 23, 8
	v_and_b32_e32 v31, 0x7fffff, v30
	v_sub_nc_u32_e32 v32, 0x70, v29
	v_cmp_gt_u32_e64 s16, 0x71, v29
	v_or_b32_e32 v33, 0x800000, v31
	v_cndmask_b32_e64 v32, 0, v32, s16
	v_cmp_eq_u32_e64 s16, 0, v29
	v_add_nc_u32_e32 v29, 0xffffff91, v29
	v_cndmask_b32_e64 v32, v32, 0x6f, s16
	v_cndmask_b32_e64 v31, v33, v31, s16
	;; [unrolled: 1-line block ×3, first 2 shown]
	v_lshl_add_u32 v33, 0x200000, v32, -1
	v_lshrrev_b32_e32 v34, v32, v31
	v_lshlrev_b32_e64 v36, v32, 0x100000
	v_add_nc_u32_e32 v32, v32, v29
	v_and_b32_e32 v31, v33, v31
	v_bfe_u32 v35, v34, 21, 1
	v_cmp_eq_u32_e64 s17, v31, v36
	v_add_nc_u32_e32 v33, -1, v35
	v_cndmask_b32_e64 v31, 0, v33, s17
	v_lshrrev_b32_e32 v33, 23, v34
	s_mov_b32 s17, exec_lo
	v_add_nc_u32_e32 v31, v31, v34
	v_xor_b32_e32 v33, 1, v33
	v_and_b32_e32 v29, 0x1fffff, v31
	v_add_nc_u32_e32 v31, v29, v34
                                        ; implicit-def: $vgpr29
	v_cmpx_ne_u32_e64 v32, v33
	s_xor_b32 s17, exec_lo, s17
; %bb.2034:                             ;   in Loop: Header=BB6_1899 Depth=4
	v_cmp_lt_u32_e64 s16, 0xffffff, v31
	v_sub_nc_u32_e32 v29, v32, v33
	v_cndmask_b32_e64 v32, 0, 1, s16
	v_add_co_ci_u32_e64 v29, null, 0, v29, s16
	v_lshrrev_b32_e32 v31, v32, v31
; %bb.2035:                             ;   in Loop: Header=BB6_1899 Depth=4
	s_andn2_saveexec_b32 s16, s17
; %bb.2036:                             ;   in Loop: Header=BB6_1899 Depth=4
	v_bfe_u32 v29, v31, 23, 1
; %bb.2037:                             ;   in Loop: Header=BB6_1899 Depth=4
	s_or_b32 exec_lo, exec_lo, s16
	v_lshrrev_b32_e32 v31, 21, v31
	v_min_i32_e32 v32, 31, v29
	v_cmp_gt_i32_e64 s16, 32, v29
	v_and_b32_sdwa v30, v30, v60 dst_sel:DWORD dst_unused:UNUSED_PAD src0_sel:BYTE_3 src1_sel:DWORD
	v_lshlrev_b32_e32 v32, 2, v32
	v_cndmask_b32_e64 v31, 3, v31, s16
	v_and_b32_e32 v32, 0xfc, v32
	v_and_b32_e32 v33, 3, v31
	v_or_b32_e32 v29, v29, v31
	v_or3_b32 v30, v32, v30, v33
	v_cmp_ne_u32_e64 s16, 0, v29
	v_cndmask_b32_e64 v29, 0, v30, s16
.LBB6_2038:                             ;   in Loop: Header=BB6_1899 Depth=4
	s_or_b32 exec_lo, exec_lo, s73
.LBB6_2039:                             ;   in Loop: Header=BB6_1899 Depth=4
	s_or_b32 exec_lo, exec_lo, s72
	v_cmp_gt_i16_sdwa s17, v13, v59 src0_sel:BYTE_3 src1_sel:DWORD
	s_mov_b32 s16, 0
	s_and_saveexec_b32 s72, s17
	s_xor_b32 s17, exec_lo, s72
	s_cbranch_execz .LBB6_2245
; %bb.2040:                             ;   in Loop: Header=BB6_1899 Depth=4
	v_cmp_eq_u16_sdwa s73, v13, v60 src0_sel:BYTE_3 src1_sel:DWORD
	s_mov_b32 s16, -1
	s_and_saveexec_b32 s72, s73
; %bb.2041:                             ;   in Loop: Header=BB6_1899 Depth=4
	s_xor_b32 s16, exec_lo, -1
; %bb.2042:                             ;   in Loop: Header=BB6_1899 Depth=4
	s_or_b32 exec_lo, exec_lo, s72
	s_and_b32 s16, s16, exec_lo
	s_or_saveexec_b32 s17, s17
	v_mov_b32_e32 v30, 0x7f800001
	s_xor_b32 exec_lo, exec_lo, s17
	s_cbranch_execnz .LBB6_2246
.LBB6_2043:                             ;   in Loop: Header=BB6_1899 Depth=4
	s_or_b32 exec_lo, exec_lo, s17
	s_and_saveexec_b32 s17, s16
	s_cbranch_execz .LBB6_2045
.LBB6_2044:                             ;   in Loop: Header=BB6_1899 Depth=4
	v_bfe_u32 v30, v13, 24, 2
	v_bfe_u32 v33, v13, 26, 5
	v_ffbh_u32_e32 v31, v30
	v_cmp_eq_u32_e64 s16, 0, v33
	v_min_u32_e32 v31, 32, v31
	v_subrev_nc_u32_e32 v32, 29, v31
	v_sub_nc_u32_e32 v31, 30, v31
	v_lshlrev_b32_sdwa v32, v32, v13 dst_sel:DWORD dst_unused:UNUSED_PAD src0_sel:DWORD src1_sel:BYTE_3
	v_cndmask_b32_e64 v31, v33, v31, s16
	v_and_b32_e32 v13, 0x80000000, v13
	v_and_b32_e32 v32, 3, v32
	v_lshl_add_u32 v31, v31, 23, 0x37800000
	v_cndmask_b32_e64 v30, v30, v32, s16
	v_lshlrev_b32_e32 v30, 21, v30
	v_or3_b32 v30, v13, v31, v30
.LBB6_2045:                             ;   in Loop: Header=BB6_1899 Depth=4
	s_or_b32 exec_lo, exec_lo, s17
	v_cmp_gt_i16_sdwa s17, v9, v59 src0_sel:BYTE_3 src1_sel:DWORD
	s_mov_b32 s16, 0
	s_and_saveexec_b32 s72, s17
	s_xor_b32 s17, exec_lo, s72
	s_cbranch_execz .LBB6_2247
; %bb.2046:                             ;   in Loop: Header=BB6_1899 Depth=4
	v_cmp_eq_u16_sdwa s73, v9, v60 src0_sel:BYTE_3 src1_sel:DWORD
	s_mov_b32 s16, -1
	s_and_saveexec_b32 s72, s73
; %bb.2047:                             ;   in Loop: Header=BB6_1899 Depth=4
	s_xor_b32 s16, exec_lo, -1
; %bb.2048:                             ;   in Loop: Header=BB6_1899 Depth=4
	s_or_b32 exec_lo, exec_lo, s72
	s_and_b32 s16, s16, exec_lo
	s_or_saveexec_b32 s17, s17
	v_mov_b32_e32 v13, 0x7f800001
	s_xor_b32 exec_lo, exec_lo, s17
	s_cbranch_execnz .LBB6_2248
.LBB6_2049:                             ;   in Loop: Header=BB6_1899 Depth=4
	s_or_b32 exec_lo, exec_lo, s17
	s_and_saveexec_b32 s17, s16
	s_cbranch_execz .LBB6_2051
.LBB6_2050:                             ;   in Loop: Header=BB6_1899 Depth=4
	v_and_b32_sdwa v13, v9, v72 dst_sel:DWORD dst_unused:UNUSED_PAD src0_sel:BYTE_3 src1_sel:DWORD
	v_bfe_u32 v33, v9, 26, 5
	v_ffbh_u32_e32 v31, v13
	v_cmp_eq_u32_e64 s16, 0, v33
	v_min_u32_e32 v31, 32, v31
	v_subrev_nc_u32_e32 v32, 29, v31
	v_sub_nc_u32_e32 v31, 30, v31
	v_lshlrev_b32_sdwa v32, v32, v9 dst_sel:DWORD dst_unused:UNUSED_PAD src0_sel:DWORD src1_sel:BYTE_3
	v_cndmask_b32_e64 v31, v33, v31, s16
	v_and_b32_e32 v9, 0x80000000, v9
	v_and_b32_e32 v32, 3, v32
	v_lshl_add_u32 v31, v31, 23, 0x37800000
	v_cndmask_b32_e64 v13, v13, v32, s16
	v_lshlrev_b32_e32 v13, 21, v13
	v_or3_b32 v13, v9, v31, v13
.LBB6_2051:                             ;   in Loop: Header=BB6_1899 Depth=4
	s_or_b32 exec_lo, exec_lo, s17
	v_mul_f32_e32 v13, v30, v13
	v_and_b32_e32 v9, 0x7f800000, v13
	v_cmp_ne_u32_e64 s16, 0x7f800000, v9
	v_mov_b32_e32 v9, 0x8000
	s_and_saveexec_b32 s72, s16
	s_cbranch_execz .LBB6_2059
; %bb.2052:                             ;   in Loop: Header=BB6_1899 Depth=4
	v_mov_b32_e32 v9, 0
	s_mov_b32 s73, exec_lo
	v_cmpx_ne_u32_e32 0, v13
	s_cbranch_execz .LBB6_2058
; %bb.2053:                             ;   in Loop: Header=BB6_1899 Depth=4
	v_bfe_u32 v9, v13, 23, 8
	v_and_b32_e32 v30, 0x7fffff, v13
	v_sub_nc_u32_e32 v31, 0x70, v9
	v_cmp_gt_u32_e64 s16, 0x71, v9
	v_or_b32_e32 v32, 0x800000, v30
	v_cndmask_b32_e64 v31, 0, v31, s16
	v_cmp_eq_u32_e64 s16, 0, v9
	v_add_nc_u32_e32 v9, 0xffffff91, v9
	v_cndmask_b32_e64 v31, v31, 0x6f, s16
	v_cndmask_b32_e64 v30, v32, v30, s16
	v_cndmask_b32_e64 v9, v9, 0xffffff92, s16
	v_lshl_add_u32 v32, 0x200000, v31, -1
	v_lshrrev_b32_e32 v33, v31, v30
	v_lshlrev_b32_e64 v35, v31, 0x100000
	v_add_nc_u32_e32 v31, v31, v9
	v_and_b32_e32 v30, v32, v30
	v_bfe_u32 v34, v33, 21, 1
	v_cmp_eq_u32_e64 s17, v30, v35
	v_add_nc_u32_e32 v32, -1, v34
	v_cndmask_b32_e64 v30, 0, v32, s17
	v_lshrrev_b32_e32 v32, 23, v33
	s_mov_b32 s17, exec_lo
	v_add_nc_u32_e32 v30, v30, v33
	v_xor_b32_e32 v32, 1, v32
	v_and_b32_e32 v9, 0x1fffff, v30
	v_add_nc_u32_e32 v30, v9, v33
                                        ; implicit-def: $vgpr9
	v_cmpx_ne_u32_e64 v31, v32
	s_xor_b32 s17, exec_lo, s17
; %bb.2054:                             ;   in Loop: Header=BB6_1899 Depth=4
	v_cmp_lt_u32_e64 s16, 0xffffff, v30
	v_sub_nc_u32_e32 v9, v31, v32
	v_cndmask_b32_e64 v31, 0, 1, s16
	v_add_co_ci_u32_e64 v9, null, 0, v9, s16
	v_lshrrev_b32_e32 v30, v31, v30
; %bb.2055:                             ;   in Loop: Header=BB6_1899 Depth=4
	s_andn2_saveexec_b32 s16, s17
; %bb.2056:                             ;   in Loop: Header=BB6_1899 Depth=4
	v_bfe_u32 v9, v30, 23, 1
; %bb.2057:                             ;   in Loop: Header=BB6_1899 Depth=4
	s_or_b32 exec_lo, exec_lo, s16
	v_lshrrev_b32_e32 v30, 21, v30
	v_min_i32_e32 v31, 31, v9
	v_cmp_gt_i32_e64 s16, 32, v9
	v_and_b32_sdwa v13, v13, v60 dst_sel:DWORD dst_unused:UNUSED_PAD src0_sel:BYTE_3 src1_sel:DWORD
	v_lshlrev_b32_e32 v31, 2, v31
	v_cndmask_b32_e64 v30, 3, v30, s16
	v_and_b32_e32 v31, 0xfc, v31
	v_and_b32_e32 v32, 3, v30
	v_or_b32_e32 v9, v9, v30
	v_or3_b32 v13, v13, v31, v32
	v_cmp_ne_u32_e64 s16, 0, v9
	v_lshlrev_b32_e32 v13, 8, v13
	v_cndmask_b32_e64 v9, 0, v13, s16
.LBB6_2058:                             ;   in Loop: Header=BB6_1899 Depth=4
	s_or_b32 exec_lo, exec_lo, s73
.LBB6_2059:                             ;   in Loop: Header=BB6_1899 Depth=4
	s_or_b32 exec_lo, exec_lo, s72
	v_cmp_gt_i16_sdwa s17, v14, v59 src0_sel:BYTE_0 src1_sel:DWORD
	s_mov_b32 s16, 0
	s_and_saveexec_b32 s72, s17
	s_xor_b32 s17, exec_lo, s72
	s_cbranch_execz .LBB6_2249
; %bb.2060:                             ;   in Loop: Header=BB6_1899 Depth=4
	v_cmp_eq_u16_sdwa s73, v14, v60 src0_sel:BYTE_0 src1_sel:DWORD
	s_mov_b32 s16, -1
	s_and_saveexec_b32 s72, s73
; %bb.2061:                             ;   in Loop: Header=BB6_1899 Depth=4
	s_xor_b32 s16, exec_lo, -1
; %bb.2062:                             ;   in Loop: Header=BB6_1899 Depth=4
	s_or_b32 exec_lo, exec_lo, s72
	s_and_b32 s16, s16, exec_lo
	s_or_saveexec_b32 s17, s17
	v_mov_b32_e32 v13, 0x7f800001
	s_xor_b32 exec_lo, exec_lo, s17
	s_cbranch_execnz .LBB6_2250
.LBB6_2063:                             ;   in Loop: Header=BB6_1899 Depth=4
	s_or_b32 exec_lo, exec_lo, s17
	s_and_saveexec_b32 s17, s16
	s_cbranch_execz .LBB6_2065
.LBB6_2064:                             ;   in Loop: Header=BB6_1899 Depth=4
	v_and_b32_e32 v13, 3, v14
	v_bfe_u32 v32, v14, 2, 5
	v_lshlrev_b32_e32 v33, 24, v14
	v_ffbh_u32_e32 v30, v13
	v_cmp_eq_u32_e64 s16, 0, v32
	v_min_u32_e32 v30, 32, v30
	v_subrev_nc_u32_e32 v31, 29, v30
	v_sub_nc_u32_e32 v30, 30, v30
	v_lshlrev_b32_e32 v31, v31, v14
	v_cndmask_b32_e64 v30, v32, v30, s16
	v_and_b32_e32 v31, 3, v31
	v_lshl_add_u32 v30, v30, 23, 0x37800000
	v_cndmask_b32_e64 v13, v13, v31, s16
	v_and_b32_e32 v31, 0x80000000, v33
	v_lshlrev_b32_e32 v13, 21, v13
	v_or3_b32 v13, v31, v30, v13
.LBB6_2065:                             ;   in Loop: Header=BB6_1899 Depth=4
	s_or_b32 exec_lo, exec_lo, s17
	v_cmp_gt_i16_sdwa s17, v10, v59 src0_sel:BYTE_0 src1_sel:DWORD
	s_mov_b32 s16, 0
	s_and_saveexec_b32 s72, s17
	s_xor_b32 s17, exec_lo, s72
	s_cbranch_execz .LBB6_2251
; %bb.2066:                             ;   in Loop: Header=BB6_1899 Depth=4
	v_cmp_eq_u16_sdwa s73, v10, v60 src0_sel:BYTE_0 src1_sel:DWORD
	s_mov_b32 s16, -1
	s_and_saveexec_b32 s72, s73
; %bb.2067:                             ;   in Loop: Header=BB6_1899 Depth=4
	s_xor_b32 s16, exec_lo, -1
; %bb.2068:                             ;   in Loop: Header=BB6_1899 Depth=4
	s_or_b32 exec_lo, exec_lo, s72
	s_and_b32 s16, s16, exec_lo
	s_or_saveexec_b32 s17, s17
	v_mov_b32_e32 v30, 0x7f800001
	s_xor_b32 exec_lo, exec_lo, s17
	s_cbranch_execnz .LBB6_2252
.LBB6_2069:                             ;   in Loop: Header=BB6_1899 Depth=4
	s_or_b32 exec_lo, exec_lo, s17
	s_and_saveexec_b32 s17, s16
	s_cbranch_execz .LBB6_2071
.LBB6_2070:                             ;   in Loop: Header=BB6_1899 Depth=4
	v_and_b32_e32 v30, 3, v10
	v_bfe_u32 v33, v10, 2, 5
	v_lshlrev_b32_e32 v34, 24, v10
	v_ffbh_u32_e32 v31, v30
	v_cmp_eq_u32_e64 s16, 0, v33
	v_min_u32_e32 v31, 32, v31
	v_subrev_nc_u32_e32 v32, 29, v31
	v_sub_nc_u32_e32 v31, 30, v31
	v_lshlrev_b32_e32 v32, v32, v10
	v_cndmask_b32_e64 v31, v33, v31, s16
	v_and_b32_e32 v32, 3, v32
	v_lshl_add_u32 v31, v31, 23, 0x37800000
	v_cndmask_b32_e64 v30, v30, v32, s16
	v_and_b32_e32 v32, 0x80000000, v34
	v_lshlrev_b32_e32 v30, 21, v30
	v_or3_b32 v30, v32, v31, v30
.LBB6_2071:                             ;   in Loop: Header=BB6_1899 Depth=4
	s_or_b32 exec_lo, exec_lo, s17
	v_mul_f32_e32 v30, v13, v30
	v_and_b32_e32 v13, 0x7f800000, v30
	v_cmp_ne_u32_e64 s16, 0x7f800000, v13
	v_mov_b32_e32 v13, 0x80
	s_and_saveexec_b32 s72, s16
	s_cbranch_execz .LBB6_2079
; %bb.2072:                             ;   in Loop: Header=BB6_1899 Depth=4
	v_mov_b32_e32 v13, 0
	s_mov_b32 s73, exec_lo
	v_cmpx_ne_u32_e32 0, v30
	s_cbranch_execz .LBB6_2078
; %bb.2073:                             ;   in Loop: Header=BB6_1899 Depth=4
	v_bfe_u32 v13, v30, 23, 8
	v_and_b32_e32 v31, 0x7fffff, v30
	v_sub_nc_u32_e32 v32, 0x70, v13
	v_cmp_gt_u32_e64 s16, 0x71, v13
	v_or_b32_e32 v33, 0x800000, v31
	v_cndmask_b32_e64 v32, 0, v32, s16
	v_cmp_eq_u32_e64 s16, 0, v13
	v_add_nc_u32_e32 v13, 0xffffff91, v13
	v_cndmask_b32_e64 v32, v32, 0x6f, s16
	v_cndmask_b32_e64 v31, v33, v31, s16
	;; [unrolled: 1-line block ×3, first 2 shown]
	v_lshl_add_u32 v33, 0x200000, v32, -1
	v_lshrrev_b32_e32 v34, v32, v31
	v_lshlrev_b32_e64 v36, v32, 0x100000
	v_add_nc_u32_e32 v32, v32, v13
	v_and_b32_e32 v31, v33, v31
	v_bfe_u32 v35, v34, 21, 1
	v_cmp_eq_u32_e64 s17, v31, v36
	v_add_nc_u32_e32 v33, -1, v35
	v_cndmask_b32_e64 v31, 0, v33, s17
	v_lshrrev_b32_e32 v33, 23, v34
	s_mov_b32 s17, exec_lo
	v_add_nc_u32_e32 v31, v31, v34
	v_xor_b32_e32 v33, 1, v33
	v_and_b32_e32 v13, 0x1fffff, v31
	v_add_nc_u32_e32 v31, v13, v34
                                        ; implicit-def: $vgpr13
	v_cmpx_ne_u32_e64 v32, v33
	s_xor_b32 s17, exec_lo, s17
; %bb.2074:                             ;   in Loop: Header=BB6_1899 Depth=4
	v_cmp_lt_u32_e64 s16, 0xffffff, v31
	v_sub_nc_u32_e32 v13, v32, v33
	v_cndmask_b32_e64 v32, 0, 1, s16
	v_add_co_ci_u32_e64 v13, null, 0, v13, s16
	v_lshrrev_b32_e32 v31, v32, v31
; %bb.2075:                             ;   in Loop: Header=BB6_1899 Depth=4
	s_andn2_saveexec_b32 s16, s17
; %bb.2076:                             ;   in Loop: Header=BB6_1899 Depth=4
	v_bfe_u32 v13, v31, 23, 1
; %bb.2077:                             ;   in Loop: Header=BB6_1899 Depth=4
	s_or_b32 exec_lo, exec_lo, s16
	v_lshrrev_b32_e32 v31, 21, v31
	v_min_i32_e32 v32, 31, v13
	v_cmp_gt_i32_e64 s16, 32, v13
	v_and_b32_sdwa v30, v30, v60 dst_sel:DWORD dst_unused:UNUSED_PAD src0_sel:BYTE_3 src1_sel:DWORD
	v_lshlrev_b32_e32 v32, 2, v32
	v_cndmask_b32_e64 v31, 3, v31, s16
	v_and_b32_e32 v32, 0xfc, v32
	v_and_b32_e32 v33, 3, v31
	v_or_b32_e32 v13, v13, v31
	v_or3_b32 v30, v32, v30, v33
	v_cmp_ne_u32_e64 s16, 0, v13
	v_cndmask_b32_e64 v13, 0, v30, s16
.LBB6_2078:                             ;   in Loop: Header=BB6_1899 Depth=4
	s_or_b32 exec_lo, exec_lo, s73
.LBB6_2079:                             ;   in Loop: Header=BB6_1899 Depth=4
	s_or_b32 exec_lo, exec_lo, s72
	v_cmp_gt_i16_sdwa s17, v14, v59 src0_sel:BYTE_1 src1_sel:DWORD
	s_mov_b32 s16, 0
	s_and_saveexec_b32 s72, s17
	s_xor_b32 s17, exec_lo, s72
	s_cbranch_execz .LBB6_2253
; %bb.2080:                             ;   in Loop: Header=BB6_1899 Depth=4
	v_cmp_eq_u16_sdwa s73, v14, v60 src0_sel:BYTE_1 src1_sel:DWORD
	s_mov_b32 s16, -1
	s_and_saveexec_b32 s72, s73
; %bb.2081:                             ;   in Loop: Header=BB6_1899 Depth=4
	s_xor_b32 s16, exec_lo, -1
; %bb.2082:                             ;   in Loop: Header=BB6_1899 Depth=4
	s_or_b32 exec_lo, exec_lo, s72
	s_and_b32 s16, s16, exec_lo
	s_or_saveexec_b32 s17, s17
	v_mov_b32_e32 v30, 0x7f800001
	s_xor_b32 exec_lo, exec_lo, s17
	s_cbranch_execnz .LBB6_2254
.LBB6_2083:                             ;   in Loop: Header=BB6_1899 Depth=4
	s_or_b32 exec_lo, exec_lo, s17
	s_and_saveexec_b32 s17, s16
	s_cbranch_execz .LBB6_2085
.LBB6_2084:                             ;   in Loop: Header=BB6_1899 Depth=4
	v_and_b32_sdwa v30, v61, v14 dst_sel:DWORD dst_unused:UNUSED_PAD src0_sel:DWORD src1_sel:BYTE_1
	v_and_b32_e32 v31, 3, v30
	v_bfe_u32 v34, v30, 2, 5
	v_ffbh_u32_e32 v32, v31
	v_cmp_eq_u32_e64 s16, 0, v34
	v_min_u32_e32 v32, 32, v32
	v_subrev_nc_u32_e32 v33, 29, v32
	v_sub_nc_u32_e32 v32, 30, v32
	v_lshlrev_b32_e32 v30, v33, v30
	v_lshlrev_b32_sdwa v33, v62, v14 dst_sel:DWORD dst_unused:UNUSED_PAD src0_sel:DWORD src1_sel:BYTE_1
	v_cndmask_b32_e64 v32, v34, v32, s16
	v_and_b32_e32 v30, 3, v30
	v_lshl_add_u32 v32, v32, 23, 0x37800000
	v_cndmask_b32_e64 v30, v31, v30, s16
	v_and_b32_e32 v31, 0x80000000, v33
	v_lshlrev_b32_e32 v30, 21, v30
	v_or3_b32 v30, v31, v32, v30
.LBB6_2085:                             ;   in Loop: Header=BB6_1899 Depth=4
	s_or_b32 exec_lo, exec_lo, s17
	v_cmp_gt_i16_sdwa s17, v10, v59 src0_sel:BYTE_1 src1_sel:DWORD
	s_mov_b32 s16, 0
	s_and_saveexec_b32 s72, s17
	s_xor_b32 s17, exec_lo, s72
	s_cbranch_execz .LBB6_2255
; %bb.2086:                             ;   in Loop: Header=BB6_1899 Depth=4
	v_cmp_eq_u16_sdwa s73, v10, v60 src0_sel:BYTE_1 src1_sel:DWORD
	s_mov_b32 s16, -1
	s_and_saveexec_b32 s72, s73
; %bb.2087:                             ;   in Loop: Header=BB6_1899 Depth=4
	s_xor_b32 s16, exec_lo, -1
; %bb.2088:                             ;   in Loop: Header=BB6_1899 Depth=4
	s_or_b32 exec_lo, exec_lo, s72
	s_and_b32 s16, s16, exec_lo
	s_or_saveexec_b32 s17, s17
	v_mov_b32_e32 v31, 0x7f800001
	s_xor_b32 exec_lo, exec_lo, s17
	s_cbranch_execnz .LBB6_2256
.LBB6_2089:                             ;   in Loop: Header=BB6_1899 Depth=4
	s_or_b32 exec_lo, exec_lo, s17
	s_and_saveexec_b32 s17, s16
	s_cbranch_execz .LBB6_2091
.LBB6_2090:                             ;   in Loop: Header=BB6_1899 Depth=4
	v_and_b32_sdwa v31, v61, v10 dst_sel:DWORD dst_unused:UNUSED_PAD src0_sel:DWORD src1_sel:BYTE_1
	v_and_b32_e32 v32, 3, v31
	v_bfe_u32 v35, v31, 2, 5
	v_ffbh_u32_e32 v33, v32
	v_cmp_eq_u32_e64 s16, 0, v35
	v_min_u32_e32 v33, 32, v33
	v_subrev_nc_u32_e32 v34, 29, v33
	v_sub_nc_u32_e32 v33, 30, v33
	v_lshlrev_b32_e32 v31, v34, v31
	v_lshlrev_b32_sdwa v34, v62, v10 dst_sel:DWORD dst_unused:UNUSED_PAD src0_sel:DWORD src1_sel:BYTE_1
	v_cndmask_b32_e64 v33, v35, v33, s16
	v_and_b32_e32 v31, 3, v31
	v_lshl_add_u32 v33, v33, 23, 0x37800000
	v_cndmask_b32_e64 v31, v32, v31, s16
	v_and_b32_e32 v32, 0x80000000, v34
	v_lshlrev_b32_e32 v31, 21, v31
	v_or3_b32 v31, v32, v33, v31
.LBB6_2091:                             ;   in Loop: Header=BB6_1899 Depth=4
	s_or_b32 exec_lo, exec_lo, s17
	v_mul_f32_e32 v31, v30, v31
	v_and_b32_e32 v30, 0x7f800000, v31
	v_cmp_ne_u32_e64 s16, 0x7f800000, v30
	v_mov_b32_e32 v30, 0x8000
	s_and_saveexec_b32 s72, s16
	s_cbranch_execz .LBB6_2099
; %bb.2092:                             ;   in Loop: Header=BB6_1899 Depth=4
	v_mov_b32_e32 v30, 0
	s_mov_b32 s73, exec_lo
	v_cmpx_ne_u32_e32 0, v31
	s_cbranch_execz .LBB6_2098
; %bb.2093:                             ;   in Loop: Header=BB6_1899 Depth=4
	v_bfe_u32 v30, v31, 23, 8
	v_and_b32_e32 v32, 0x7fffff, v31
	v_sub_nc_u32_e32 v33, 0x70, v30
	v_cmp_gt_u32_e64 s16, 0x71, v30
	v_or_b32_e32 v34, 0x800000, v32
	v_cndmask_b32_e64 v33, 0, v33, s16
	v_cmp_eq_u32_e64 s16, 0, v30
	v_add_nc_u32_e32 v30, 0xffffff91, v30
	v_cndmask_b32_e64 v33, v33, 0x6f, s16
	v_cndmask_b32_e64 v32, v34, v32, s16
	;; [unrolled: 1-line block ×3, first 2 shown]
	v_lshl_add_u32 v34, 0x200000, v33, -1
	v_lshrrev_b32_e32 v35, v33, v32
	v_lshlrev_b32_e64 v37, v33, 0x100000
	v_add_nc_u32_e32 v33, v33, v30
	v_and_b32_e32 v32, v34, v32
	v_bfe_u32 v36, v35, 21, 1
	v_cmp_eq_u32_e64 s17, v32, v37
	v_add_nc_u32_e32 v34, -1, v36
	v_cndmask_b32_e64 v32, 0, v34, s17
	v_lshrrev_b32_e32 v34, 23, v35
	s_mov_b32 s17, exec_lo
	v_add_nc_u32_e32 v32, v32, v35
	v_xor_b32_e32 v34, 1, v34
	v_and_b32_e32 v30, 0x1fffff, v32
	v_add_nc_u32_e32 v32, v30, v35
                                        ; implicit-def: $vgpr30
	v_cmpx_ne_u32_e64 v33, v34
	s_xor_b32 s17, exec_lo, s17
; %bb.2094:                             ;   in Loop: Header=BB6_1899 Depth=4
	v_cmp_lt_u32_e64 s16, 0xffffff, v32
	v_sub_nc_u32_e32 v30, v33, v34
	v_cndmask_b32_e64 v33, 0, 1, s16
	v_add_co_ci_u32_e64 v30, null, 0, v30, s16
	v_lshrrev_b32_e32 v32, v33, v32
; %bb.2095:                             ;   in Loop: Header=BB6_1899 Depth=4
	s_andn2_saveexec_b32 s16, s17
; %bb.2096:                             ;   in Loop: Header=BB6_1899 Depth=4
	v_bfe_u32 v30, v32, 23, 1
; %bb.2097:                             ;   in Loop: Header=BB6_1899 Depth=4
	s_or_b32 exec_lo, exec_lo, s16
	v_lshrrev_b32_e32 v32, 21, v32
	v_min_i32_e32 v33, 31, v30
	v_cmp_gt_i32_e64 s16, 32, v30
	v_and_b32_sdwa v31, v31, v60 dst_sel:DWORD dst_unused:UNUSED_PAD src0_sel:BYTE_3 src1_sel:DWORD
	v_lshlrev_b32_e32 v33, 2, v33
	v_cndmask_b32_e64 v32, 3, v32, s16
	v_and_b32_e32 v33, 0xfc, v33
	v_and_b32_e32 v34, 3, v32
	v_or_b32_e32 v30, v30, v32
	v_or3_b32 v31, v31, v33, v34
	v_cmp_ne_u32_e64 s16, 0, v30
	v_lshlrev_b32_e32 v31, 8, v31
	v_cndmask_b32_e64 v30, 0, v31, s16
.LBB6_2098:                             ;   in Loop: Header=BB6_1899 Depth=4
	s_or_b32 exec_lo, exec_lo, s73
.LBB6_2099:                             ;   in Loop: Header=BB6_1899 Depth=4
	s_or_b32 exec_lo, exec_lo, s72
	v_and_b32_sdwa v32, v14, v63 dst_sel:DWORD dst_unused:UNUSED_PAD src0_sel:WORD_1 src1_sel:DWORD
	s_mov_b32 s17, 0
	s_mov_b32 s72, exec_lo
	v_cmpx_lt_i16_e32 0x7f, v32
	s_xor_b32 s72, exec_lo, s72
	s_cbranch_execz .LBB6_2257
; %bb.2100:                             ;   in Loop: Header=BB6_1899 Depth=4
	s_mov_b32 s17, -1
	s_mov_b32 s73, exec_lo
	v_cmpx_eq_u16_e32 0x80, v32
; %bb.2101:                             ;   in Loop: Header=BB6_1899 Depth=4
	s_xor_b32 s17, exec_lo, -1
; %bb.2102:                             ;   in Loop: Header=BB6_1899 Depth=4
	s_or_b32 exec_lo, exec_lo, s73
	s_and_b32 s17, s17, exec_lo
                                        ; implicit-def: $vgpr32
	s_or_saveexec_b32 s72, s72
	v_mov_b32_e32 v31, 0x7f800001
	s_xor_b32 exec_lo, exec_lo, s72
	s_cbranch_execnz .LBB6_2258
.LBB6_2103:                             ;   in Loop: Header=BB6_1899 Depth=4
	s_or_b32 exec_lo, exec_lo, s72
	s_and_saveexec_b32 s72, s17
	s_cbranch_execz .LBB6_2105
.LBB6_2104:                             ;   in Loop: Header=BB6_1899 Depth=4
	v_bfe_u32 v31, v14, 16, 2
	v_bfe_u32 v34, v14, 18, 5
	v_lshlrev_b32_e32 v35, 8, v14
	v_ffbh_u32_e32 v32, v31
	v_cmp_eq_u32_e64 s16, 0, v34
	v_min_u32_e32 v32, 32, v32
	v_subrev_nc_u32_e32 v33, 29, v32
	v_sub_nc_u32_e32 v32, 30, v32
	v_lshlrev_b32_sdwa v33, v33, v14 dst_sel:DWORD dst_unused:UNUSED_PAD src0_sel:DWORD src1_sel:WORD_1
	v_cndmask_b32_e64 v32, v34, v32, s16
	v_and_b32_e32 v33, 3, v33
	v_lshl_add_u32 v32, v32, 23, 0x37800000
	v_cndmask_b32_e64 v31, v31, v33, s16
	v_and_b32_e32 v33, 0x80000000, v35
	v_lshlrev_b32_e32 v31, 21, v31
	v_or3_b32 v31, v33, v32, v31
.LBB6_2105:                             ;   in Loop: Header=BB6_1899 Depth=4
	s_or_b32 exec_lo, exec_lo, s72
	v_and_b32_sdwa v33, v10, v63 dst_sel:DWORD dst_unused:UNUSED_PAD src0_sel:WORD_1 src1_sel:DWORD
	s_mov_b32 s17, 0
	s_mov_b32 s72, exec_lo
	v_cmpx_lt_i16_e32 0x7f, v33
	s_xor_b32 s72, exec_lo, s72
	s_cbranch_execz .LBB6_2259
; %bb.2106:                             ;   in Loop: Header=BB6_1899 Depth=4
	s_mov_b32 s17, -1
	s_mov_b32 s73, exec_lo
	v_cmpx_eq_u16_e32 0x80, v33
; %bb.2107:                             ;   in Loop: Header=BB6_1899 Depth=4
	s_xor_b32 s17, exec_lo, -1
; %bb.2108:                             ;   in Loop: Header=BB6_1899 Depth=4
	s_or_b32 exec_lo, exec_lo, s73
	s_and_b32 s17, s17, exec_lo
                                        ; implicit-def: $vgpr33
	s_or_saveexec_b32 s72, s72
	v_mov_b32_e32 v32, 0x7f800001
	s_xor_b32 exec_lo, exec_lo, s72
	s_cbranch_execnz .LBB6_2260
.LBB6_2109:                             ;   in Loop: Header=BB6_1899 Depth=4
	s_or_b32 exec_lo, exec_lo, s72
	s_and_saveexec_b32 s72, s17
	s_cbranch_execz .LBB6_2111
.LBB6_2110:                             ;   in Loop: Header=BB6_1899 Depth=4
	v_and_b32_sdwa v32, v10, v72 dst_sel:DWORD dst_unused:UNUSED_PAD src0_sel:WORD_1 src1_sel:DWORD
	v_bfe_u32 v35, v10, 18, 5
	v_lshlrev_b32_sdwa v36, v62, v10 dst_sel:DWORD dst_unused:UNUSED_PAD src0_sel:DWORD src1_sel:WORD_1
	v_ffbh_u32_e32 v33, v32
	v_cmp_eq_u32_e64 s16, 0, v35
	v_min_u32_e32 v33, 32, v33
	v_subrev_nc_u32_e32 v34, 29, v33
	v_sub_nc_u32_e32 v33, 30, v33
	v_lshlrev_b32_sdwa v34, v34, v10 dst_sel:DWORD dst_unused:UNUSED_PAD src0_sel:DWORD src1_sel:WORD_1
	v_cndmask_b32_e64 v33, v35, v33, s16
	v_and_b32_e32 v34, 3, v34
	v_lshl_add_u32 v33, v33, 23, 0x37800000
	v_cndmask_b32_e64 v32, v32, v34, s16
	v_and_b32_e32 v34, 0x80000000, v36
	v_lshlrev_b32_e32 v32, 21, v32
	v_or3_b32 v32, v34, v33, v32
.LBB6_2111:                             ;   in Loop: Header=BB6_1899 Depth=4
	s_or_b32 exec_lo, exec_lo, s72
	v_mul_f32_e32 v32, v31, v32
	v_and_b32_e32 v31, 0x7f800000, v32
	v_cmp_ne_u32_e64 s16, 0x7f800000, v31
	v_mov_b32_e32 v31, 0x80
	s_and_saveexec_b32 s72, s16
	s_cbranch_execz .LBB6_2119
; %bb.2112:                             ;   in Loop: Header=BB6_1899 Depth=4
	v_mov_b32_e32 v31, 0
	s_mov_b32 s73, exec_lo
	v_cmpx_ne_u32_e32 0, v32
	s_cbranch_execz .LBB6_2118
; %bb.2113:                             ;   in Loop: Header=BB6_1899 Depth=4
	v_bfe_u32 v31, v32, 23, 8
	v_and_b32_e32 v33, 0x7fffff, v32
	v_sub_nc_u32_e32 v34, 0x70, v31
	v_cmp_gt_u32_e64 s16, 0x71, v31
	v_or_b32_e32 v35, 0x800000, v33
	v_cndmask_b32_e64 v34, 0, v34, s16
	v_cmp_eq_u32_e64 s16, 0, v31
	v_add_nc_u32_e32 v31, 0xffffff91, v31
	v_cndmask_b32_e64 v34, v34, 0x6f, s16
	v_cndmask_b32_e64 v33, v35, v33, s16
	v_cndmask_b32_e64 v31, v31, 0xffffff92, s16
	v_lshl_add_u32 v35, 0x200000, v34, -1
	v_lshrrev_b32_e32 v36, v34, v33
	v_lshlrev_b32_e64 v38, v34, 0x100000
	v_add_nc_u32_e32 v34, v34, v31
	v_and_b32_e32 v33, v35, v33
	v_bfe_u32 v37, v36, 21, 1
	v_cmp_eq_u32_e64 s17, v33, v38
	v_add_nc_u32_e32 v35, -1, v37
	v_cndmask_b32_e64 v33, 0, v35, s17
	v_lshrrev_b32_e32 v35, 23, v36
	s_mov_b32 s17, exec_lo
	v_add_nc_u32_e32 v33, v33, v36
	v_xor_b32_e32 v35, 1, v35
	v_and_b32_e32 v31, 0x1fffff, v33
	v_add_nc_u32_e32 v33, v31, v36
                                        ; implicit-def: $vgpr31
	v_cmpx_ne_u32_e64 v34, v35
	s_xor_b32 s17, exec_lo, s17
; %bb.2114:                             ;   in Loop: Header=BB6_1899 Depth=4
	v_cmp_lt_u32_e64 s16, 0xffffff, v33
	v_sub_nc_u32_e32 v31, v34, v35
	v_cndmask_b32_e64 v34, 0, 1, s16
	v_add_co_ci_u32_e64 v31, null, 0, v31, s16
	v_lshrrev_b32_e32 v33, v34, v33
; %bb.2115:                             ;   in Loop: Header=BB6_1899 Depth=4
	s_andn2_saveexec_b32 s16, s17
; %bb.2116:                             ;   in Loop: Header=BB6_1899 Depth=4
	v_bfe_u32 v31, v33, 23, 1
; %bb.2117:                             ;   in Loop: Header=BB6_1899 Depth=4
	s_or_b32 exec_lo, exec_lo, s16
	v_lshrrev_b32_e32 v33, 21, v33
	v_min_i32_e32 v34, 31, v31
	v_cmp_gt_i32_e64 s16, 32, v31
	v_and_b32_sdwa v32, v32, v60 dst_sel:DWORD dst_unused:UNUSED_PAD src0_sel:BYTE_3 src1_sel:DWORD
	v_lshlrev_b32_e32 v34, 2, v34
	v_cndmask_b32_e64 v33, 3, v33, s16
	v_and_b32_e32 v34, 0xfc, v34
	v_and_b32_e32 v35, 3, v33
	v_or_b32_e32 v31, v31, v33
	v_or3_b32 v32, v34, v32, v35
	v_cmp_ne_u32_e64 s16, 0, v31
	v_cndmask_b32_e64 v31, 0, v32, s16
.LBB6_2118:                             ;   in Loop: Header=BB6_1899 Depth=4
	s_or_b32 exec_lo, exec_lo, s73
.LBB6_2119:                             ;   in Loop: Header=BB6_1899 Depth=4
	s_or_b32 exec_lo, exec_lo, s72
	v_cmp_gt_i16_sdwa s17, v14, v59 src0_sel:BYTE_3 src1_sel:DWORD
	s_mov_b32 s16, 0
	s_and_saveexec_b32 s72, s17
	s_xor_b32 s17, exec_lo, s72
	s_cbranch_execz .LBB6_2261
; %bb.2120:                             ;   in Loop: Header=BB6_1899 Depth=4
	v_cmp_eq_u16_sdwa s73, v14, v60 src0_sel:BYTE_3 src1_sel:DWORD
	s_mov_b32 s16, -1
	s_and_saveexec_b32 s72, s73
; %bb.2121:                             ;   in Loop: Header=BB6_1899 Depth=4
	s_xor_b32 s16, exec_lo, -1
; %bb.2122:                             ;   in Loop: Header=BB6_1899 Depth=4
	s_or_b32 exec_lo, exec_lo, s72
	s_and_b32 s16, s16, exec_lo
	s_or_saveexec_b32 s17, s17
	v_mov_b32_e32 v32, 0x7f800001
	s_xor_b32 exec_lo, exec_lo, s17
	s_cbranch_execnz .LBB6_2262
.LBB6_2123:                             ;   in Loop: Header=BB6_1899 Depth=4
	s_or_b32 exec_lo, exec_lo, s17
	s_and_saveexec_b32 s17, s16
	s_cbranch_execz .LBB6_2125
.LBB6_2124:                             ;   in Loop: Header=BB6_1899 Depth=4
	v_bfe_u32 v32, v14, 24, 2
	v_bfe_u32 v35, v14, 26, 5
	v_ffbh_u32_e32 v33, v32
	v_cmp_eq_u32_e64 s16, 0, v35
	v_min_u32_e32 v33, 32, v33
	v_subrev_nc_u32_e32 v34, 29, v33
	v_sub_nc_u32_e32 v33, 30, v33
	v_lshlrev_b32_sdwa v34, v34, v14 dst_sel:DWORD dst_unused:UNUSED_PAD src0_sel:DWORD src1_sel:BYTE_3
	v_cndmask_b32_e64 v33, v35, v33, s16
	v_and_b32_e32 v14, 0x80000000, v14
	v_and_b32_e32 v34, 3, v34
	v_lshl_add_u32 v33, v33, 23, 0x37800000
	v_cndmask_b32_e64 v32, v32, v34, s16
	v_lshlrev_b32_e32 v32, 21, v32
	v_or3_b32 v32, v14, v33, v32
.LBB6_2125:                             ;   in Loop: Header=BB6_1899 Depth=4
	s_or_b32 exec_lo, exec_lo, s17
	v_cmp_gt_i16_sdwa s17, v10, v59 src0_sel:BYTE_3 src1_sel:DWORD
	s_mov_b32 s16, 0
	s_and_saveexec_b32 s72, s17
	s_xor_b32 s17, exec_lo, s72
	s_cbranch_execz .LBB6_2263
; %bb.2126:                             ;   in Loop: Header=BB6_1899 Depth=4
	v_cmp_eq_u16_sdwa s73, v10, v60 src0_sel:BYTE_3 src1_sel:DWORD
	s_mov_b32 s16, -1
	s_and_saveexec_b32 s72, s73
; %bb.2127:                             ;   in Loop: Header=BB6_1899 Depth=4
	s_xor_b32 s16, exec_lo, -1
; %bb.2128:                             ;   in Loop: Header=BB6_1899 Depth=4
	s_or_b32 exec_lo, exec_lo, s72
	s_and_b32 s16, s16, exec_lo
	s_or_saveexec_b32 s17, s17
	v_mov_b32_e32 v14, 0x7f800001
	s_xor_b32 exec_lo, exec_lo, s17
	s_cbranch_execnz .LBB6_2264
.LBB6_2129:                             ;   in Loop: Header=BB6_1899 Depth=4
	s_or_b32 exec_lo, exec_lo, s17
	s_and_saveexec_b32 s17, s16
	s_cbranch_execz .LBB6_2131
.LBB6_2130:                             ;   in Loop: Header=BB6_1899 Depth=4
	v_and_b32_sdwa v14, v10, v72 dst_sel:DWORD dst_unused:UNUSED_PAD src0_sel:BYTE_3 src1_sel:DWORD
	v_bfe_u32 v35, v10, 26, 5
	v_ffbh_u32_e32 v33, v14
	v_cmp_eq_u32_e64 s16, 0, v35
	v_min_u32_e32 v33, 32, v33
	v_subrev_nc_u32_e32 v34, 29, v33
	v_sub_nc_u32_e32 v33, 30, v33
	v_lshlrev_b32_sdwa v34, v34, v10 dst_sel:DWORD dst_unused:UNUSED_PAD src0_sel:DWORD src1_sel:BYTE_3
	v_cndmask_b32_e64 v33, v35, v33, s16
	v_and_b32_e32 v10, 0x80000000, v10
	v_and_b32_e32 v34, 3, v34
	v_lshl_add_u32 v33, v33, 23, 0x37800000
	v_cndmask_b32_e64 v14, v14, v34, s16
	v_lshlrev_b32_e32 v14, 21, v14
	v_or3_b32 v14, v10, v33, v14
.LBB6_2131:                             ;   in Loop: Header=BB6_1899 Depth=4
	s_or_b32 exec_lo, exec_lo, s17
	v_mul_f32_e32 v14, v32, v14
	v_and_b32_e32 v10, 0x7f800000, v14
	v_cmp_ne_u32_e64 s16, 0x7f800000, v10
	v_mov_b32_e32 v10, 0x8000
	s_and_saveexec_b32 s72, s16
	s_cbranch_execz .LBB6_2139
; %bb.2132:                             ;   in Loop: Header=BB6_1899 Depth=4
	v_mov_b32_e32 v10, 0
	s_mov_b32 s73, exec_lo
	v_cmpx_ne_u32_e32 0, v14
	s_cbranch_execz .LBB6_2138
; %bb.2133:                             ;   in Loop: Header=BB6_1899 Depth=4
	v_bfe_u32 v10, v14, 23, 8
	v_and_b32_e32 v32, 0x7fffff, v14
	v_sub_nc_u32_e32 v33, 0x70, v10
	v_cmp_gt_u32_e64 s16, 0x71, v10
	v_or_b32_e32 v34, 0x800000, v32
	v_cndmask_b32_e64 v33, 0, v33, s16
	v_cmp_eq_u32_e64 s16, 0, v10
	v_add_nc_u32_e32 v10, 0xffffff91, v10
	v_cndmask_b32_e64 v33, v33, 0x6f, s16
	v_cndmask_b32_e64 v32, v34, v32, s16
	;; [unrolled: 1-line block ×3, first 2 shown]
	v_lshl_add_u32 v34, 0x200000, v33, -1
	v_lshrrev_b32_e32 v35, v33, v32
	v_lshlrev_b32_e64 v37, v33, 0x100000
	v_add_nc_u32_e32 v33, v33, v10
	v_and_b32_e32 v32, v34, v32
	v_bfe_u32 v36, v35, 21, 1
	v_cmp_eq_u32_e64 s17, v32, v37
	v_add_nc_u32_e32 v34, -1, v36
	v_cndmask_b32_e64 v32, 0, v34, s17
	v_lshrrev_b32_e32 v34, 23, v35
	s_mov_b32 s17, exec_lo
	v_add_nc_u32_e32 v32, v32, v35
	v_xor_b32_e32 v34, 1, v34
	v_and_b32_e32 v10, 0x1fffff, v32
	v_add_nc_u32_e32 v32, v10, v35
                                        ; implicit-def: $vgpr10
	v_cmpx_ne_u32_e64 v33, v34
	s_xor_b32 s17, exec_lo, s17
; %bb.2134:                             ;   in Loop: Header=BB6_1899 Depth=4
	v_cmp_lt_u32_e64 s16, 0xffffff, v32
	v_sub_nc_u32_e32 v10, v33, v34
	v_cndmask_b32_e64 v33, 0, 1, s16
	v_add_co_ci_u32_e64 v10, null, 0, v10, s16
	v_lshrrev_b32_e32 v32, v33, v32
; %bb.2135:                             ;   in Loop: Header=BB6_1899 Depth=4
	s_andn2_saveexec_b32 s16, s17
; %bb.2136:                             ;   in Loop: Header=BB6_1899 Depth=4
	v_bfe_u32 v10, v32, 23, 1
; %bb.2137:                             ;   in Loop: Header=BB6_1899 Depth=4
	s_or_b32 exec_lo, exec_lo, s16
	v_lshrrev_b32_e32 v32, 21, v32
	v_min_i32_e32 v33, 31, v10
	v_cmp_gt_i32_e64 s16, 32, v10
	v_and_b32_sdwa v14, v14, v60 dst_sel:DWORD dst_unused:UNUSED_PAD src0_sel:BYTE_3 src1_sel:DWORD
	v_lshlrev_b32_e32 v33, 2, v33
	v_cndmask_b32_e64 v32, 3, v32, s16
	v_and_b32_e32 v33, 0xfc, v33
	v_and_b32_e32 v34, 3, v32
	v_or_b32_e32 v10, v10, v32
	v_or3_b32 v14, v14, v33, v34
	v_cmp_ne_u32_e64 s16, 0, v10
	v_lshlrev_b32_e32 v14, 8, v14
	v_cndmask_b32_e64 v10, 0, v14, s16
.LBB6_2138:                             ;   in Loop: Header=BB6_1899 Depth=4
	s_or_b32 exec_lo, exec_lo, s73
.LBB6_2139:                             ;   in Loop: Header=BB6_1899 Depth=4
	s_or_b32 exec_lo, exec_lo, s72
	v_cmp_gt_i16_sdwa s17, v15, v59 src0_sel:BYTE_0 src1_sel:DWORD
	s_mov_b32 s16, 0
	s_and_saveexec_b32 s72, s17
	s_xor_b32 s17, exec_lo, s72
	s_cbranch_execz .LBB6_2265
; %bb.2140:                             ;   in Loop: Header=BB6_1899 Depth=4
	v_cmp_eq_u16_sdwa s73, v15, v60 src0_sel:BYTE_0 src1_sel:DWORD
	s_mov_b32 s16, -1
	s_and_saveexec_b32 s72, s73
; %bb.2141:                             ;   in Loop: Header=BB6_1899 Depth=4
	s_xor_b32 s16, exec_lo, -1
; %bb.2142:                             ;   in Loop: Header=BB6_1899 Depth=4
	s_or_b32 exec_lo, exec_lo, s72
	s_and_b32 s16, s16, exec_lo
	s_or_saveexec_b32 s17, s17
	v_mov_b32_e32 v14, 0x7f800001
	s_xor_b32 exec_lo, exec_lo, s17
	s_cbranch_execnz .LBB6_2266
.LBB6_2143:                             ;   in Loop: Header=BB6_1899 Depth=4
	s_or_b32 exec_lo, exec_lo, s17
	s_and_saveexec_b32 s17, s16
	s_cbranch_execz .LBB6_2145
.LBB6_2144:                             ;   in Loop: Header=BB6_1899 Depth=4
	v_and_b32_e32 v14, 3, v15
	v_bfe_u32 v34, v15, 2, 5
	v_lshlrev_b32_e32 v35, 24, v15
	v_ffbh_u32_e32 v32, v14
	v_cmp_eq_u32_e64 s16, 0, v34
	v_min_u32_e32 v32, 32, v32
	v_subrev_nc_u32_e32 v33, 29, v32
	v_sub_nc_u32_e32 v32, 30, v32
	v_lshlrev_b32_e32 v33, v33, v15
	v_cndmask_b32_e64 v32, v34, v32, s16
	v_and_b32_e32 v33, 3, v33
	v_lshl_add_u32 v32, v32, 23, 0x37800000
	v_cndmask_b32_e64 v14, v14, v33, s16
	v_and_b32_e32 v33, 0x80000000, v35
	v_lshlrev_b32_e32 v14, 21, v14
	v_or3_b32 v14, v33, v32, v14
.LBB6_2145:                             ;   in Loop: Header=BB6_1899 Depth=4
	s_or_b32 exec_lo, exec_lo, s17
	v_cmp_gt_i16_sdwa s17, v11, v59 src0_sel:BYTE_0 src1_sel:DWORD
	s_mov_b32 s16, 0
	s_and_saveexec_b32 s72, s17
	s_xor_b32 s17, exec_lo, s72
	s_cbranch_execz .LBB6_2267
; %bb.2146:                             ;   in Loop: Header=BB6_1899 Depth=4
	v_cmp_eq_u16_sdwa s73, v11, v60 src0_sel:BYTE_0 src1_sel:DWORD
	s_mov_b32 s16, -1
	s_and_saveexec_b32 s72, s73
; %bb.2147:                             ;   in Loop: Header=BB6_1899 Depth=4
	s_xor_b32 s16, exec_lo, -1
; %bb.2148:                             ;   in Loop: Header=BB6_1899 Depth=4
	s_or_b32 exec_lo, exec_lo, s72
	s_and_b32 s16, s16, exec_lo
	s_or_saveexec_b32 s17, s17
	v_mov_b32_e32 v32, 0x7f800001
	s_xor_b32 exec_lo, exec_lo, s17
	s_cbranch_execnz .LBB6_2268
.LBB6_2149:                             ;   in Loop: Header=BB6_1899 Depth=4
	s_or_b32 exec_lo, exec_lo, s17
	s_and_saveexec_b32 s17, s16
	s_cbranch_execz .LBB6_2151
.LBB6_2150:                             ;   in Loop: Header=BB6_1899 Depth=4
	v_and_b32_e32 v32, 3, v11
	v_bfe_u32 v35, v11, 2, 5
	v_lshlrev_b32_e32 v36, 24, v11
	v_ffbh_u32_e32 v33, v32
	v_cmp_eq_u32_e64 s16, 0, v35
	v_min_u32_e32 v33, 32, v33
	v_subrev_nc_u32_e32 v34, 29, v33
	v_sub_nc_u32_e32 v33, 30, v33
	v_lshlrev_b32_e32 v34, v34, v11
	v_cndmask_b32_e64 v33, v35, v33, s16
	v_and_b32_e32 v34, 3, v34
	v_lshl_add_u32 v33, v33, 23, 0x37800000
	v_cndmask_b32_e64 v32, v32, v34, s16
	v_and_b32_e32 v34, 0x80000000, v36
	v_lshlrev_b32_e32 v32, 21, v32
	v_or3_b32 v32, v34, v33, v32
.LBB6_2151:                             ;   in Loop: Header=BB6_1899 Depth=4
	s_or_b32 exec_lo, exec_lo, s17
	v_mul_f32_e32 v32, v14, v32
	v_and_b32_e32 v14, 0x7f800000, v32
	v_cmp_ne_u32_e64 s16, 0x7f800000, v14
	v_mov_b32_e32 v14, 0x80
	s_and_saveexec_b32 s72, s16
	s_cbranch_execz .LBB6_2159
; %bb.2152:                             ;   in Loop: Header=BB6_1899 Depth=4
	v_mov_b32_e32 v14, 0
	s_mov_b32 s73, exec_lo
	v_cmpx_ne_u32_e32 0, v32
	s_cbranch_execz .LBB6_2158
; %bb.2153:                             ;   in Loop: Header=BB6_1899 Depth=4
	v_bfe_u32 v14, v32, 23, 8
	v_and_b32_e32 v33, 0x7fffff, v32
	v_sub_nc_u32_e32 v34, 0x70, v14
	v_cmp_gt_u32_e64 s16, 0x71, v14
	v_or_b32_e32 v35, 0x800000, v33
	v_cndmask_b32_e64 v34, 0, v34, s16
	v_cmp_eq_u32_e64 s16, 0, v14
	v_add_nc_u32_e32 v14, 0xffffff91, v14
	v_cndmask_b32_e64 v34, v34, 0x6f, s16
	v_cndmask_b32_e64 v33, v35, v33, s16
	;; [unrolled: 1-line block ×3, first 2 shown]
	v_lshl_add_u32 v35, 0x200000, v34, -1
	v_lshrrev_b32_e32 v36, v34, v33
	v_lshlrev_b32_e64 v38, v34, 0x100000
	v_add_nc_u32_e32 v34, v34, v14
	v_and_b32_e32 v33, v35, v33
	v_bfe_u32 v37, v36, 21, 1
	v_cmp_eq_u32_e64 s17, v33, v38
	v_add_nc_u32_e32 v35, -1, v37
	v_cndmask_b32_e64 v33, 0, v35, s17
	v_lshrrev_b32_e32 v35, 23, v36
	s_mov_b32 s17, exec_lo
	v_add_nc_u32_e32 v33, v33, v36
	v_xor_b32_e32 v35, 1, v35
	v_and_b32_e32 v14, 0x1fffff, v33
	v_add_nc_u32_e32 v33, v14, v36
                                        ; implicit-def: $vgpr14
	v_cmpx_ne_u32_e64 v34, v35
	s_xor_b32 s17, exec_lo, s17
; %bb.2154:                             ;   in Loop: Header=BB6_1899 Depth=4
	v_cmp_lt_u32_e64 s16, 0xffffff, v33
	v_sub_nc_u32_e32 v14, v34, v35
	v_cndmask_b32_e64 v34, 0, 1, s16
	v_add_co_ci_u32_e64 v14, null, 0, v14, s16
	v_lshrrev_b32_e32 v33, v34, v33
; %bb.2155:                             ;   in Loop: Header=BB6_1899 Depth=4
	s_andn2_saveexec_b32 s16, s17
; %bb.2156:                             ;   in Loop: Header=BB6_1899 Depth=4
	v_bfe_u32 v14, v33, 23, 1
; %bb.2157:                             ;   in Loop: Header=BB6_1899 Depth=4
	s_or_b32 exec_lo, exec_lo, s16
	v_lshrrev_b32_e32 v33, 21, v33
	v_min_i32_e32 v34, 31, v14
	v_cmp_gt_i32_e64 s16, 32, v14
	v_and_b32_sdwa v32, v32, v60 dst_sel:DWORD dst_unused:UNUSED_PAD src0_sel:BYTE_3 src1_sel:DWORD
	v_lshlrev_b32_e32 v34, 2, v34
	v_cndmask_b32_e64 v33, 3, v33, s16
	v_and_b32_e32 v34, 0xfc, v34
	v_and_b32_e32 v35, 3, v33
	v_or_b32_e32 v14, v14, v33
	v_or3_b32 v32, v34, v32, v35
	v_cmp_ne_u32_e64 s16, 0, v14
	v_cndmask_b32_e64 v14, 0, v32, s16
.LBB6_2158:                             ;   in Loop: Header=BB6_1899 Depth=4
	s_or_b32 exec_lo, exec_lo, s73
.LBB6_2159:                             ;   in Loop: Header=BB6_1899 Depth=4
	s_or_b32 exec_lo, exec_lo, s72
	v_cmp_gt_i16_sdwa s17, v15, v59 src0_sel:BYTE_1 src1_sel:DWORD
	s_mov_b32 s16, 0
	s_and_saveexec_b32 s72, s17
	s_xor_b32 s17, exec_lo, s72
	s_cbranch_execz .LBB6_2269
; %bb.2160:                             ;   in Loop: Header=BB6_1899 Depth=4
	v_cmp_eq_u16_sdwa s73, v15, v60 src0_sel:BYTE_1 src1_sel:DWORD
	s_mov_b32 s16, -1
	s_and_saveexec_b32 s72, s73
; %bb.2161:                             ;   in Loop: Header=BB6_1899 Depth=4
	s_xor_b32 s16, exec_lo, -1
; %bb.2162:                             ;   in Loop: Header=BB6_1899 Depth=4
	s_or_b32 exec_lo, exec_lo, s72
	s_and_b32 s16, s16, exec_lo
	s_or_saveexec_b32 s17, s17
	v_mov_b32_e32 v32, 0x7f800001
	s_xor_b32 exec_lo, exec_lo, s17
	s_cbranch_execnz .LBB6_2270
.LBB6_2163:                             ;   in Loop: Header=BB6_1899 Depth=4
	s_or_b32 exec_lo, exec_lo, s17
	s_and_saveexec_b32 s17, s16
	s_cbranch_execz .LBB6_2165
.LBB6_2164:                             ;   in Loop: Header=BB6_1899 Depth=4
	v_and_b32_sdwa v32, v61, v15 dst_sel:DWORD dst_unused:UNUSED_PAD src0_sel:DWORD src1_sel:BYTE_1
	v_and_b32_e32 v33, 3, v32
	v_bfe_u32 v36, v32, 2, 5
	v_ffbh_u32_e32 v34, v33
	v_cmp_eq_u32_e64 s16, 0, v36
	v_min_u32_e32 v34, 32, v34
	v_subrev_nc_u32_e32 v35, 29, v34
	v_sub_nc_u32_e32 v34, 30, v34
	v_lshlrev_b32_e32 v32, v35, v32
	v_lshlrev_b32_sdwa v35, v62, v15 dst_sel:DWORD dst_unused:UNUSED_PAD src0_sel:DWORD src1_sel:BYTE_1
	v_cndmask_b32_e64 v34, v36, v34, s16
	v_and_b32_e32 v32, 3, v32
	v_lshl_add_u32 v34, v34, 23, 0x37800000
	v_cndmask_b32_e64 v32, v33, v32, s16
	v_and_b32_e32 v33, 0x80000000, v35
	v_lshlrev_b32_e32 v32, 21, v32
	v_or3_b32 v32, v33, v34, v32
.LBB6_2165:                             ;   in Loop: Header=BB6_1899 Depth=4
	s_or_b32 exec_lo, exec_lo, s17
	v_cmp_gt_i16_sdwa s17, v11, v59 src0_sel:BYTE_1 src1_sel:DWORD
	s_mov_b32 s16, 0
	s_and_saveexec_b32 s72, s17
	s_xor_b32 s17, exec_lo, s72
	s_cbranch_execz .LBB6_2271
; %bb.2166:                             ;   in Loop: Header=BB6_1899 Depth=4
	v_cmp_eq_u16_sdwa s73, v11, v60 src0_sel:BYTE_1 src1_sel:DWORD
	s_mov_b32 s16, -1
	s_and_saveexec_b32 s72, s73
; %bb.2167:                             ;   in Loop: Header=BB6_1899 Depth=4
	s_xor_b32 s16, exec_lo, -1
; %bb.2168:                             ;   in Loop: Header=BB6_1899 Depth=4
	s_or_b32 exec_lo, exec_lo, s72
	s_and_b32 s16, s16, exec_lo
	s_or_saveexec_b32 s17, s17
	v_mov_b32_e32 v33, 0x7f800001
	s_xor_b32 exec_lo, exec_lo, s17
	s_cbranch_execnz .LBB6_2272
.LBB6_2169:                             ;   in Loop: Header=BB6_1899 Depth=4
	s_or_b32 exec_lo, exec_lo, s17
	s_and_saveexec_b32 s17, s16
	s_cbranch_execz .LBB6_2171
.LBB6_2170:                             ;   in Loop: Header=BB6_1899 Depth=4
	v_and_b32_sdwa v33, v61, v11 dst_sel:DWORD dst_unused:UNUSED_PAD src0_sel:DWORD src1_sel:BYTE_1
	v_and_b32_e32 v34, 3, v33
	v_bfe_u32 v37, v33, 2, 5
	v_ffbh_u32_e32 v35, v34
	v_cmp_eq_u32_e64 s16, 0, v37
	v_min_u32_e32 v35, 32, v35
	v_subrev_nc_u32_e32 v36, 29, v35
	v_sub_nc_u32_e32 v35, 30, v35
	v_lshlrev_b32_e32 v33, v36, v33
	v_lshlrev_b32_sdwa v36, v62, v11 dst_sel:DWORD dst_unused:UNUSED_PAD src0_sel:DWORD src1_sel:BYTE_1
	v_cndmask_b32_e64 v35, v37, v35, s16
	v_and_b32_e32 v33, 3, v33
	v_lshl_add_u32 v35, v35, 23, 0x37800000
	v_cndmask_b32_e64 v33, v34, v33, s16
	v_and_b32_e32 v34, 0x80000000, v36
	v_lshlrev_b32_e32 v33, 21, v33
	v_or3_b32 v33, v34, v35, v33
.LBB6_2171:                             ;   in Loop: Header=BB6_1899 Depth=4
	s_or_b32 exec_lo, exec_lo, s17
	v_mul_f32_e32 v33, v32, v33
	v_and_b32_e32 v32, 0x7f800000, v33
	v_cmp_ne_u32_e64 s16, 0x7f800000, v32
	v_mov_b32_e32 v32, 0x8000
	s_and_saveexec_b32 s72, s16
	s_cbranch_execz .LBB6_2179
; %bb.2172:                             ;   in Loop: Header=BB6_1899 Depth=4
	v_mov_b32_e32 v32, 0
	s_mov_b32 s73, exec_lo
	v_cmpx_ne_u32_e32 0, v33
	s_cbranch_execz .LBB6_2178
; %bb.2173:                             ;   in Loop: Header=BB6_1899 Depth=4
	v_bfe_u32 v32, v33, 23, 8
	v_and_b32_e32 v34, 0x7fffff, v33
	v_sub_nc_u32_e32 v35, 0x70, v32
	v_cmp_gt_u32_e64 s16, 0x71, v32
	v_or_b32_e32 v36, 0x800000, v34
	v_cndmask_b32_e64 v35, 0, v35, s16
	v_cmp_eq_u32_e64 s16, 0, v32
	v_add_nc_u32_e32 v32, 0xffffff91, v32
	v_cndmask_b32_e64 v35, v35, 0x6f, s16
	v_cndmask_b32_e64 v34, v36, v34, s16
	;; [unrolled: 1-line block ×3, first 2 shown]
	v_lshl_add_u32 v36, 0x200000, v35, -1
	v_lshrrev_b32_e32 v37, v35, v34
	v_lshlrev_b32_e64 v39, v35, 0x100000
	v_add_nc_u32_e32 v35, v35, v32
	v_and_b32_e32 v34, v36, v34
	v_bfe_u32 v38, v37, 21, 1
	v_cmp_eq_u32_e64 s17, v34, v39
	v_add_nc_u32_e32 v36, -1, v38
	v_cndmask_b32_e64 v34, 0, v36, s17
	v_lshrrev_b32_e32 v36, 23, v37
	s_mov_b32 s17, exec_lo
	v_add_nc_u32_e32 v34, v34, v37
	v_xor_b32_e32 v36, 1, v36
	v_and_b32_e32 v32, 0x1fffff, v34
	v_add_nc_u32_e32 v34, v32, v37
                                        ; implicit-def: $vgpr32
	v_cmpx_ne_u32_e64 v35, v36
	s_xor_b32 s17, exec_lo, s17
; %bb.2174:                             ;   in Loop: Header=BB6_1899 Depth=4
	v_cmp_lt_u32_e64 s16, 0xffffff, v34
	v_sub_nc_u32_e32 v32, v35, v36
	v_cndmask_b32_e64 v35, 0, 1, s16
	v_add_co_ci_u32_e64 v32, null, 0, v32, s16
	v_lshrrev_b32_e32 v34, v35, v34
; %bb.2175:                             ;   in Loop: Header=BB6_1899 Depth=4
	s_andn2_saveexec_b32 s16, s17
; %bb.2176:                             ;   in Loop: Header=BB6_1899 Depth=4
	v_bfe_u32 v32, v34, 23, 1
; %bb.2177:                             ;   in Loop: Header=BB6_1899 Depth=4
	s_or_b32 exec_lo, exec_lo, s16
	v_lshrrev_b32_e32 v34, 21, v34
	v_min_i32_e32 v35, 31, v32
	v_cmp_gt_i32_e64 s16, 32, v32
	v_and_b32_sdwa v33, v33, v60 dst_sel:DWORD dst_unused:UNUSED_PAD src0_sel:BYTE_3 src1_sel:DWORD
	v_lshlrev_b32_e32 v35, 2, v35
	v_cndmask_b32_e64 v34, 3, v34, s16
	v_and_b32_e32 v35, 0xfc, v35
	v_and_b32_e32 v36, 3, v34
	v_or_b32_e32 v32, v32, v34
	v_or3_b32 v33, v33, v35, v36
	v_cmp_ne_u32_e64 s16, 0, v32
	v_lshlrev_b32_e32 v33, 8, v33
	v_cndmask_b32_e64 v32, 0, v33, s16
.LBB6_2178:                             ;   in Loop: Header=BB6_1899 Depth=4
	s_or_b32 exec_lo, exec_lo, s73
.LBB6_2179:                             ;   in Loop: Header=BB6_1899 Depth=4
	s_or_b32 exec_lo, exec_lo, s72
	v_and_b32_sdwa v34, v15, v63 dst_sel:DWORD dst_unused:UNUSED_PAD src0_sel:WORD_1 src1_sel:DWORD
	s_mov_b32 s17, 0
	s_mov_b32 s72, exec_lo
	v_cmpx_lt_i16_e32 0x7f, v34
	s_xor_b32 s72, exec_lo, s72
	s_cbranch_execz .LBB6_2273
; %bb.2180:                             ;   in Loop: Header=BB6_1899 Depth=4
	s_mov_b32 s17, -1
	s_mov_b32 s73, exec_lo
	v_cmpx_eq_u16_e32 0x80, v34
; %bb.2181:                             ;   in Loop: Header=BB6_1899 Depth=4
	s_xor_b32 s17, exec_lo, -1
; %bb.2182:                             ;   in Loop: Header=BB6_1899 Depth=4
	s_or_b32 exec_lo, exec_lo, s73
	s_and_b32 s17, s17, exec_lo
                                        ; implicit-def: $vgpr34
	s_or_saveexec_b32 s72, s72
	v_mov_b32_e32 v33, 0x7f800001
	s_xor_b32 exec_lo, exec_lo, s72
	s_cbranch_execnz .LBB6_2274
.LBB6_2183:                             ;   in Loop: Header=BB6_1899 Depth=4
	s_or_b32 exec_lo, exec_lo, s72
	s_and_saveexec_b32 s72, s17
	s_cbranch_execz .LBB6_2185
.LBB6_2184:                             ;   in Loop: Header=BB6_1899 Depth=4
	v_bfe_u32 v33, v15, 16, 2
	v_bfe_u32 v36, v15, 18, 5
	v_lshlrev_b32_e32 v37, 8, v15
	v_ffbh_u32_e32 v34, v33
	v_cmp_eq_u32_e64 s16, 0, v36
	v_min_u32_e32 v34, 32, v34
	v_subrev_nc_u32_e32 v35, 29, v34
	v_sub_nc_u32_e32 v34, 30, v34
	v_lshlrev_b32_sdwa v35, v35, v15 dst_sel:DWORD dst_unused:UNUSED_PAD src0_sel:DWORD src1_sel:WORD_1
	v_cndmask_b32_e64 v34, v36, v34, s16
	v_and_b32_e32 v35, 3, v35
	v_lshl_add_u32 v34, v34, 23, 0x37800000
	v_cndmask_b32_e64 v33, v33, v35, s16
	v_and_b32_e32 v35, 0x80000000, v37
	v_lshlrev_b32_e32 v33, 21, v33
	v_or3_b32 v33, v35, v34, v33
.LBB6_2185:                             ;   in Loop: Header=BB6_1899 Depth=4
	s_or_b32 exec_lo, exec_lo, s72
	v_and_b32_sdwa v35, v11, v63 dst_sel:DWORD dst_unused:UNUSED_PAD src0_sel:WORD_1 src1_sel:DWORD
	s_mov_b32 s17, 0
	s_mov_b32 s72, exec_lo
	v_cmpx_lt_i16_e32 0x7f, v35
	s_xor_b32 s72, exec_lo, s72
	s_cbranch_execz .LBB6_2275
; %bb.2186:                             ;   in Loop: Header=BB6_1899 Depth=4
	s_mov_b32 s17, -1
	s_mov_b32 s73, exec_lo
	v_cmpx_eq_u16_e32 0x80, v35
; %bb.2187:                             ;   in Loop: Header=BB6_1899 Depth=4
	s_xor_b32 s17, exec_lo, -1
; %bb.2188:                             ;   in Loop: Header=BB6_1899 Depth=4
	s_or_b32 exec_lo, exec_lo, s73
	s_and_b32 s17, s17, exec_lo
                                        ; implicit-def: $vgpr35
	s_or_saveexec_b32 s72, s72
	v_mov_b32_e32 v34, 0x7f800001
	s_xor_b32 exec_lo, exec_lo, s72
	s_cbranch_execnz .LBB6_2276
.LBB6_2189:                             ;   in Loop: Header=BB6_1899 Depth=4
	s_or_b32 exec_lo, exec_lo, s72
	s_and_saveexec_b32 s72, s17
	s_cbranch_execz .LBB6_2191
.LBB6_2190:                             ;   in Loop: Header=BB6_1899 Depth=4
	v_and_b32_sdwa v34, v11, v72 dst_sel:DWORD dst_unused:UNUSED_PAD src0_sel:WORD_1 src1_sel:DWORD
	v_bfe_u32 v37, v11, 18, 5
	v_lshlrev_b32_sdwa v38, v62, v11 dst_sel:DWORD dst_unused:UNUSED_PAD src0_sel:DWORD src1_sel:WORD_1
	v_ffbh_u32_e32 v35, v34
	v_cmp_eq_u32_e64 s16, 0, v37
	v_min_u32_e32 v35, 32, v35
	v_subrev_nc_u32_e32 v36, 29, v35
	v_sub_nc_u32_e32 v35, 30, v35
	v_lshlrev_b32_sdwa v36, v36, v11 dst_sel:DWORD dst_unused:UNUSED_PAD src0_sel:DWORD src1_sel:WORD_1
	v_cndmask_b32_e64 v35, v37, v35, s16
	v_and_b32_e32 v36, 3, v36
	v_lshl_add_u32 v35, v35, 23, 0x37800000
	v_cndmask_b32_e64 v34, v34, v36, s16
	v_and_b32_e32 v36, 0x80000000, v38
	v_lshlrev_b32_e32 v34, 21, v34
	v_or3_b32 v34, v36, v35, v34
.LBB6_2191:                             ;   in Loop: Header=BB6_1899 Depth=4
	s_or_b32 exec_lo, exec_lo, s72
	v_mul_f32_e32 v34, v33, v34
	v_and_b32_e32 v33, 0x7f800000, v34
	v_cmp_ne_u32_e64 s16, 0x7f800000, v33
	v_mov_b32_e32 v33, 0x80
	s_and_saveexec_b32 s72, s16
	s_cbranch_execz .LBB6_2199
; %bb.2192:                             ;   in Loop: Header=BB6_1899 Depth=4
	v_mov_b32_e32 v33, 0
	s_mov_b32 s73, exec_lo
	v_cmpx_ne_u32_e32 0, v34
	s_cbranch_execz .LBB6_2198
; %bb.2193:                             ;   in Loop: Header=BB6_1899 Depth=4
	v_bfe_u32 v33, v34, 23, 8
	v_and_b32_e32 v35, 0x7fffff, v34
	v_sub_nc_u32_e32 v36, 0x70, v33
	v_cmp_gt_u32_e64 s16, 0x71, v33
	v_or_b32_e32 v37, 0x800000, v35
	v_cndmask_b32_e64 v36, 0, v36, s16
	v_cmp_eq_u32_e64 s16, 0, v33
	v_add_nc_u32_e32 v33, 0xffffff91, v33
	v_cndmask_b32_e64 v36, v36, 0x6f, s16
	v_cndmask_b32_e64 v35, v37, v35, s16
	;; [unrolled: 1-line block ×3, first 2 shown]
	v_lshl_add_u32 v37, 0x200000, v36, -1
	v_lshrrev_b32_e32 v38, v36, v35
	v_lshlrev_b32_e64 v48, v36, 0x100000
	v_add_nc_u32_e32 v36, v36, v33
	v_and_b32_e32 v35, v37, v35
	v_bfe_u32 v39, v38, 21, 1
	v_cmp_eq_u32_e64 s17, v35, v48
	v_add_nc_u32_e32 v37, -1, v39
	v_cndmask_b32_e64 v35, 0, v37, s17
	v_lshrrev_b32_e32 v37, 23, v38
	s_mov_b32 s17, exec_lo
	v_add_nc_u32_e32 v35, v35, v38
	v_xor_b32_e32 v37, 1, v37
	v_and_b32_e32 v33, 0x1fffff, v35
	v_add_nc_u32_e32 v35, v33, v38
                                        ; implicit-def: $vgpr33
	v_cmpx_ne_u32_e64 v36, v37
	s_xor_b32 s17, exec_lo, s17
; %bb.2194:                             ;   in Loop: Header=BB6_1899 Depth=4
	v_cmp_lt_u32_e64 s16, 0xffffff, v35
	v_sub_nc_u32_e32 v33, v36, v37
	v_cndmask_b32_e64 v36, 0, 1, s16
	v_add_co_ci_u32_e64 v33, null, 0, v33, s16
	v_lshrrev_b32_e32 v35, v36, v35
; %bb.2195:                             ;   in Loop: Header=BB6_1899 Depth=4
	s_andn2_saveexec_b32 s16, s17
; %bb.2196:                             ;   in Loop: Header=BB6_1899 Depth=4
	v_bfe_u32 v33, v35, 23, 1
; %bb.2197:                             ;   in Loop: Header=BB6_1899 Depth=4
	s_or_b32 exec_lo, exec_lo, s16
	v_lshrrev_b32_e32 v35, 21, v35
	v_min_i32_e32 v36, 31, v33
	v_cmp_gt_i32_e64 s16, 32, v33
	v_and_b32_sdwa v34, v34, v60 dst_sel:DWORD dst_unused:UNUSED_PAD src0_sel:BYTE_3 src1_sel:DWORD
	v_lshlrev_b32_e32 v36, 2, v36
	v_cndmask_b32_e64 v35, 3, v35, s16
	v_and_b32_e32 v36, 0xfc, v36
	v_and_b32_e32 v37, 3, v35
	v_or_b32_e32 v33, v33, v35
	v_or3_b32 v34, v36, v34, v37
	v_cmp_ne_u32_e64 s16, 0, v33
	v_cndmask_b32_e64 v33, 0, v34, s16
.LBB6_2198:                             ;   in Loop: Header=BB6_1899 Depth=4
	s_or_b32 exec_lo, exec_lo, s73
.LBB6_2199:                             ;   in Loop: Header=BB6_1899 Depth=4
	s_or_b32 exec_lo, exec_lo, s72
	v_cmp_gt_i16_sdwa s17, v15, v59 src0_sel:BYTE_3 src1_sel:DWORD
	s_mov_b32 s16, 0
	s_and_saveexec_b32 s72, s17
	s_xor_b32 s17, exec_lo, s72
	s_cbranch_execz .LBB6_2277
; %bb.2200:                             ;   in Loop: Header=BB6_1899 Depth=4
	v_cmp_eq_u16_sdwa s73, v15, v60 src0_sel:BYTE_3 src1_sel:DWORD
	s_mov_b32 s16, -1
	s_and_saveexec_b32 s72, s73
; %bb.2201:                             ;   in Loop: Header=BB6_1899 Depth=4
	s_xor_b32 s16, exec_lo, -1
; %bb.2202:                             ;   in Loop: Header=BB6_1899 Depth=4
	s_or_b32 exec_lo, exec_lo, s72
	s_and_b32 s16, s16, exec_lo
	s_or_saveexec_b32 s17, s17
	v_mov_b32_e32 v34, 0x7f800001
	s_xor_b32 exec_lo, exec_lo, s17
	s_cbranch_execnz .LBB6_2278
.LBB6_2203:                             ;   in Loop: Header=BB6_1899 Depth=4
	s_or_b32 exec_lo, exec_lo, s17
	s_and_saveexec_b32 s17, s16
	s_cbranch_execz .LBB6_2205
.LBB6_2204:                             ;   in Loop: Header=BB6_1899 Depth=4
	v_bfe_u32 v34, v15, 24, 2
	v_bfe_u32 v37, v15, 26, 5
	v_ffbh_u32_e32 v35, v34
	v_cmp_eq_u32_e64 s16, 0, v37
	v_min_u32_e32 v35, 32, v35
	v_subrev_nc_u32_e32 v36, 29, v35
	v_sub_nc_u32_e32 v35, 30, v35
	v_lshlrev_b32_sdwa v36, v36, v15 dst_sel:DWORD dst_unused:UNUSED_PAD src0_sel:DWORD src1_sel:BYTE_3
	v_cndmask_b32_e64 v35, v37, v35, s16
	v_and_b32_e32 v15, 0x80000000, v15
	v_and_b32_e32 v36, 3, v36
	v_lshl_add_u32 v35, v35, 23, 0x37800000
	v_cndmask_b32_e64 v34, v34, v36, s16
	v_lshlrev_b32_e32 v34, 21, v34
	v_or3_b32 v34, v15, v35, v34
.LBB6_2205:                             ;   in Loop: Header=BB6_1899 Depth=4
	s_or_b32 exec_lo, exec_lo, s17
	v_cmp_gt_i16_sdwa s17, v11, v59 src0_sel:BYTE_3 src1_sel:DWORD
	s_mov_b32 s16, 0
	s_and_saveexec_b32 s72, s17
	s_xor_b32 s17, exec_lo, s72
	s_cbranch_execz .LBB6_2279
; %bb.2206:                             ;   in Loop: Header=BB6_1899 Depth=4
	v_cmp_eq_u16_sdwa s73, v11, v60 src0_sel:BYTE_3 src1_sel:DWORD
	s_mov_b32 s16, -1
	s_and_saveexec_b32 s72, s73
; %bb.2207:                             ;   in Loop: Header=BB6_1899 Depth=4
	s_xor_b32 s16, exec_lo, -1
; %bb.2208:                             ;   in Loop: Header=BB6_1899 Depth=4
	s_or_b32 exec_lo, exec_lo, s72
	s_and_b32 s16, s16, exec_lo
	s_or_saveexec_b32 s17, s17
	v_mov_b32_e32 v15, 0x7f800001
	s_xor_b32 exec_lo, exec_lo, s17
	s_cbranch_execnz .LBB6_2280
.LBB6_2209:                             ;   in Loop: Header=BB6_1899 Depth=4
	s_or_b32 exec_lo, exec_lo, s17
	s_and_saveexec_b32 s17, s16
	s_cbranch_execz .LBB6_2211
.LBB6_2210:                             ;   in Loop: Header=BB6_1899 Depth=4
	v_and_b32_sdwa v15, v11, v72 dst_sel:DWORD dst_unused:UNUSED_PAD src0_sel:BYTE_3 src1_sel:DWORD
	v_bfe_u32 v37, v11, 26, 5
	v_ffbh_u32_e32 v35, v15
	v_cmp_eq_u32_e64 s16, 0, v37
	v_min_u32_e32 v35, 32, v35
	v_subrev_nc_u32_e32 v36, 29, v35
	v_sub_nc_u32_e32 v35, 30, v35
	v_lshlrev_b32_sdwa v36, v36, v11 dst_sel:DWORD dst_unused:UNUSED_PAD src0_sel:DWORD src1_sel:BYTE_3
	v_cndmask_b32_e64 v35, v37, v35, s16
	v_and_b32_e32 v11, 0x80000000, v11
	v_and_b32_e32 v36, 3, v36
	v_lshl_add_u32 v35, v35, 23, 0x37800000
	v_cndmask_b32_e64 v15, v15, v36, s16
	v_lshlrev_b32_e32 v15, 21, v15
	v_or3_b32 v15, v11, v35, v15
.LBB6_2211:                             ;   in Loop: Header=BB6_1899 Depth=4
	s_or_b32 exec_lo, exec_lo, s17
	v_mul_f32_e32 v11, v34, v15
	v_and_b32_e32 v15, 0x7f800000, v11
	v_cmp_ne_u32_e64 s16, 0x7f800000, v15
	v_mov_b32_e32 v15, 0x8000
	s_and_saveexec_b32 s72, s16
	s_cbranch_execz .LBB6_1898
; %bb.2212:                             ;   in Loop: Header=BB6_1899 Depth=4
	v_mov_b32_e32 v15, 0
	s_mov_b32 s73, exec_lo
	v_cmpx_ne_u32_e32 0, v11
	s_cbranch_execz .LBB6_1897
; %bb.2213:                             ;   in Loop: Header=BB6_1899 Depth=4
	v_bfe_u32 v15, v11, 23, 8
	v_and_b32_e32 v34, 0x7fffff, v11
	v_sub_nc_u32_e32 v35, 0x70, v15
	v_cmp_gt_u32_e64 s16, 0x71, v15
	v_or_b32_e32 v36, 0x800000, v34
	v_cndmask_b32_e64 v35, 0, v35, s16
	v_cmp_eq_u32_e64 s16, 0, v15
	v_add_nc_u32_e32 v15, 0xffffff91, v15
	v_cndmask_b32_e64 v35, v35, 0x6f, s16
	v_cndmask_b32_e64 v34, v36, v34, s16
	;; [unrolled: 1-line block ×3, first 2 shown]
	v_lshl_add_u32 v36, 0x200000, v35, -1
	v_lshrrev_b32_e32 v37, v35, v34
	v_lshlrev_b32_e64 v39, v35, 0x100000
	v_add_nc_u32_e32 v35, v35, v15
	v_and_b32_e32 v34, v36, v34
	v_bfe_u32 v38, v37, 21, 1
	v_cmp_eq_u32_e64 s17, v34, v39
	v_add_nc_u32_e32 v36, -1, v38
	v_cndmask_b32_e64 v34, 0, v36, s17
	v_lshrrev_b32_e32 v36, 23, v37
	s_mov_b32 s17, exec_lo
	v_add_nc_u32_e32 v34, v34, v37
	v_xor_b32_e32 v36, 1, v36
	v_and_b32_e32 v15, 0x1fffff, v34
	v_add_nc_u32_e32 v34, v15, v37
                                        ; implicit-def: $vgpr15
	v_cmpx_ne_u32_e64 v35, v36
	s_xor_b32 s17, exec_lo, s17
; %bb.2214:                             ;   in Loop: Header=BB6_1899 Depth=4
	v_cmp_lt_u32_e64 s16, 0xffffff, v34
	v_sub_nc_u32_e32 v15, v35, v36
	v_cndmask_b32_e64 v35, 0, 1, s16
	v_add_co_ci_u32_e64 v15, null, 0, v15, s16
	v_lshrrev_b32_e32 v34, v35, v34
; %bb.2215:                             ;   in Loop: Header=BB6_1899 Depth=4
	s_andn2_saveexec_b32 s16, s17
	s_cbranch_execz .LBB6_1896
; %bb.2216:                             ;   in Loop: Header=BB6_1899 Depth=4
	v_bfe_u32 v15, v34, 23, 1
	s_branch .LBB6_1896
.LBB6_2217:                             ;   in Loop: Header=BB6_1899 Depth=4
	s_or_saveexec_b32 s17, s17
	v_mov_b32_e32 v5, 0x7f800001
	s_xor_b32 exec_lo, exec_lo, s17
	s_cbranch_execz .LBB6_1903
.LBB6_2218:                             ;   in Loop: Header=BB6_1899 Depth=4
	v_cmp_ne_u16_sdwa s72, v12, v2 src0_sel:BYTE_0 src1_sel:DWORD
	v_mov_b32_e32 v5, 0
	s_andn2_b32 s16, s16, exec_lo
	s_and_b32 s72, s72, exec_lo
	s_or_b32 s16, s16, s72
	s_or_b32 exec_lo, exec_lo, s17
	s_and_saveexec_b32 s17, s16
	s_cbranch_execnz .LBB6_1904
	s_branch .LBB6_1905
.LBB6_2219:                             ;   in Loop: Header=BB6_1899 Depth=4
	s_or_saveexec_b32 s17, s17
	v_mov_b32_e32 v26, 0x7f800001
	s_xor_b32 exec_lo, exec_lo, s17
	s_cbranch_execz .LBB6_1909
.LBB6_2220:                             ;   in Loop: Header=BB6_1899 Depth=4
	v_cmp_ne_u16_sdwa s72, v8, v2 src0_sel:BYTE_0 src1_sel:DWORD
	v_mov_b32_e32 v26, 0
	s_andn2_b32 s16, s16, exec_lo
	s_and_b32 s72, s72, exec_lo
	s_or_b32 s16, s16, s72
	s_or_b32 exec_lo, exec_lo, s17
	s_and_saveexec_b32 s17, s16
	s_cbranch_execnz .LBB6_1910
	s_branch .LBB6_1911
.LBB6_2221:                             ;   in Loop: Header=BB6_1899 Depth=4
	s_or_saveexec_b32 s17, s17
	v_mov_b32_e32 v26, 0x7f800001
	s_xor_b32 exec_lo, exec_lo, s17
	s_cbranch_execz .LBB6_1923
.LBB6_2222:                             ;   in Loop: Header=BB6_1899 Depth=4
	v_cmp_ne_u16_sdwa s72, v12, v2 src0_sel:BYTE_1 src1_sel:DWORD
	v_mov_b32_e32 v26, 0
	s_andn2_b32 s16, s16, exec_lo
	s_and_b32 s72, s72, exec_lo
	s_or_b32 s16, s16, s72
	s_or_b32 exec_lo, exec_lo, s17
	s_and_saveexec_b32 s17, s16
	s_cbranch_execnz .LBB6_1924
	s_branch .LBB6_1925
.LBB6_2223:                             ;   in Loop: Header=BB6_1899 Depth=4
	s_or_saveexec_b32 s17, s17
	v_mov_b32_e32 v27, 0x7f800001
	s_xor_b32 exec_lo, exec_lo, s17
	s_cbranch_execz .LBB6_1929
.LBB6_2224:                             ;   in Loop: Header=BB6_1899 Depth=4
	v_cmp_ne_u16_sdwa s72, v8, v2 src0_sel:BYTE_1 src1_sel:DWORD
	v_mov_b32_e32 v27, 0
	s_andn2_b32 s16, s16, exec_lo
	s_and_b32 s72, s72, exec_lo
	s_or_b32 s16, s16, s72
	s_or_b32 exec_lo, exec_lo, s17
	s_and_saveexec_b32 s17, s16
	s_cbranch_execnz .LBB6_1930
	s_branch .LBB6_1931
.LBB6_2225:                             ;   in Loop: Header=BB6_1899 Depth=4
	s_or_saveexec_b32 s72, s72
	v_mov_b32_e32 v27, 0x7f800001
	s_xor_b32 exec_lo, exec_lo, s72
	s_cbranch_execz .LBB6_1943
.LBB6_2226:                             ;   in Loop: Header=BB6_1899 Depth=4
	v_cmp_ne_u16_e64 s16, 0, v28
	v_mov_b32_e32 v27, 0
	s_andn2_b32 s17, s17, exec_lo
	s_and_b32 s16, s16, exec_lo
	s_or_b32 s17, s17, s16
	s_or_b32 exec_lo, exec_lo, s72
	s_and_saveexec_b32 s72, s17
	s_cbranch_execnz .LBB6_1944
	s_branch .LBB6_1945
.LBB6_2227:                             ;   in Loop: Header=BB6_1899 Depth=4
	s_or_saveexec_b32 s72, s72
	v_mov_b32_e32 v28, 0x7f800001
	s_xor_b32 exec_lo, exec_lo, s72
	s_cbranch_execz .LBB6_1949
.LBB6_2228:                             ;   in Loop: Header=BB6_1899 Depth=4
	v_cmp_ne_u16_e64 s16, 0, v29
	v_mov_b32_e32 v28, 0
	s_andn2_b32 s17, s17, exec_lo
	s_and_b32 s16, s16, exec_lo
	s_or_b32 s17, s17, s16
	s_or_b32 exec_lo, exec_lo, s72
	s_and_saveexec_b32 s72, s17
	s_cbranch_execnz .LBB6_1950
	s_branch .LBB6_1951
.LBB6_2229:                             ;   in Loop: Header=BB6_1899 Depth=4
	s_or_saveexec_b32 s17, s17
	v_mov_b32_e32 v28, 0x7f800001
	s_xor_b32 exec_lo, exec_lo, s17
	s_cbranch_execz .LBB6_1963
.LBB6_2230:                             ;   in Loop: Header=BB6_1899 Depth=4
	v_cmp_ne_u16_sdwa s72, v12, v2 src0_sel:BYTE_3 src1_sel:DWORD
	v_mov_b32_e32 v28, 0
	s_andn2_b32 s16, s16, exec_lo
	s_and_b32 s72, s72, exec_lo
	s_or_b32 s16, s16, s72
	s_or_b32 exec_lo, exec_lo, s17
	s_and_saveexec_b32 s17, s16
	s_cbranch_execnz .LBB6_1964
	s_branch .LBB6_1965
.LBB6_2231:                             ;   in Loop: Header=BB6_1899 Depth=4
	s_or_saveexec_b32 s17, s17
	v_mov_b32_e32 v12, 0x7f800001
	s_xor_b32 exec_lo, exec_lo, s17
	s_cbranch_execz .LBB6_1969
.LBB6_2232:                             ;   in Loop: Header=BB6_1899 Depth=4
	v_cmp_ne_u16_sdwa s72, v8, v2 src0_sel:BYTE_3 src1_sel:DWORD
	v_mov_b32_e32 v12, 0
	s_andn2_b32 s16, s16, exec_lo
	s_and_b32 s72, s72, exec_lo
	s_or_b32 s16, s16, s72
	s_or_b32 exec_lo, exec_lo, s17
	s_and_saveexec_b32 s17, s16
	s_cbranch_execnz .LBB6_1970
	s_branch .LBB6_1971
.LBB6_2233:                             ;   in Loop: Header=BB6_1899 Depth=4
	s_or_saveexec_b32 s17, s17
	v_mov_b32_e32 v12, 0x7f800001
	s_xor_b32 exec_lo, exec_lo, s17
	s_cbranch_execz .LBB6_1983
.LBB6_2234:                             ;   in Loop: Header=BB6_1899 Depth=4
	v_cmp_ne_u16_sdwa s72, v13, v2 src0_sel:BYTE_0 src1_sel:DWORD
	v_mov_b32_e32 v12, 0
	s_andn2_b32 s16, s16, exec_lo
	s_and_b32 s72, s72, exec_lo
	s_or_b32 s16, s16, s72
	s_or_b32 exec_lo, exec_lo, s17
	s_and_saveexec_b32 s17, s16
	s_cbranch_execnz .LBB6_1984
	s_branch .LBB6_1985
.LBB6_2235:                             ;   in Loop: Header=BB6_1899 Depth=4
	s_or_saveexec_b32 s17, s17
	v_mov_b32_e32 v28, 0x7f800001
	s_xor_b32 exec_lo, exec_lo, s17
	s_cbranch_execz .LBB6_1989
.LBB6_2236:                             ;   in Loop: Header=BB6_1899 Depth=4
	v_cmp_ne_u16_sdwa s72, v9, v2 src0_sel:BYTE_0 src1_sel:DWORD
	v_mov_b32_e32 v28, 0
	s_andn2_b32 s16, s16, exec_lo
	s_and_b32 s72, s72, exec_lo
	s_or_b32 s16, s16, s72
	s_or_b32 exec_lo, exec_lo, s17
	s_and_saveexec_b32 s17, s16
	s_cbranch_execnz .LBB6_1990
	s_branch .LBB6_1991
.LBB6_2237:                             ;   in Loop: Header=BB6_1899 Depth=4
	s_or_saveexec_b32 s17, s17
	v_mov_b32_e32 v28, 0x7f800001
	s_xor_b32 exec_lo, exec_lo, s17
	s_cbranch_execz .LBB6_2003
.LBB6_2238:                             ;   in Loop: Header=BB6_1899 Depth=4
	v_cmp_ne_u16_sdwa s72, v13, v2 src0_sel:BYTE_1 src1_sel:DWORD
	v_mov_b32_e32 v28, 0
	s_andn2_b32 s16, s16, exec_lo
	s_and_b32 s72, s72, exec_lo
	s_or_b32 s16, s16, s72
	s_or_b32 exec_lo, exec_lo, s17
	s_and_saveexec_b32 s17, s16
	s_cbranch_execnz .LBB6_2004
	s_branch .LBB6_2005
.LBB6_2239:                             ;   in Loop: Header=BB6_1899 Depth=4
	s_or_saveexec_b32 s17, s17
	v_mov_b32_e32 v29, 0x7f800001
	s_xor_b32 exec_lo, exec_lo, s17
	s_cbranch_execz .LBB6_2009
.LBB6_2240:                             ;   in Loop: Header=BB6_1899 Depth=4
	v_cmp_ne_u16_sdwa s72, v9, v2 src0_sel:BYTE_1 src1_sel:DWORD
	v_mov_b32_e32 v29, 0
	s_andn2_b32 s16, s16, exec_lo
	s_and_b32 s72, s72, exec_lo
	s_or_b32 s16, s16, s72
	s_or_b32 exec_lo, exec_lo, s17
	s_and_saveexec_b32 s17, s16
	s_cbranch_execnz .LBB6_2010
	s_branch .LBB6_2011
.LBB6_2241:                             ;   in Loop: Header=BB6_1899 Depth=4
	s_or_saveexec_b32 s72, s72
	v_mov_b32_e32 v29, 0x7f800001
	s_xor_b32 exec_lo, exec_lo, s72
	s_cbranch_execz .LBB6_2023
.LBB6_2242:                             ;   in Loop: Header=BB6_1899 Depth=4
	v_cmp_ne_u16_e64 s16, 0, v30
	v_mov_b32_e32 v29, 0
	s_andn2_b32 s17, s17, exec_lo
	s_and_b32 s16, s16, exec_lo
	s_or_b32 s17, s17, s16
	s_or_b32 exec_lo, exec_lo, s72
	s_and_saveexec_b32 s72, s17
	s_cbranch_execnz .LBB6_2024
	s_branch .LBB6_2025
.LBB6_2243:                             ;   in Loop: Header=BB6_1899 Depth=4
	s_or_saveexec_b32 s72, s72
	v_mov_b32_e32 v30, 0x7f800001
	s_xor_b32 exec_lo, exec_lo, s72
	s_cbranch_execz .LBB6_2029
.LBB6_2244:                             ;   in Loop: Header=BB6_1899 Depth=4
	v_cmp_ne_u16_e64 s16, 0, v31
	v_mov_b32_e32 v30, 0
	s_andn2_b32 s17, s17, exec_lo
	s_and_b32 s16, s16, exec_lo
	s_or_b32 s17, s17, s16
	s_or_b32 exec_lo, exec_lo, s72
	s_and_saveexec_b32 s72, s17
	s_cbranch_execnz .LBB6_2030
	s_branch .LBB6_2031
.LBB6_2245:                             ;   in Loop: Header=BB6_1899 Depth=4
	s_or_saveexec_b32 s17, s17
	v_mov_b32_e32 v30, 0x7f800001
	s_xor_b32 exec_lo, exec_lo, s17
	s_cbranch_execz .LBB6_2043
.LBB6_2246:                             ;   in Loop: Header=BB6_1899 Depth=4
	v_cmp_ne_u16_sdwa s72, v13, v2 src0_sel:BYTE_3 src1_sel:DWORD
	v_mov_b32_e32 v30, 0
	s_andn2_b32 s16, s16, exec_lo
	s_and_b32 s72, s72, exec_lo
	s_or_b32 s16, s16, s72
	s_or_b32 exec_lo, exec_lo, s17
	s_and_saveexec_b32 s17, s16
	s_cbranch_execnz .LBB6_2044
	s_branch .LBB6_2045
.LBB6_2247:                             ;   in Loop: Header=BB6_1899 Depth=4
	s_or_saveexec_b32 s17, s17
	v_mov_b32_e32 v13, 0x7f800001
	s_xor_b32 exec_lo, exec_lo, s17
	s_cbranch_execz .LBB6_2049
.LBB6_2248:                             ;   in Loop: Header=BB6_1899 Depth=4
	v_cmp_ne_u16_sdwa s72, v9, v2 src0_sel:BYTE_3 src1_sel:DWORD
	v_mov_b32_e32 v13, 0
	s_andn2_b32 s16, s16, exec_lo
	s_and_b32 s72, s72, exec_lo
	s_or_b32 s16, s16, s72
	s_or_b32 exec_lo, exec_lo, s17
	s_and_saveexec_b32 s17, s16
	s_cbranch_execnz .LBB6_2050
	s_branch .LBB6_2051
.LBB6_2249:                             ;   in Loop: Header=BB6_1899 Depth=4
	s_or_saveexec_b32 s17, s17
	v_mov_b32_e32 v13, 0x7f800001
	s_xor_b32 exec_lo, exec_lo, s17
	s_cbranch_execz .LBB6_2063
.LBB6_2250:                             ;   in Loop: Header=BB6_1899 Depth=4
	v_cmp_ne_u16_sdwa s72, v14, v2 src0_sel:BYTE_0 src1_sel:DWORD
	v_mov_b32_e32 v13, 0
	s_andn2_b32 s16, s16, exec_lo
	s_and_b32 s72, s72, exec_lo
	s_or_b32 s16, s16, s72
	s_or_b32 exec_lo, exec_lo, s17
	s_and_saveexec_b32 s17, s16
	s_cbranch_execnz .LBB6_2064
	s_branch .LBB6_2065
.LBB6_2251:                             ;   in Loop: Header=BB6_1899 Depth=4
	s_or_saveexec_b32 s17, s17
	v_mov_b32_e32 v30, 0x7f800001
	s_xor_b32 exec_lo, exec_lo, s17
	s_cbranch_execz .LBB6_2069
.LBB6_2252:                             ;   in Loop: Header=BB6_1899 Depth=4
	v_cmp_ne_u16_sdwa s72, v10, v2 src0_sel:BYTE_0 src1_sel:DWORD
	v_mov_b32_e32 v30, 0
	s_andn2_b32 s16, s16, exec_lo
	s_and_b32 s72, s72, exec_lo
	s_or_b32 s16, s16, s72
	s_or_b32 exec_lo, exec_lo, s17
	s_and_saveexec_b32 s17, s16
	s_cbranch_execnz .LBB6_2070
	s_branch .LBB6_2071
.LBB6_2253:                             ;   in Loop: Header=BB6_1899 Depth=4
	s_or_saveexec_b32 s17, s17
	v_mov_b32_e32 v30, 0x7f800001
	s_xor_b32 exec_lo, exec_lo, s17
	s_cbranch_execz .LBB6_2083
.LBB6_2254:                             ;   in Loop: Header=BB6_1899 Depth=4
	v_cmp_ne_u16_sdwa s72, v14, v2 src0_sel:BYTE_1 src1_sel:DWORD
	v_mov_b32_e32 v30, 0
	s_andn2_b32 s16, s16, exec_lo
	s_and_b32 s72, s72, exec_lo
	s_or_b32 s16, s16, s72
	s_or_b32 exec_lo, exec_lo, s17
	s_and_saveexec_b32 s17, s16
	s_cbranch_execnz .LBB6_2084
	s_branch .LBB6_2085
.LBB6_2255:                             ;   in Loop: Header=BB6_1899 Depth=4
	s_or_saveexec_b32 s17, s17
	v_mov_b32_e32 v31, 0x7f800001
	s_xor_b32 exec_lo, exec_lo, s17
	s_cbranch_execz .LBB6_2089
.LBB6_2256:                             ;   in Loop: Header=BB6_1899 Depth=4
	v_cmp_ne_u16_sdwa s72, v10, v2 src0_sel:BYTE_1 src1_sel:DWORD
	v_mov_b32_e32 v31, 0
	s_andn2_b32 s16, s16, exec_lo
	s_and_b32 s72, s72, exec_lo
	s_or_b32 s16, s16, s72
	s_or_b32 exec_lo, exec_lo, s17
	s_and_saveexec_b32 s17, s16
	s_cbranch_execnz .LBB6_2090
	s_branch .LBB6_2091
.LBB6_2257:                             ;   in Loop: Header=BB6_1899 Depth=4
	s_or_saveexec_b32 s72, s72
	v_mov_b32_e32 v31, 0x7f800001
	s_xor_b32 exec_lo, exec_lo, s72
	s_cbranch_execz .LBB6_2103
.LBB6_2258:                             ;   in Loop: Header=BB6_1899 Depth=4
	v_cmp_ne_u16_e64 s16, 0, v32
	v_mov_b32_e32 v31, 0
	s_andn2_b32 s17, s17, exec_lo
	s_and_b32 s16, s16, exec_lo
	s_or_b32 s17, s17, s16
	s_or_b32 exec_lo, exec_lo, s72
	s_and_saveexec_b32 s72, s17
	s_cbranch_execnz .LBB6_2104
	s_branch .LBB6_2105
.LBB6_2259:                             ;   in Loop: Header=BB6_1899 Depth=4
	s_or_saveexec_b32 s72, s72
	v_mov_b32_e32 v32, 0x7f800001
	s_xor_b32 exec_lo, exec_lo, s72
	s_cbranch_execz .LBB6_2109
.LBB6_2260:                             ;   in Loop: Header=BB6_1899 Depth=4
	v_cmp_ne_u16_e64 s16, 0, v33
	v_mov_b32_e32 v32, 0
	s_andn2_b32 s17, s17, exec_lo
	s_and_b32 s16, s16, exec_lo
	s_or_b32 s17, s17, s16
	s_or_b32 exec_lo, exec_lo, s72
	s_and_saveexec_b32 s72, s17
	s_cbranch_execnz .LBB6_2110
	s_branch .LBB6_2111
.LBB6_2261:                             ;   in Loop: Header=BB6_1899 Depth=4
	s_or_saveexec_b32 s17, s17
	v_mov_b32_e32 v32, 0x7f800001
	s_xor_b32 exec_lo, exec_lo, s17
	s_cbranch_execz .LBB6_2123
.LBB6_2262:                             ;   in Loop: Header=BB6_1899 Depth=4
	v_cmp_ne_u16_sdwa s72, v14, v2 src0_sel:BYTE_3 src1_sel:DWORD
	v_mov_b32_e32 v32, 0
	s_andn2_b32 s16, s16, exec_lo
	s_and_b32 s72, s72, exec_lo
	s_or_b32 s16, s16, s72
	s_or_b32 exec_lo, exec_lo, s17
	s_and_saveexec_b32 s17, s16
	s_cbranch_execnz .LBB6_2124
	s_branch .LBB6_2125
.LBB6_2263:                             ;   in Loop: Header=BB6_1899 Depth=4
	s_or_saveexec_b32 s17, s17
	v_mov_b32_e32 v14, 0x7f800001
	s_xor_b32 exec_lo, exec_lo, s17
	s_cbranch_execz .LBB6_2129
.LBB6_2264:                             ;   in Loop: Header=BB6_1899 Depth=4
	v_cmp_ne_u16_sdwa s72, v10, v2 src0_sel:BYTE_3 src1_sel:DWORD
	v_mov_b32_e32 v14, 0
	s_andn2_b32 s16, s16, exec_lo
	s_and_b32 s72, s72, exec_lo
	s_or_b32 s16, s16, s72
	s_or_b32 exec_lo, exec_lo, s17
	s_and_saveexec_b32 s17, s16
	s_cbranch_execnz .LBB6_2130
	s_branch .LBB6_2131
.LBB6_2265:                             ;   in Loop: Header=BB6_1899 Depth=4
	s_or_saveexec_b32 s17, s17
	v_mov_b32_e32 v14, 0x7f800001
	s_xor_b32 exec_lo, exec_lo, s17
	s_cbranch_execz .LBB6_2143
.LBB6_2266:                             ;   in Loop: Header=BB6_1899 Depth=4
	v_cmp_ne_u16_sdwa s72, v15, v2 src0_sel:BYTE_0 src1_sel:DWORD
	v_mov_b32_e32 v14, 0
	s_andn2_b32 s16, s16, exec_lo
	s_and_b32 s72, s72, exec_lo
	s_or_b32 s16, s16, s72
	s_or_b32 exec_lo, exec_lo, s17
	s_and_saveexec_b32 s17, s16
	s_cbranch_execnz .LBB6_2144
	s_branch .LBB6_2145
.LBB6_2267:                             ;   in Loop: Header=BB6_1899 Depth=4
	s_or_saveexec_b32 s17, s17
	v_mov_b32_e32 v32, 0x7f800001
	s_xor_b32 exec_lo, exec_lo, s17
	s_cbranch_execz .LBB6_2149
.LBB6_2268:                             ;   in Loop: Header=BB6_1899 Depth=4
	v_cmp_ne_u16_sdwa s72, v11, v2 src0_sel:BYTE_0 src1_sel:DWORD
	v_mov_b32_e32 v32, 0
	s_andn2_b32 s16, s16, exec_lo
	s_and_b32 s72, s72, exec_lo
	s_or_b32 s16, s16, s72
	s_or_b32 exec_lo, exec_lo, s17
	s_and_saveexec_b32 s17, s16
	s_cbranch_execnz .LBB6_2150
	s_branch .LBB6_2151
.LBB6_2269:                             ;   in Loop: Header=BB6_1899 Depth=4
	s_or_saveexec_b32 s17, s17
	v_mov_b32_e32 v32, 0x7f800001
	s_xor_b32 exec_lo, exec_lo, s17
	s_cbranch_execz .LBB6_2163
.LBB6_2270:                             ;   in Loop: Header=BB6_1899 Depth=4
	v_cmp_ne_u16_sdwa s72, v15, v2 src0_sel:BYTE_1 src1_sel:DWORD
	v_mov_b32_e32 v32, 0
	s_andn2_b32 s16, s16, exec_lo
	s_and_b32 s72, s72, exec_lo
	s_or_b32 s16, s16, s72
	s_or_b32 exec_lo, exec_lo, s17
	s_and_saveexec_b32 s17, s16
	s_cbranch_execnz .LBB6_2164
	s_branch .LBB6_2165
.LBB6_2271:                             ;   in Loop: Header=BB6_1899 Depth=4
	s_or_saveexec_b32 s17, s17
	v_mov_b32_e32 v33, 0x7f800001
	s_xor_b32 exec_lo, exec_lo, s17
	s_cbranch_execz .LBB6_2169
.LBB6_2272:                             ;   in Loop: Header=BB6_1899 Depth=4
	v_cmp_ne_u16_sdwa s72, v11, v2 src0_sel:BYTE_1 src1_sel:DWORD
	v_mov_b32_e32 v33, 0
	s_andn2_b32 s16, s16, exec_lo
	s_and_b32 s72, s72, exec_lo
	s_or_b32 s16, s16, s72
	s_or_b32 exec_lo, exec_lo, s17
	s_and_saveexec_b32 s17, s16
	s_cbranch_execnz .LBB6_2170
	s_branch .LBB6_2171
.LBB6_2273:                             ;   in Loop: Header=BB6_1899 Depth=4
	s_or_saveexec_b32 s72, s72
	v_mov_b32_e32 v33, 0x7f800001
	s_xor_b32 exec_lo, exec_lo, s72
	s_cbranch_execz .LBB6_2183
.LBB6_2274:                             ;   in Loop: Header=BB6_1899 Depth=4
	v_cmp_ne_u16_e64 s16, 0, v34
	v_mov_b32_e32 v33, 0
	s_andn2_b32 s17, s17, exec_lo
	s_and_b32 s16, s16, exec_lo
	s_or_b32 s17, s17, s16
	s_or_b32 exec_lo, exec_lo, s72
	s_and_saveexec_b32 s72, s17
	s_cbranch_execnz .LBB6_2184
	s_branch .LBB6_2185
.LBB6_2275:                             ;   in Loop: Header=BB6_1899 Depth=4
	s_or_saveexec_b32 s72, s72
	v_mov_b32_e32 v34, 0x7f800001
	s_xor_b32 exec_lo, exec_lo, s72
	s_cbranch_execz .LBB6_2189
.LBB6_2276:                             ;   in Loop: Header=BB6_1899 Depth=4
	v_cmp_ne_u16_e64 s16, 0, v35
	v_mov_b32_e32 v34, 0
	s_andn2_b32 s17, s17, exec_lo
	s_and_b32 s16, s16, exec_lo
	s_or_b32 s17, s17, s16
	s_or_b32 exec_lo, exec_lo, s72
	s_and_saveexec_b32 s72, s17
	s_cbranch_execnz .LBB6_2190
	s_branch .LBB6_2191
.LBB6_2277:                             ;   in Loop: Header=BB6_1899 Depth=4
	s_or_saveexec_b32 s17, s17
	v_mov_b32_e32 v34, 0x7f800001
	s_xor_b32 exec_lo, exec_lo, s17
	s_cbranch_execz .LBB6_2203
.LBB6_2278:                             ;   in Loop: Header=BB6_1899 Depth=4
	v_cmp_ne_u16_sdwa s72, v15, v2 src0_sel:BYTE_3 src1_sel:DWORD
	v_mov_b32_e32 v34, 0
	s_andn2_b32 s16, s16, exec_lo
	s_and_b32 s72, s72, exec_lo
	s_or_b32 s16, s16, s72
	s_or_b32 exec_lo, exec_lo, s17
	s_and_saveexec_b32 s17, s16
	s_cbranch_execnz .LBB6_2204
	s_branch .LBB6_2205
.LBB6_2279:                             ;   in Loop: Header=BB6_1899 Depth=4
	s_or_saveexec_b32 s17, s17
	v_mov_b32_e32 v15, 0x7f800001
	s_xor_b32 exec_lo, exec_lo, s17
	s_cbranch_execz .LBB6_2209
.LBB6_2280:                             ;   in Loop: Header=BB6_1899 Depth=4
	v_cmp_ne_u16_sdwa s72, v11, v2 src0_sel:BYTE_3 src1_sel:DWORD
	v_mov_b32_e32 v15, 0
	s_andn2_b32 s16, s16, exec_lo
	s_and_b32 s72, s72, exec_lo
	s_or_b32 s16, s16, s72
	s_or_b32 exec_lo, exec_lo, s17
	s_and_saveexec_b32 s17, s16
	s_cbranch_execnz .LBB6_2210
	s_branch .LBB6_2211
.LBB6_2281:                             ;   in Loop: Header=BB6_274 Depth=3
	s_or_b32 exec_lo, exec_lo, s63
.LBB6_2282:                             ;   in Loop: Header=BB6_274 Depth=3
	s_or_b32 exec_lo, exec_lo, s62
	v_and_b32_e32 v9, 15, v3
	v_mov_b32_e32 v4, 0
	s_mov_b32 s17, 0
	s_mov_b32 s62, exec_lo
                                        ; implicit-def: $vgpr14
                                        ; implicit-def: $vgpr8
	v_cndmask_b32_e32 v5, v24, v9, vcc_lo
	v_cmpx_ne_u32_e32 0, v5
	s_cbranch_execz .LBB6_2284
; %bb.2283:                             ;   in Loop: Header=BB6_274 Depth=3
	v_cmp_lt_i32_e64 s16, 0, v25
	v_sub_nc_u32_e32 v8, v24, v9
	s_mov_b32 s17, exec_lo
	v_cndmask_b32_e64 v4, 0, v47, s16
	v_cndmask_b32_e32 v8, 0, v8, vcc_lo
	v_sub_nc_u32_e32 v4, v4, v25
	v_lshl_add_u32 v14, v4, 5, v23
	v_ashrrev_i32_e32 v4, 31, v14
	v_lshrrev_b32_e32 v4, 27, v4
	v_add_nc_u32_e32 v9, v14, v4
	v_add3_u32 v4, v22, v1, v8
	v_ashrrev_i32_e32 v8, 5, v9
.LBB6_2284:                             ;   in Loop: Header=BB6_274 Depth=3
	s_or_b32 exec_lo, exec_lo, s62
	s_and_b32 s16, s17, exec_lo
.LBB6_2285:                             ;   in Loop: Header=BB6_274 Depth=3
	s_or_b32 exec_lo, exec_lo, s61
	s_and_saveexec_b32 s17, s16
	s_cbranch_execz .LBB6_3086
.LBB6_2286:                             ;   in Loop: Header=BB6_274 Depth=3
	v_ashrrev_i32_e32 v1, 31, v5
	s_mov_b32 s61, exec_lo
	v_lshrrev_b32_e32 v1, 22, v1
	v_add_nc_u32_e32 v1, v5, v1
	v_ashrrev_i32_e32 v17, 10, v1
	v_ashrrev_i32_e32 v1, 31, v14
	v_sub_nc_u32_e32 v15, v17, v8
	v_lshrrev_b32_e32 v16, 27, v1
	v_cmpx_lt_i32_e32 0, v15
	s_cbranch_execz .LBB6_3058
; %bb.2287:                             ;   in Loop: Header=BB6_274 Depth=3
	v_add_nc_u32_e32 v1, v14, v16
	s_trap 2
	ds_read_b64 v[10:11], v0
	v_lshlrev_b32_e32 v8, 10, v8
	v_add_co_u32 v12, vcc_lo, 0x3e0, v114
	v_and_b32_e32 v1, 0xffffffe0, v1
	v_add_co_ci_u32_e64 v18, null, 0, v115, vcc_lo
	s_mov_b32 s62, 0
	v_sub_nc_u32_e32 v1, v14, v1
	v_add3_u32 v1, v4, v1, v8
	v_ashrrev_i32_e32 v13, 31, v1
	v_add_co_u32 v8, vcc_lo, v1, v112
	v_add_co_ci_u32_e64 v9, null, v13, v113, vcc_lo
	s_waitcnt lgkmcnt(0)
	v_add_co_u32 v10, vcc_lo, v10, v1
	v_add_co_ci_u32_e64 v11, null, v11, v13, vcc_lo
	v_add_co_u32 v12, vcc_lo, v12, v1
	v_add_co_ci_u32_e64 v13, null, v18, v13, vcc_lo
	s_branch .LBB6_2291
.LBB6_2288:                             ;   in Loop: Header=BB6_2291 Depth=4
	s_or_b32 exec_lo, exec_lo, s16
	v_lshrrev_b32_e32 v21, 21, v21
	v_cmp_gt_i32_e32 vcc_lo, 32, v18
	v_min_i32_e32 v24, 31, v18
	v_and_b32_sdwa v19, v19, v60 dst_sel:DWORD dst_unused:UNUSED_PAD src0_sel:BYTE_3 src1_sel:DWORD
	v_cndmask_b32_e32 v21, 3, v21, vcc_lo
	v_lshlrev_b32_e32 v24, 2, v24
	v_and_b32_e32 v27, 3, v21
	v_or_b32_e32 v18, v18, v21
	v_or3_b32 v19, v24, v19, v27
	v_cmp_ne_u32_e32 vcc_lo, 0, v18
	v_cndmask_b32_e32 v18, 0, v19, vcc_lo
.LBB6_2289:                             ;   in Loop: Header=BB6_2291 Depth=4
	s_or_b32 exec_lo, exec_lo, s72
.LBB6_2290:                             ;   in Loop: Header=BB6_2291 Depth=4
	s_or_b32 exec_lo, exec_lo, s63
	v_add_co_u32 v85, vcc_lo, 0xfffffc20, v12
	v_add_co_ci_u32_e64 v86, null, -1, v13, vcc_lo
	v_sub_nc_u32_e32 v15, v15, v47
	flat_store_byte v[85:86], v1 glc slc
	v_add_co_u32 v85, vcc_lo, 0xfffffc40, v12
	v_add_co_ci_u32_e64 v86, null, -1, v13, vcc_lo
	v_add_co_u32 v21, vcc_lo, 0xfffffc60, v12
	flat_store_byte v[85:86], v22 glc slc
	v_add_co_ci_u32_e64 v22, null, -1, v13, vcc_lo
	flat_store_byte v[21:22], v25 glc slc
	v_add_co_u32 v21, vcc_lo, 0xfffffc80, v12
	v_add_co_ci_u32_e64 v22, null, -1, v13, vcc_lo
	flat_store_byte v[21:22], v28 glc slc
	v_add_co_u32 v21, vcc_lo, 0xfffffca0, v12
	;; [unrolled: 3-line block ×28, first 2 shown]
	v_add_co_ci_u32_e64 v22, null, -1, v13, vcc_lo
	v_add_co_u32 v8, vcc_lo, v8, v76
	v_add_co_ci_u32_e64 v9, null, 0, v9, vcc_lo
	v_add_co_u32 v10, vcc_lo, v10, v76
	flat_store_byte v[21:22], v20 glc slc
	flat_store_byte v[12:13], v18 glc slc
	v_add_co_ci_u32_e64 v11, null, 0, v11, vcc_lo
	v_add_co_u32 v12, vcc_lo, v12, v76
	v_add_co_ci_u32_e64 v13, null, 0, v13, vcc_lo
	v_cmp_gt_i32_e32 vcc_lo, 1, v15
	s_or_b32 s62, vcc_lo, s62
	s_andn2_b32 exec_lo, exec_lo, s62
	s_cbranch_execz .LBB6_3057
.LBB6_2291:                             ;   Parent Loop BB6_47 Depth=1
                                        ;     Parent Loop BB6_271 Depth=2
                                        ;       Parent Loop BB6_274 Depth=3
                                        ; =>      This Inner Loop Header: Depth=4
	s_clause 0x1f
	flat_load_ubyte v109, v[8:9] slc
	flat_load_ubyte v108, v[8:9] offset:32 slc
	flat_load_ubyte v125, v[8:9] offset:64 slc
	;; [unrolled: 1-line block ×31, first 2 shown]
	s_clause 0x1f
	flat_load_ubyte v1, v[10:11] slc
	flat_load_ubyte v22, v[10:11] offset:32 slc
	flat_load_ubyte v25, v[10:11] offset:64 slc
	;; [unrolled: 1-line block ×31, first 2 shown]
	s_mov_b32 s16, 0
	s_waitcnt vmcnt(62) lgkmcnt(62)
	v_cmp_lt_i16_e32 vcc_lo, 0x7f, v109
	s_and_saveexec_b32 s63, vcc_lo
	s_xor_b32 s63, exec_lo, s63
	s_cbranch_execz .LBB6_2929
; %bb.2292:                             ;   in Loop: Header=BB6_2291 Depth=4
	s_mov_b32 s16, -1
	s_mov_b32 s72, exec_lo
	v_cmpx_eq_u16_e32 0x80, v109
; %bb.2293:                             ;   in Loop: Header=BB6_2291 Depth=4
	s_xor_b32 s16, exec_lo, -1
; %bb.2294:                             ;   in Loop: Header=BB6_2291 Depth=4
	s_or_b32 exec_lo, exec_lo, s72
	s_and_b32 s16, s16, exec_lo
	s_or_saveexec_b32 s63, s63
	v_mov_b32_e32 v86, 0x7f800001
	s_xor_b32 exec_lo, exec_lo, s63
	s_cbranch_execnz .LBB6_2930
.LBB6_2295:                             ;   in Loop: Header=BB6_2291 Depth=4
	s_or_b32 exec_lo, exec_lo, s63
	s_and_saveexec_b32 s63, s16
	s_cbranch_execz .LBB6_2297
.LBB6_2296:                             ;   in Loop: Header=BB6_2291 Depth=4
	v_and_b32_e32 v86, 0xffff, v109
	v_and_b32_e32 v87, 3, v86
	v_bfe_u32 v95, v86, 2, 5
	v_ffbh_u32_e32 v79, v87
	v_cmp_eq_u32_e32 vcc_lo, 0, v95
	v_min_u32_e32 v79, 32, v79
	v_subrev_nc_u32_e32 v90, 29, v79
	v_sub_nc_u32_e32 v79, 30, v79
	v_lshlrev_b32_e32 v86, v90, v86
	v_lshlrev_b32_e32 v90, 24, v109
	v_cndmask_b32_e32 v79, v95, v79, vcc_lo
	v_and_b32_e32 v86, 3, v86
	v_lshl_add_u32 v79, v79, 23, 0x37800000
	v_cndmask_b32_e32 v86, v87, v86, vcc_lo
	v_and_b32_e32 v87, 0x80000000, v90
	v_lshlrev_b32_e32 v86, 21, v86
	v_or3_b32 v86, v87, v79, v86
.LBB6_2297:                             ;   in Loop: Header=BB6_2291 Depth=4
	s_or_b32 exec_lo, exec_lo, s63
	s_waitcnt vmcnt(31) lgkmcnt(31)
	v_cmp_gt_i16_sdwa s16, v1, v59 src0_sel:BYTE_0 src1_sel:DWORD
	s_mov_b32 s63, 0
	s_and_saveexec_b32 s72, s16
	s_xor_b32 s16, exec_lo, s72
	s_cbranch_execz .LBB6_2931
; %bb.2298:                             ;   in Loop: Header=BB6_2291 Depth=4
	v_cmp_eq_u16_sdwa s73, v1, v60 src0_sel:BYTE_0 src1_sel:DWORD
	s_mov_b32 s63, -1
	s_and_saveexec_b32 s72, s73
; %bb.2299:                             ;   in Loop: Header=BB6_2291 Depth=4
	s_xor_b32 s63, exec_lo, -1
; %bb.2300:                             ;   in Loop: Header=BB6_2291 Depth=4
	s_or_b32 exec_lo, exec_lo, s72
	s_and_b32 s63, s63, exec_lo
	s_or_saveexec_b32 s16, s16
	v_mov_b32_e32 v87, 0x7f800001
	s_xor_b32 exec_lo, exec_lo, s16
	s_cbranch_execnz .LBB6_2932
.LBB6_2301:                             ;   in Loop: Header=BB6_2291 Depth=4
	s_or_b32 exec_lo, exec_lo, s16
	s_and_saveexec_b32 s16, s63
	s_cbranch_execz .LBB6_2303
.LBB6_2302:                             ;   in Loop: Header=BB6_2291 Depth=4
	v_and_b32_e32 v87, 3, v1
	v_lshrrev_b16 v90, 2, v1
	v_ffbh_u32_e32 v79, v87
	v_and_b32_e32 v90, 31, v90
	v_min_u32_e32 v79, 32, v79
	v_cmp_eq_u32_e32 vcc_lo, 0, v90
	v_subrev_nc_u32_e32 v95, 29, v79
	v_sub_nc_u32_e32 v79, 30, v79
	v_lshlrev_b32_e32 v95, v95, v1
	v_lshlrev_b32_e32 v1, 24, v1
	v_cndmask_b32_e32 v79, v90, v79, vcc_lo
	v_and_b32_e32 v95, 3, v95
	v_and_b32_e32 v1, 0x80000000, v1
	v_lshl_add_u32 v79, v79, 23, 0x37800000
	v_cndmask_b32_e32 v87, v87, v95, vcc_lo
	v_lshlrev_b32_e32 v87, 21, v87
	v_or3_b32 v87, v1, v79, v87
.LBB6_2303:                             ;   in Loop: Header=BB6_2291 Depth=4
	s_or_b32 exec_lo, exec_lo, s16
	v_mul_f32_e32 v109, v86, v87
	v_and_b32_e32 v1, 0x7f800000, v109
	v_cmp_ne_u32_e32 vcc_lo, 0x7f800000, v1
	v_mov_b32_e32 v1, 0x80
	s_and_saveexec_b32 s63, vcc_lo
	s_cbranch_execz .LBB6_2311
; %bb.2304:                             ;   in Loop: Header=BB6_2291 Depth=4
	v_mov_b32_e32 v1, 0
	s_mov_b32 s72, exec_lo
	v_cmpx_ne_u32_e32 0, v109
	s_cbranch_execz .LBB6_2310
; %bb.2305:                             ;   in Loop: Header=BB6_2291 Depth=4
	v_bfe_u32 v86, v109, 23, 8
	v_and_b32_e32 v1, 0x7fffff, v109
	v_cmp_gt_u32_e64 s16, 0x71, v86
	v_sub_nc_u32_e32 v87, 0x70, v86
	v_cmp_eq_u32_e32 vcc_lo, 0, v86
	v_or_b32_e32 v79, 0x800000, v1
	v_cndmask_b32_e64 v87, 0, v87, s16
	v_cndmask_b32_e32 v1, v79, v1, vcc_lo
	v_cndmask_b32_e64 v87, v87, 0x6f, vcc_lo
	v_lshl_add_u32 v79, 0x200000, v87, -1
	v_lshlrev_b32_e64 v90, v87, 0x100000
	v_and_b32_e32 v79, v79, v1
	v_cmp_eq_u32_e64 s16, v79, v90
	v_lshrrev_b32_e32 v79, v87, v1
	v_add_nc_u32_e32 v1, 0xffffff91, v86
                                        ; implicit-def: $vgpr90
	v_lshrrev_b32_e32 v86, 23, v79
	v_cndmask_b32_e64 v1, v1, 0xffffff92, vcc_lo
	v_xor_b32_e32 v86, 1, v86
	v_add_nc_u32_e32 v1, v87, v1
	v_bfe_u32 v87, v79, 21, 1
	v_add_nc_u32_e32 v87, -1, v87
	v_cndmask_b32_e64 v87, 0, v87, s16
	s_mov_b32 s16, exec_lo
	v_add_nc_u32_e32 v87, v87, v79
	v_and_b32_e32 v87, 0x1fffff, v87
	v_add_nc_u32_e32 v87, v87, v79
	v_cmpx_ne_u32_e64 v1, v86
	s_xor_b32 s16, exec_lo, s16
; %bb.2306:                             ;   in Loop: Header=BB6_2291 Depth=4
	v_cmp_lt_u32_e32 vcc_lo, 0xffffff, v87
	v_sub_nc_u32_e32 v1, v1, v86
	v_cndmask_b32_e64 v86, 0, 1, vcc_lo
	v_add_co_ci_u32_e64 v90, null, 0, v1, vcc_lo
	v_lshrrev_b32_e32 v87, v86, v87
; %bb.2307:                             ;   in Loop: Header=BB6_2291 Depth=4
	s_andn2_saveexec_b32 s16, s16
; %bb.2308:                             ;   in Loop: Header=BB6_2291 Depth=4
	v_bfe_u32 v90, v87, 23, 1
; %bb.2309:                             ;   in Loop: Header=BB6_2291 Depth=4
	s_or_b32 exec_lo, exec_lo, s16
	v_lshrrev_b32_e32 v86, 21, v87
	v_cmp_gt_i32_e32 vcc_lo, 32, v90
	v_min_i32_e32 v87, 31, v90
	v_and_b32_sdwa v1, v109, v60 dst_sel:DWORD dst_unused:UNUSED_PAD src0_sel:BYTE_3 src1_sel:DWORD
	v_cndmask_b32_e32 v86, 3, v86, vcc_lo
	v_lshlrev_b32_e32 v87, 2, v87
	v_or_b32_e32 v79, v90, v86
	v_and_b32_e32 v86, 3, v86
	v_cmp_ne_u32_e32 vcc_lo, 0, v79
	v_or3_b32 v1, v87, v1, v86
	v_cndmask_b32_e32 v1, 0, v1, vcc_lo
.LBB6_2310:                             ;   in Loop: Header=BB6_2291 Depth=4
	s_or_b32 exec_lo, exec_lo, s72
.LBB6_2311:                             ;   in Loop: Header=BB6_2291 Depth=4
	s_or_b32 exec_lo, exec_lo, s63
	v_cmp_gt_i16_sdwa s63, v108, v59 src0_sel:BYTE_0 src1_sel:DWORD
	s_mov_b32 s16, 0
	s_and_saveexec_b32 s72, s63
	s_xor_b32 s63, exec_lo, s72
	s_cbranch_execz .LBB6_2933
; %bb.2312:                             ;   in Loop: Header=BB6_2291 Depth=4
	v_cmp_eq_u16_sdwa s73, v108, v60 src0_sel:BYTE_0 src1_sel:DWORD
	s_mov_b32 s16, -1
	s_and_saveexec_b32 s72, s73
; %bb.2313:                             ;   in Loop: Header=BB6_2291 Depth=4
	s_xor_b32 s16, exec_lo, -1
; %bb.2314:                             ;   in Loop: Header=BB6_2291 Depth=4
	s_or_b32 exec_lo, exec_lo, s72
	s_and_b32 s16, s16, exec_lo
	s_or_saveexec_b32 s63, s63
	v_mov_b32_e32 v86, 0x7f800001
	s_xor_b32 exec_lo, exec_lo, s63
	s_cbranch_execnz .LBB6_2934
.LBB6_2315:                             ;   in Loop: Header=BB6_2291 Depth=4
	s_or_b32 exec_lo, exec_lo, s63
	s_and_saveexec_b32 s63, s16
	s_cbranch_execz .LBB6_2317
.LBB6_2316:                             ;   in Loop: Header=BB6_2291 Depth=4
	v_and_b32_e32 v86, 3, v108
	v_lshrrev_b16 v79, 2, v108
	v_lshlrev_b32_e32 v95, 24, v108
	v_ffbh_u32_e32 v87, v86
	v_and_b32_e32 v79, 31, v79
	v_min_u32_e32 v87, 32, v87
	v_cmp_eq_u32_e32 vcc_lo, 0, v79
	v_subrev_nc_u32_e32 v90, 29, v87
	v_sub_nc_u32_e32 v87, 30, v87
	v_lshlrev_b32_e32 v90, v90, v108
	v_cndmask_b32_e32 v87, v79, v87, vcc_lo
	v_and_b32_e32 v79, 0x80000000, v95
	v_and_b32_e32 v90, 3, v90
	v_lshl_add_u32 v87, v87, 23, 0x37800000
	v_cndmask_b32_e32 v86, v86, v90, vcc_lo
	v_lshlrev_b32_e32 v86, 21, v86
	v_or3_b32 v86, v79, v87, v86
.LBB6_2317:                             ;   in Loop: Header=BB6_2291 Depth=4
	s_or_b32 exec_lo, exec_lo, s63
	s_waitcnt vmcnt(30) lgkmcnt(30)
	v_cmp_gt_i16_sdwa s63, v22, v59 src0_sel:BYTE_0 src1_sel:DWORD
	s_mov_b32 s16, 0
	s_and_saveexec_b32 s72, s63
	s_xor_b32 s63, exec_lo, s72
	s_cbranch_execz .LBB6_2935
; %bb.2318:                             ;   in Loop: Header=BB6_2291 Depth=4
	v_cmp_eq_u16_sdwa s73, v22, v60 src0_sel:BYTE_0 src1_sel:DWORD
	s_mov_b32 s16, -1
	s_and_saveexec_b32 s72, s73
; %bb.2319:                             ;   in Loop: Header=BB6_2291 Depth=4
	s_xor_b32 s16, exec_lo, -1
; %bb.2320:                             ;   in Loop: Header=BB6_2291 Depth=4
	s_or_b32 exec_lo, exec_lo, s72
	s_and_b32 s16, s16, exec_lo
	s_or_saveexec_b32 s63, s63
	v_mov_b32_e32 v87, 0x7f800001
	s_xor_b32 exec_lo, exec_lo, s63
	s_cbranch_execnz .LBB6_2936
.LBB6_2321:                             ;   in Loop: Header=BB6_2291 Depth=4
	s_or_b32 exec_lo, exec_lo, s63
	s_and_saveexec_b32 s63, s16
	s_cbranch_execz .LBB6_2323
.LBB6_2322:                             ;   in Loop: Header=BB6_2291 Depth=4
	v_and_b32_e32 v87, 3, v22
	v_lshrrev_b16 v90, 2, v22
	v_ffbh_u32_e32 v79, v87
	v_and_b32_e32 v90, 31, v90
	v_min_u32_e32 v79, 32, v79
	v_cmp_eq_u32_e32 vcc_lo, 0, v90
	v_subrev_nc_u32_e32 v95, 29, v79
	v_sub_nc_u32_e32 v79, 30, v79
	v_lshlrev_b32_e32 v95, v95, v22
	v_lshlrev_b32_e32 v22, 24, v22
	v_cndmask_b32_e32 v79, v90, v79, vcc_lo
	v_and_b32_e32 v95, 3, v95
	v_and_b32_e32 v22, 0x80000000, v22
	v_lshl_add_u32 v79, v79, 23, 0x37800000
	v_cndmask_b32_e32 v87, v87, v95, vcc_lo
	v_lshlrev_b32_e32 v87, 21, v87
	v_or3_b32 v87, v22, v79, v87
.LBB6_2323:                             ;   in Loop: Header=BB6_2291 Depth=4
	s_or_b32 exec_lo, exec_lo, s63
	v_mul_f32_e32 v86, v86, v87
	v_and_b32_e32 v22, 0x7f800000, v86
	v_cmp_ne_u32_e32 vcc_lo, 0x7f800000, v22
	v_mov_b32_e32 v22, 0x80
	s_and_saveexec_b32 s63, vcc_lo
	s_cbranch_execz .LBB6_2331
; %bb.2324:                             ;   in Loop: Header=BB6_2291 Depth=4
	v_mov_b32_e32 v22, 0
	s_mov_b32 s72, exec_lo
	v_cmpx_ne_u32_e32 0, v86
	s_cbranch_execz .LBB6_2330
; %bb.2325:                             ;   in Loop: Header=BB6_2291 Depth=4
	v_bfe_u32 v87, v86, 23, 8
	v_and_b32_e32 v22, 0x7fffff, v86
                                        ; implicit-def: $vgpr108
	v_cmp_gt_u32_e64 s16, 0x71, v87
	v_sub_nc_u32_e32 v79, 0x70, v87
	v_cmp_eq_u32_e32 vcc_lo, 0, v87
	v_or_b32_e32 v90, 0x800000, v22
	v_cndmask_b32_e64 v79, 0, v79, s16
	v_cndmask_b32_e32 v22, v90, v22, vcc_lo
	v_cndmask_b32_e64 v79, v79, 0x6f, vcc_lo
	v_lshl_add_u32 v90, 0x200000, v79, -1
	v_lshlrev_b32_e64 v95, v79, 0x100000
	v_and_b32_e32 v90, v90, v22
	v_cmp_eq_u32_e64 s16, v90, v95
	v_lshrrev_b32_e32 v90, v79, v22
	v_add_nc_u32_e32 v22, 0xffffff91, v87
	v_lshrrev_b32_e32 v87, 23, v90
	v_cndmask_b32_e64 v22, v22, 0xffffff92, vcc_lo
	v_xor_b32_e32 v87, 1, v87
	v_add_nc_u32_e32 v22, v79, v22
	v_bfe_u32 v79, v90, 21, 1
	v_add_nc_u32_e32 v79, -1, v79
	v_cndmask_b32_e64 v79, 0, v79, s16
	s_mov_b32 s16, exec_lo
	v_add_nc_u32_e32 v79, v79, v90
	v_and_b32_e32 v79, 0x1fffff, v79
	v_add_nc_u32_e32 v90, v79, v90
	v_cmpx_ne_u32_e64 v22, v87
	s_xor_b32 s16, exec_lo, s16
; %bb.2326:                             ;   in Loop: Header=BB6_2291 Depth=4
	v_cmp_lt_u32_e32 vcc_lo, 0xffffff, v90
	v_sub_nc_u32_e32 v22, v22, v87
	v_cndmask_b32_e64 v87, 0, 1, vcc_lo
	v_add_co_ci_u32_e64 v108, null, 0, v22, vcc_lo
	v_lshrrev_b32_e32 v90, v87, v90
; %bb.2327:                             ;   in Loop: Header=BB6_2291 Depth=4
	s_andn2_saveexec_b32 s16, s16
; %bb.2328:                             ;   in Loop: Header=BB6_2291 Depth=4
	v_bfe_u32 v108, v90, 23, 1
; %bb.2329:                             ;   in Loop: Header=BB6_2291 Depth=4
	s_or_b32 exec_lo, exec_lo, s16
	v_and_b32_sdwa v22, v86, v60 dst_sel:DWORD dst_unused:UNUSED_PAD src0_sel:BYTE_3 src1_sel:DWORD
	v_lshrrev_b32_e32 v86, 21, v90
	v_cmp_gt_i32_e32 vcc_lo, 32, v108
	v_min_i32_e32 v87, 31, v108
	v_cndmask_b32_e32 v86, 3, v86, vcc_lo
	v_lshlrev_b32_e32 v87, 2, v87
	v_or_b32_e32 v79, v108, v86
	v_and_b32_e32 v86, 3, v86
	v_cmp_ne_u32_e32 vcc_lo, 0, v79
	v_or3_b32 v22, v87, v22, v86
	v_cndmask_b32_e32 v22, 0, v22, vcc_lo
.LBB6_2330:                             ;   in Loop: Header=BB6_2291 Depth=4
	s_or_b32 exec_lo, exec_lo, s72
.LBB6_2331:                             ;   in Loop: Header=BB6_2291 Depth=4
	s_or_b32 exec_lo, exec_lo, s63
	v_cmp_gt_i16_sdwa s63, v125, v59 src0_sel:BYTE_0 src1_sel:DWORD
	s_mov_b32 s16, 0
	s_and_saveexec_b32 s72, s63
	s_xor_b32 s63, exec_lo, s72
	s_cbranch_execz .LBB6_2937
; %bb.2332:                             ;   in Loop: Header=BB6_2291 Depth=4
	v_cmp_eq_u16_sdwa s73, v125, v60 src0_sel:BYTE_0 src1_sel:DWORD
	s_mov_b32 s16, -1
	s_and_saveexec_b32 s72, s73
; %bb.2333:                             ;   in Loop: Header=BB6_2291 Depth=4
	s_xor_b32 s16, exec_lo, -1
; %bb.2334:                             ;   in Loop: Header=BB6_2291 Depth=4
	s_or_b32 exec_lo, exec_lo, s72
	s_and_b32 s16, s16, exec_lo
	s_or_saveexec_b32 s63, s63
	v_mov_b32_e32 v86, 0x7f800001
	s_xor_b32 exec_lo, exec_lo, s63
	s_cbranch_execnz .LBB6_2938
.LBB6_2335:                             ;   in Loop: Header=BB6_2291 Depth=4
	s_or_b32 exec_lo, exec_lo, s63
	s_and_saveexec_b32 s63, s16
	s_cbranch_execz .LBB6_2337
.LBB6_2336:                             ;   in Loop: Header=BB6_2291 Depth=4
	v_and_b32_e32 v86, 3, v125
	v_lshrrev_b16 v79, 2, v125
	v_lshlrev_b32_e32 v95, 24, v125
	v_ffbh_u32_e32 v87, v86
	v_and_b32_e32 v79, 31, v79
	v_min_u32_e32 v87, 32, v87
	v_cmp_eq_u32_e32 vcc_lo, 0, v79
	v_subrev_nc_u32_e32 v90, 29, v87
	v_sub_nc_u32_e32 v87, 30, v87
	v_lshlrev_b32_e32 v90, v90, v125
	v_cndmask_b32_e32 v87, v79, v87, vcc_lo
	v_and_b32_e32 v79, 0x80000000, v95
	v_and_b32_e32 v90, 3, v90
	v_lshl_add_u32 v87, v87, 23, 0x37800000
	v_cndmask_b32_e32 v86, v86, v90, vcc_lo
	v_lshlrev_b32_e32 v86, 21, v86
	v_or3_b32 v86, v79, v87, v86
.LBB6_2337:                             ;   in Loop: Header=BB6_2291 Depth=4
	s_or_b32 exec_lo, exec_lo, s63
	s_waitcnt vmcnt(29) lgkmcnt(29)
	v_cmp_gt_i16_sdwa s63, v25, v59 src0_sel:BYTE_0 src1_sel:DWORD
	s_mov_b32 s16, 0
	s_and_saveexec_b32 s72, s63
	s_xor_b32 s63, exec_lo, s72
	s_cbranch_execz .LBB6_2939
; %bb.2338:                             ;   in Loop: Header=BB6_2291 Depth=4
	v_cmp_eq_u16_sdwa s73, v25, v60 src0_sel:BYTE_0 src1_sel:DWORD
	s_mov_b32 s16, -1
	s_and_saveexec_b32 s72, s73
; %bb.2339:                             ;   in Loop: Header=BB6_2291 Depth=4
	s_xor_b32 s16, exec_lo, -1
; %bb.2340:                             ;   in Loop: Header=BB6_2291 Depth=4
	s_or_b32 exec_lo, exec_lo, s72
	s_and_b32 s16, s16, exec_lo
	s_or_saveexec_b32 s63, s63
	v_mov_b32_e32 v87, 0x7f800001
	s_xor_b32 exec_lo, exec_lo, s63
	s_cbranch_execnz .LBB6_2940
.LBB6_2341:                             ;   in Loop: Header=BB6_2291 Depth=4
	s_or_b32 exec_lo, exec_lo, s63
	s_and_saveexec_b32 s63, s16
	s_cbranch_execz .LBB6_2343
.LBB6_2342:                             ;   in Loop: Header=BB6_2291 Depth=4
	v_and_b32_e32 v87, 3, v25
	v_lshrrev_b16 v90, 2, v25
	v_ffbh_u32_e32 v79, v87
	v_and_b32_e32 v90, 31, v90
	v_min_u32_e32 v79, 32, v79
	v_cmp_eq_u32_e32 vcc_lo, 0, v90
	v_subrev_nc_u32_e32 v95, 29, v79
	v_sub_nc_u32_e32 v79, 30, v79
	v_lshlrev_b32_e32 v95, v95, v25
	v_lshlrev_b32_e32 v25, 24, v25
	v_cndmask_b32_e32 v79, v90, v79, vcc_lo
	v_and_b32_e32 v95, 3, v95
	v_and_b32_e32 v25, 0x80000000, v25
	v_lshl_add_u32 v79, v79, 23, 0x37800000
	v_cndmask_b32_e32 v87, v87, v95, vcc_lo
	v_lshlrev_b32_e32 v87, 21, v87
	v_or3_b32 v87, v25, v79, v87
.LBB6_2343:                             ;   in Loop: Header=BB6_2291 Depth=4
	s_or_b32 exec_lo, exec_lo, s63
	v_mul_f32_e32 v86, v86, v87
	v_and_b32_e32 v25, 0x7f800000, v86
	v_cmp_ne_u32_e32 vcc_lo, 0x7f800000, v25
	v_mov_b32_e32 v25, 0x80
	s_and_saveexec_b32 s63, vcc_lo
	s_cbranch_execz .LBB6_2351
; %bb.2344:                             ;   in Loop: Header=BB6_2291 Depth=4
	v_mov_b32_e32 v25, 0
	s_mov_b32 s72, exec_lo
	v_cmpx_ne_u32_e32 0, v86
	s_cbranch_execz .LBB6_2350
; %bb.2345:                             ;   in Loop: Header=BB6_2291 Depth=4
	v_bfe_u32 v87, v86, 23, 8
	v_and_b32_e32 v25, 0x7fffff, v86
                                        ; implicit-def: $vgpr108
	v_cmp_gt_u32_e64 s16, 0x71, v87
	v_sub_nc_u32_e32 v79, 0x70, v87
	v_cmp_eq_u32_e32 vcc_lo, 0, v87
	v_or_b32_e32 v90, 0x800000, v25
	v_cndmask_b32_e64 v79, 0, v79, s16
	v_cndmask_b32_e32 v25, v90, v25, vcc_lo
	v_cndmask_b32_e64 v79, v79, 0x6f, vcc_lo
	v_lshl_add_u32 v90, 0x200000, v79, -1
	v_lshlrev_b32_e64 v95, v79, 0x100000
	v_and_b32_e32 v90, v90, v25
	v_cmp_eq_u32_e64 s16, v90, v95
	v_lshrrev_b32_e32 v90, v79, v25
	v_add_nc_u32_e32 v25, 0xffffff91, v87
	v_lshrrev_b32_e32 v87, 23, v90
	v_cndmask_b32_e64 v25, v25, 0xffffff92, vcc_lo
	v_xor_b32_e32 v87, 1, v87
	v_add_nc_u32_e32 v25, v79, v25
	v_bfe_u32 v79, v90, 21, 1
	v_add_nc_u32_e32 v79, -1, v79
	v_cndmask_b32_e64 v79, 0, v79, s16
	s_mov_b32 s16, exec_lo
	v_add_nc_u32_e32 v79, v79, v90
	v_and_b32_e32 v79, 0x1fffff, v79
	v_add_nc_u32_e32 v90, v79, v90
	v_cmpx_ne_u32_e64 v25, v87
	s_xor_b32 s16, exec_lo, s16
; %bb.2346:                             ;   in Loop: Header=BB6_2291 Depth=4
	v_cmp_lt_u32_e32 vcc_lo, 0xffffff, v90
	v_sub_nc_u32_e32 v25, v25, v87
	v_cndmask_b32_e64 v87, 0, 1, vcc_lo
	v_add_co_ci_u32_e64 v108, null, 0, v25, vcc_lo
	v_lshrrev_b32_e32 v90, v87, v90
; %bb.2347:                             ;   in Loop: Header=BB6_2291 Depth=4
	s_andn2_saveexec_b32 s16, s16
; %bb.2348:                             ;   in Loop: Header=BB6_2291 Depth=4
	v_bfe_u32 v108, v90, 23, 1
; %bb.2349:                             ;   in Loop: Header=BB6_2291 Depth=4
	s_or_b32 exec_lo, exec_lo, s16
	v_and_b32_sdwa v25, v86, v60 dst_sel:DWORD dst_unused:UNUSED_PAD src0_sel:BYTE_3 src1_sel:DWORD
	v_lshrrev_b32_e32 v86, 21, v90
	v_cmp_gt_i32_e32 vcc_lo, 32, v108
	v_min_i32_e32 v87, 31, v108
	v_cndmask_b32_e32 v86, 3, v86, vcc_lo
	v_lshlrev_b32_e32 v87, 2, v87
	v_or_b32_e32 v79, v108, v86
	v_and_b32_e32 v86, 3, v86
	v_cmp_ne_u32_e32 vcc_lo, 0, v79
	v_or3_b32 v25, v87, v25, v86
	v_cndmask_b32_e32 v25, 0, v25, vcc_lo
.LBB6_2350:                             ;   in Loop: Header=BB6_2291 Depth=4
	s_or_b32 exec_lo, exec_lo, s72
.LBB6_2351:                             ;   in Loop: Header=BB6_2291 Depth=4
	s_or_b32 exec_lo, exec_lo, s63
	v_cmp_gt_i16_sdwa s63, v124, v59 src0_sel:BYTE_0 src1_sel:DWORD
	s_mov_b32 s16, 0
	s_and_saveexec_b32 s72, s63
	s_xor_b32 s63, exec_lo, s72
	s_cbranch_execz .LBB6_2941
; %bb.2352:                             ;   in Loop: Header=BB6_2291 Depth=4
	v_cmp_eq_u16_sdwa s73, v124, v60 src0_sel:BYTE_0 src1_sel:DWORD
	s_mov_b32 s16, -1
	s_and_saveexec_b32 s72, s73
; %bb.2353:                             ;   in Loop: Header=BB6_2291 Depth=4
	s_xor_b32 s16, exec_lo, -1
; %bb.2354:                             ;   in Loop: Header=BB6_2291 Depth=4
	s_or_b32 exec_lo, exec_lo, s72
	s_and_b32 s16, s16, exec_lo
	s_or_saveexec_b32 s63, s63
	v_mov_b32_e32 v86, 0x7f800001
	s_xor_b32 exec_lo, exec_lo, s63
	s_cbranch_execnz .LBB6_2942
.LBB6_2355:                             ;   in Loop: Header=BB6_2291 Depth=4
	s_or_b32 exec_lo, exec_lo, s63
	s_and_saveexec_b32 s63, s16
	s_cbranch_execz .LBB6_2357
.LBB6_2356:                             ;   in Loop: Header=BB6_2291 Depth=4
	v_and_b32_e32 v86, 3, v124
	v_lshrrev_b16 v79, 2, v124
	v_lshlrev_b32_e32 v95, 24, v124
	v_ffbh_u32_e32 v87, v86
	v_and_b32_e32 v79, 31, v79
	v_min_u32_e32 v87, 32, v87
	v_cmp_eq_u32_e32 vcc_lo, 0, v79
	v_subrev_nc_u32_e32 v90, 29, v87
	v_sub_nc_u32_e32 v87, 30, v87
	v_lshlrev_b32_e32 v90, v90, v124
	v_cndmask_b32_e32 v87, v79, v87, vcc_lo
	v_and_b32_e32 v79, 0x80000000, v95
	v_and_b32_e32 v90, 3, v90
	v_lshl_add_u32 v87, v87, 23, 0x37800000
	v_cndmask_b32_e32 v86, v86, v90, vcc_lo
	v_lshlrev_b32_e32 v86, 21, v86
	v_or3_b32 v86, v79, v87, v86
.LBB6_2357:                             ;   in Loop: Header=BB6_2291 Depth=4
	s_or_b32 exec_lo, exec_lo, s63
	s_waitcnt vmcnt(28) lgkmcnt(28)
	v_cmp_gt_i16_sdwa s63, v28, v59 src0_sel:BYTE_0 src1_sel:DWORD
	s_mov_b32 s16, 0
	s_and_saveexec_b32 s72, s63
	s_xor_b32 s63, exec_lo, s72
	s_cbranch_execz .LBB6_2943
; %bb.2358:                             ;   in Loop: Header=BB6_2291 Depth=4
	v_cmp_eq_u16_sdwa s73, v28, v60 src0_sel:BYTE_0 src1_sel:DWORD
	s_mov_b32 s16, -1
	s_and_saveexec_b32 s72, s73
; %bb.2359:                             ;   in Loop: Header=BB6_2291 Depth=4
	s_xor_b32 s16, exec_lo, -1
; %bb.2360:                             ;   in Loop: Header=BB6_2291 Depth=4
	s_or_b32 exec_lo, exec_lo, s72
	s_and_b32 s16, s16, exec_lo
	s_or_saveexec_b32 s63, s63
	v_mov_b32_e32 v87, 0x7f800001
	s_xor_b32 exec_lo, exec_lo, s63
	s_cbranch_execnz .LBB6_2944
.LBB6_2361:                             ;   in Loop: Header=BB6_2291 Depth=4
	s_or_b32 exec_lo, exec_lo, s63
	s_and_saveexec_b32 s63, s16
	s_cbranch_execz .LBB6_2363
.LBB6_2362:                             ;   in Loop: Header=BB6_2291 Depth=4
	v_and_b32_e32 v87, 3, v28
	v_lshrrev_b16 v90, 2, v28
	v_ffbh_u32_e32 v79, v87
	v_and_b32_e32 v90, 31, v90
	v_min_u32_e32 v79, 32, v79
	v_cmp_eq_u32_e32 vcc_lo, 0, v90
	v_subrev_nc_u32_e32 v95, 29, v79
	v_sub_nc_u32_e32 v79, 30, v79
	v_lshlrev_b32_e32 v95, v95, v28
	v_lshlrev_b32_e32 v28, 24, v28
	v_cndmask_b32_e32 v79, v90, v79, vcc_lo
	v_and_b32_e32 v95, 3, v95
	v_and_b32_e32 v28, 0x80000000, v28
	v_lshl_add_u32 v79, v79, 23, 0x37800000
	v_cndmask_b32_e32 v87, v87, v95, vcc_lo
	v_lshlrev_b32_e32 v87, 21, v87
	v_or3_b32 v87, v28, v79, v87
.LBB6_2363:                             ;   in Loop: Header=BB6_2291 Depth=4
	s_or_b32 exec_lo, exec_lo, s63
	v_mul_f32_e32 v86, v86, v87
	v_and_b32_e32 v28, 0x7f800000, v86
	v_cmp_ne_u32_e32 vcc_lo, 0x7f800000, v28
	v_mov_b32_e32 v28, 0x80
	s_and_saveexec_b32 s63, vcc_lo
	s_cbranch_execz .LBB6_2371
; %bb.2364:                             ;   in Loop: Header=BB6_2291 Depth=4
	v_mov_b32_e32 v28, 0
	s_mov_b32 s72, exec_lo
	v_cmpx_ne_u32_e32 0, v86
	s_cbranch_execz .LBB6_2370
; %bb.2365:                             ;   in Loop: Header=BB6_2291 Depth=4
	v_bfe_u32 v87, v86, 23, 8
	v_and_b32_e32 v28, 0x7fffff, v86
                                        ; implicit-def: $vgpr108
	v_cmp_gt_u32_e64 s16, 0x71, v87
	v_sub_nc_u32_e32 v79, 0x70, v87
	v_cmp_eq_u32_e32 vcc_lo, 0, v87
	v_or_b32_e32 v90, 0x800000, v28
	v_cndmask_b32_e64 v79, 0, v79, s16
	v_cndmask_b32_e32 v28, v90, v28, vcc_lo
	v_cndmask_b32_e64 v79, v79, 0x6f, vcc_lo
	v_lshl_add_u32 v90, 0x200000, v79, -1
	v_lshlrev_b32_e64 v95, v79, 0x100000
	v_and_b32_e32 v90, v90, v28
	v_cmp_eq_u32_e64 s16, v90, v95
	v_lshrrev_b32_e32 v90, v79, v28
	v_add_nc_u32_e32 v28, 0xffffff91, v87
	v_lshrrev_b32_e32 v87, 23, v90
	v_cndmask_b32_e64 v28, v28, 0xffffff92, vcc_lo
	v_xor_b32_e32 v87, 1, v87
	v_add_nc_u32_e32 v28, v79, v28
	v_bfe_u32 v79, v90, 21, 1
	v_add_nc_u32_e32 v79, -1, v79
	v_cndmask_b32_e64 v79, 0, v79, s16
	s_mov_b32 s16, exec_lo
	v_add_nc_u32_e32 v79, v79, v90
	v_and_b32_e32 v79, 0x1fffff, v79
	v_add_nc_u32_e32 v90, v79, v90
	v_cmpx_ne_u32_e64 v28, v87
	s_xor_b32 s16, exec_lo, s16
; %bb.2366:                             ;   in Loop: Header=BB6_2291 Depth=4
	v_cmp_lt_u32_e32 vcc_lo, 0xffffff, v90
	v_sub_nc_u32_e32 v28, v28, v87
	v_cndmask_b32_e64 v87, 0, 1, vcc_lo
	v_add_co_ci_u32_e64 v108, null, 0, v28, vcc_lo
	v_lshrrev_b32_e32 v90, v87, v90
; %bb.2367:                             ;   in Loop: Header=BB6_2291 Depth=4
	s_andn2_saveexec_b32 s16, s16
; %bb.2368:                             ;   in Loop: Header=BB6_2291 Depth=4
	v_bfe_u32 v108, v90, 23, 1
; %bb.2369:                             ;   in Loop: Header=BB6_2291 Depth=4
	s_or_b32 exec_lo, exec_lo, s16
	v_and_b32_sdwa v28, v86, v60 dst_sel:DWORD dst_unused:UNUSED_PAD src0_sel:BYTE_3 src1_sel:DWORD
	v_lshrrev_b32_e32 v86, 21, v90
	v_cmp_gt_i32_e32 vcc_lo, 32, v108
	v_min_i32_e32 v87, 31, v108
	v_cndmask_b32_e32 v86, 3, v86, vcc_lo
	v_lshlrev_b32_e32 v87, 2, v87
	v_or_b32_e32 v79, v108, v86
	v_and_b32_e32 v86, 3, v86
	v_cmp_ne_u32_e32 vcc_lo, 0, v79
	v_or3_b32 v28, v87, v28, v86
	v_cndmask_b32_e32 v28, 0, v28, vcc_lo
.LBB6_2370:                             ;   in Loop: Header=BB6_2291 Depth=4
	s_or_b32 exec_lo, exec_lo, s72
.LBB6_2371:                             ;   in Loop: Header=BB6_2291 Depth=4
	s_or_b32 exec_lo, exec_lo, s63
	v_cmp_gt_i16_sdwa s63, v58, v59 src0_sel:BYTE_0 src1_sel:DWORD
	s_mov_b32 s16, 0
	s_and_saveexec_b32 s72, s63
	s_xor_b32 s63, exec_lo, s72
	s_cbranch_execz .LBB6_2945
; %bb.2372:                             ;   in Loop: Header=BB6_2291 Depth=4
	v_cmp_eq_u16_sdwa s73, v58, v60 src0_sel:BYTE_0 src1_sel:DWORD
	s_mov_b32 s16, -1
	s_and_saveexec_b32 s72, s73
; %bb.2373:                             ;   in Loop: Header=BB6_2291 Depth=4
	s_xor_b32 s16, exec_lo, -1
; %bb.2374:                             ;   in Loop: Header=BB6_2291 Depth=4
	s_or_b32 exec_lo, exec_lo, s72
	s_and_b32 s16, s16, exec_lo
	s_or_saveexec_b32 s63, s63
	v_mov_b32_e32 v86, 0x7f800001
	s_xor_b32 exec_lo, exec_lo, s63
	s_cbranch_execnz .LBB6_2946
.LBB6_2375:                             ;   in Loop: Header=BB6_2291 Depth=4
	s_or_b32 exec_lo, exec_lo, s63
	s_and_saveexec_b32 s63, s16
	s_cbranch_execz .LBB6_2377
.LBB6_2376:                             ;   in Loop: Header=BB6_2291 Depth=4
	v_and_b32_e32 v86, 3, v58
	v_lshrrev_b16 v79, 2, v58
	v_ffbh_u32_e32 v87, v86
	v_and_b32_e32 v79, 31, v79
	v_min_u32_e32 v87, 32, v87
	v_cmp_eq_u32_e32 vcc_lo, 0, v79
	v_subrev_nc_u32_e32 v90, 29, v87
	v_sub_nc_u32_e32 v87, 30, v87
	v_lshlrev_b32_e32 v90, v90, v58
	v_lshlrev_b32_e32 v58, 24, v58
	v_cndmask_b32_e32 v87, v79, v87, vcc_lo
	v_and_b32_e32 v90, 3, v90
	v_and_b32_e32 v58, 0x80000000, v58
	v_lshl_add_u32 v87, v87, 23, 0x37800000
	v_cndmask_b32_e32 v86, v86, v90, vcc_lo
	v_lshlrev_b32_e32 v86, 21, v86
	v_or3_b32 v86, v58, v87, v86
.LBB6_2377:                             ;   in Loop: Header=BB6_2291 Depth=4
	s_or_b32 exec_lo, exec_lo, s63
	s_waitcnt vmcnt(27) lgkmcnt(27)
	v_cmp_gt_i16_sdwa s63, v31, v59 src0_sel:BYTE_0 src1_sel:DWORD
	s_mov_b32 s16, 0
	s_and_saveexec_b32 s72, s63
	s_xor_b32 s63, exec_lo, s72
	s_cbranch_execz .LBB6_2947
; %bb.2378:                             ;   in Loop: Header=BB6_2291 Depth=4
	v_cmp_eq_u16_sdwa s73, v31, v60 src0_sel:BYTE_0 src1_sel:DWORD
	s_mov_b32 s16, -1
	s_and_saveexec_b32 s72, s73
; %bb.2379:                             ;   in Loop: Header=BB6_2291 Depth=4
	s_xor_b32 s16, exec_lo, -1
; %bb.2380:                             ;   in Loop: Header=BB6_2291 Depth=4
	s_or_b32 exec_lo, exec_lo, s72
	s_and_b32 s16, s16, exec_lo
	s_or_saveexec_b32 s63, s63
	v_mov_b32_e32 v87, 0x7f800001
	s_xor_b32 exec_lo, exec_lo, s63
	s_cbranch_execnz .LBB6_2948
.LBB6_2381:                             ;   in Loop: Header=BB6_2291 Depth=4
	s_or_b32 exec_lo, exec_lo, s63
	s_and_saveexec_b32 s63, s16
	s_cbranch_execz .LBB6_2383
.LBB6_2382:                             ;   in Loop: Header=BB6_2291 Depth=4
	v_and_b32_e32 v87, 3, v31
	v_lshrrev_b16 v79, 2, v31
	v_ffbh_u32_e32 v58, v87
	v_and_b32_e32 v79, 31, v79
	v_min_u32_e32 v58, 32, v58
	v_cmp_eq_u32_e32 vcc_lo, 0, v79
	v_subrev_nc_u32_e32 v90, 29, v58
	v_sub_nc_u32_e32 v58, 30, v58
	v_lshlrev_b32_e32 v90, v90, v31
	v_lshlrev_b32_e32 v31, 24, v31
	v_cndmask_b32_e32 v58, v79, v58, vcc_lo
	v_and_b32_e32 v90, 3, v90
	v_and_b32_e32 v31, 0x80000000, v31
	v_lshl_add_u32 v58, v58, 23, 0x37800000
	v_cndmask_b32_e32 v87, v87, v90, vcc_lo
	v_lshlrev_b32_e32 v87, 21, v87
	v_or3_b32 v87, v31, v58, v87
.LBB6_2383:                             ;   in Loop: Header=BB6_2291 Depth=4
	s_or_b32 exec_lo, exec_lo, s63
	v_mul_f32_e32 v86, v86, v87
	v_and_b32_e32 v31, 0x7f800000, v86
	v_cmp_ne_u32_e32 vcc_lo, 0x7f800000, v31
	v_mov_b32_e32 v31, 0x80
	s_and_saveexec_b32 s63, vcc_lo
	s_cbranch_execz .LBB6_2391
; %bb.2384:                             ;   in Loop: Header=BB6_2291 Depth=4
	v_mov_b32_e32 v31, 0
	s_mov_b32 s72, exec_lo
	v_cmpx_ne_u32_e32 0, v86
	s_cbranch_execz .LBB6_2390
; %bb.2385:                             ;   in Loop: Header=BB6_2291 Depth=4
	v_bfe_u32 v87, v86, 23, 8
	v_and_b32_e32 v31, 0x7fffff, v86
	v_cmp_gt_u32_e64 s16, 0x71, v87
	v_sub_nc_u32_e32 v58, 0x70, v87
	v_cmp_eq_u32_e32 vcc_lo, 0, v87
	v_or_b32_e32 v79, 0x800000, v31
	v_cndmask_b32_e64 v58, 0, v58, s16
	v_cndmask_b32_e32 v31, v79, v31, vcc_lo
	v_cndmask_b32_e64 v58, v58, 0x6f, vcc_lo
	v_lshl_add_u32 v79, 0x200000, v58, -1
	v_lshlrev_b32_e64 v90, v58, 0x100000
	v_and_b32_e32 v79, v79, v31
	v_cmp_eq_u32_e64 s16, v79, v90
	v_lshrrev_b32_e32 v79, v58, v31
	v_add_nc_u32_e32 v31, 0xffffff91, v87
                                        ; implicit-def: $vgpr90
	v_lshrrev_b32_e32 v87, 23, v79
	v_cndmask_b32_e64 v31, v31, 0xffffff92, vcc_lo
	v_xor_b32_e32 v87, 1, v87
	v_add_nc_u32_e32 v31, v58, v31
	v_bfe_u32 v58, v79, 21, 1
	v_add_nc_u32_e32 v58, -1, v58
	v_cndmask_b32_e64 v58, 0, v58, s16
	s_mov_b32 s16, exec_lo
	v_add_nc_u32_e32 v58, v58, v79
	v_and_b32_e32 v58, 0x1fffff, v58
	v_add_nc_u32_e32 v58, v58, v79
	v_cmpx_ne_u32_e64 v31, v87
	s_xor_b32 s16, exec_lo, s16
; %bb.2386:                             ;   in Loop: Header=BB6_2291 Depth=4
	v_cmp_lt_u32_e32 vcc_lo, 0xffffff, v58
	v_sub_nc_u32_e32 v31, v31, v87
	v_cndmask_b32_e64 v87, 0, 1, vcc_lo
	v_add_co_ci_u32_e64 v90, null, 0, v31, vcc_lo
	v_lshrrev_b32_e32 v58, v87, v58
; %bb.2387:                             ;   in Loop: Header=BB6_2291 Depth=4
	s_andn2_saveexec_b32 s16, s16
; %bb.2388:                             ;   in Loop: Header=BB6_2291 Depth=4
	v_bfe_u32 v90, v58, 23, 1
; %bb.2389:                             ;   in Loop: Header=BB6_2291 Depth=4
	s_or_b32 exec_lo, exec_lo, s16
	v_and_b32_sdwa v31, v86, v60 dst_sel:DWORD dst_unused:UNUSED_PAD src0_sel:BYTE_3 src1_sel:DWORD
	v_lshrrev_b32_e32 v86, 21, v58
	v_cmp_gt_i32_e32 vcc_lo, 32, v90
	v_min_i32_e32 v87, 31, v90
	v_cndmask_b32_e32 v86, 3, v86, vcc_lo
	v_lshlrev_b32_e32 v87, 2, v87
	v_or_b32_e32 v58, v90, v86
	v_and_b32_e32 v86, 3, v86
	v_cmp_ne_u32_e32 vcc_lo, 0, v58
	v_or3_b32 v31, v87, v31, v86
	v_cndmask_b32_e32 v31, 0, v31, vcc_lo
.LBB6_2390:                             ;   in Loop: Header=BB6_2291 Depth=4
	s_or_b32 exec_lo, exec_lo, s72
.LBB6_2391:                             ;   in Loop: Header=BB6_2291 Depth=4
	s_or_b32 exec_lo, exec_lo, s63
	v_cmp_gt_i16_sdwa s63, v123, v59 src0_sel:BYTE_0 src1_sel:DWORD
	s_mov_b32 s16, 0
	s_and_saveexec_b32 s72, s63
	s_xor_b32 s63, exec_lo, s72
	s_cbranch_execz .LBB6_2949
; %bb.2392:                             ;   in Loop: Header=BB6_2291 Depth=4
	v_cmp_eq_u16_sdwa s73, v123, v60 src0_sel:BYTE_0 src1_sel:DWORD
	s_mov_b32 s16, -1
	s_and_saveexec_b32 s72, s73
; %bb.2393:                             ;   in Loop: Header=BB6_2291 Depth=4
	s_xor_b32 s16, exec_lo, -1
; %bb.2394:                             ;   in Loop: Header=BB6_2291 Depth=4
	s_or_b32 exec_lo, exec_lo, s72
	s_and_b32 s16, s16, exec_lo
	s_or_saveexec_b32 s63, s63
	v_mov_b32_e32 v86, 0x7f800001
	s_xor_b32 exec_lo, exec_lo, s63
	s_cbranch_execnz .LBB6_2950
.LBB6_2395:                             ;   in Loop: Header=BB6_2291 Depth=4
	s_or_b32 exec_lo, exec_lo, s63
	s_and_saveexec_b32 s63, s16
	s_cbranch_execz .LBB6_2397
.LBB6_2396:                             ;   in Loop: Header=BB6_2291 Depth=4
	v_and_b32_e32 v86, 3, v123
	v_lshrrev_b16 v58, 2, v123
	v_lshlrev_b32_e32 v90, 24, v123
	v_ffbh_u32_e32 v87, v86
	v_and_b32_e32 v58, 31, v58
	v_min_u32_e32 v87, 32, v87
	v_cmp_eq_u32_e32 vcc_lo, 0, v58
	v_subrev_nc_u32_e32 v79, 29, v87
	v_sub_nc_u32_e32 v87, 30, v87
	v_lshlrev_b32_e32 v79, v79, v123
	v_cndmask_b32_e32 v87, v58, v87, vcc_lo
	v_and_b32_e32 v58, 0x80000000, v90
	v_and_b32_e32 v79, 3, v79
	v_lshl_add_u32 v87, v87, 23, 0x37800000
	v_cndmask_b32_e32 v86, v86, v79, vcc_lo
	v_lshlrev_b32_e32 v86, 21, v86
	v_or3_b32 v86, v58, v87, v86
.LBB6_2397:                             ;   in Loop: Header=BB6_2291 Depth=4
	s_or_b32 exec_lo, exec_lo, s63
	s_waitcnt vmcnt(26) lgkmcnt(26)
	v_cmp_gt_i16_sdwa s63, v34, v59 src0_sel:BYTE_0 src1_sel:DWORD
	s_mov_b32 s16, 0
	s_and_saveexec_b32 s72, s63
	s_xor_b32 s63, exec_lo, s72
	s_cbranch_execz .LBB6_2951
; %bb.2398:                             ;   in Loop: Header=BB6_2291 Depth=4
	v_cmp_eq_u16_sdwa s73, v34, v60 src0_sel:BYTE_0 src1_sel:DWORD
	s_mov_b32 s16, -1
	s_and_saveexec_b32 s72, s73
; %bb.2399:                             ;   in Loop: Header=BB6_2291 Depth=4
	s_xor_b32 s16, exec_lo, -1
; %bb.2400:                             ;   in Loop: Header=BB6_2291 Depth=4
	s_or_b32 exec_lo, exec_lo, s72
	s_and_b32 s16, s16, exec_lo
	s_or_saveexec_b32 s63, s63
	v_mov_b32_e32 v87, 0x7f800001
	s_xor_b32 exec_lo, exec_lo, s63
	s_cbranch_execnz .LBB6_2952
.LBB6_2401:                             ;   in Loop: Header=BB6_2291 Depth=4
	s_or_b32 exec_lo, exec_lo, s63
	s_and_saveexec_b32 s63, s16
	s_cbranch_execz .LBB6_2403
.LBB6_2402:                             ;   in Loop: Header=BB6_2291 Depth=4
	v_and_b32_e32 v87, 3, v34
	v_lshrrev_b16 v79, 2, v34
	v_ffbh_u32_e32 v58, v87
	v_and_b32_e32 v79, 31, v79
	v_min_u32_e32 v58, 32, v58
	v_cmp_eq_u32_e32 vcc_lo, 0, v79
	v_subrev_nc_u32_e32 v90, 29, v58
	v_sub_nc_u32_e32 v58, 30, v58
	v_lshlrev_b32_e32 v90, v90, v34
	v_lshlrev_b32_e32 v34, 24, v34
	v_cndmask_b32_e32 v58, v79, v58, vcc_lo
	v_and_b32_e32 v90, 3, v90
	v_and_b32_e32 v34, 0x80000000, v34
	v_lshl_add_u32 v58, v58, 23, 0x37800000
	v_cndmask_b32_e32 v87, v87, v90, vcc_lo
	v_lshlrev_b32_e32 v87, 21, v87
	v_or3_b32 v87, v34, v58, v87
.LBB6_2403:                             ;   in Loop: Header=BB6_2291 Depth=4
	s_or_b32 exec_lo, exec_lo, s63
	v_mul_f32_e32 v86, v86, v87
	v_and_b32_e32 v34, 0x7f800000, v86
	v_cmp_ne_u32_e32 vcc_lo, 0x7f800000, v34
	v_mov_b32_e32 v34, 0x80
	s_and_saveexec_b32 s63, vcc_lo
	s_cbranch_execz .LBB6_2411
; %bb.2404:                             ;   in Loop: Header=BB6_2291 Depth=4
	v_mov_b32_e32 v34, 0
	s_mov_b32 s72, exec_lo
	v_cmpx_ne_u32_e32 0, v86
	s_cbranch_execz .LBB6_2410
; %bb.2405:                             ;   in Loop: Header=BB6_2291 Depth=4
	v_bfe_u32 v87, v86, 23, 8
	v_and_b32_e32 v34, 0x7fffff, v86
	v_cmp_gt_u32_e64 s16, 0x71, v87
	v_sub_nc_u32_e32 v58, 0x70, v87
	v_cmp_eq_u32_e32 vcc_lo, 0, v87
	v_or_b32_e32 v79, 0x800000, v34
	v_cndmask_b32_e64 v58, 0, v58, s16
	v_cndmask_b32_e32 v34, v79, v34, vcc_lo
	v_cndmask_b32_e64 v58, v58, 0x6f, vcc_lo
	v_lshl_add_u32 v79, 0x200000, v58, -1
	v_lshlrev_b32_e64 v90, v58, 0x100000
	v_and_b32_e32 v79, v79, v34
	v_cmp_eq_u32_e64 s16, v79, v90
	v_lshrrev_b32_e32 v79, v58, v34
	v_add_nc_u32_e32 v34, 0xffffff91, v87
                                        ; implicit-def: $vgpr90
	v_lshrrev_b32_e32 v87, 23, v79
	v_cndmask_b32_e64 v34, v34, 0xffffff92, vcc_lo
	v_xor_b32_e32 v87, 1, v87
	v_add_nc_u32_e32 v34, v58, v34
	v_bfe_u32 v58, v79, 21, 1
	v_add_nc_u32_e32 v58, -1, v58
	v_cndmask_b32_e64 v58, 0, v58, s16
	s_mov_b32 s16, exec_lo
	v_add_nc_u32_e32 v58, v58, v79
	v_and_b32_e32 v58, 0x1fffff, v58
	v_add_nc_u32_e32 v58, v58, v79
	v_cmpx_ne_u32_e64 v34, v87
	s_xor_b32 s16, exec_lo, s16
; %bb.2406:                             ;   in Loop: Header=BB6_2291 Depth=4
	v_cmp_lt_u32_e32 vcc_lo, 0xffffff, v58
	v_sub_nc_u32_e32 v34, v34, v87
	v_cndmask_b32_e64 v87, 0, 1, vcc_lo
	v_add_co_ci_u32_e64 v90, null, 0, v34, vcc_lo
	v_lshrrev_b32_e32 v58, v87, v58
; %bb.2407:                             ;   in Loop: Header=BB6_2291 Depth=4
	s_andn2_saveexec_b32 s16, s16
; %bb.2408:                             ;   in Loop: Header=BB6_2291 Depth=4
	v_bfe_u32 v90, v58, 23, 1
; %bb.2409:                             ;   in Loop: Header=BB6_2291 Depth=4
	s_or_b32 exec_lo, exec_lo, s16
	v_and_b32_sdwa v34, v86, v60 dst_sel:DWORD dst_unused:UNUSED_PAD src0_sel:BYTE_3 src1_sel:DWORD
	v_lshrrev_b32_e32 v86, 21, v58
	v_cmp_gt_i32_e32 vcc_lo, 32, v90
	v_min_i32_e32 v87, 31, v90
	v_cndmask_b32_e32 v86, 3, v86, vcc_lo
	v_lshlrev_b32_e32 v87, 2, v87
	v_or_b32_e32 v58, v90, v86
	v_and_b32_e32 v86, 3, v86
	v_cmp_ne_u32_e32 vcc_lo, 0, v58
	v_or3_b32 v34, v87, v34, v86
	v_cndmask_b32_e32 v34, 0, v34, vcc_lo
.LBB6_2410:                             ;   in Loop: Header=BB6_2291 Depth=4
	s_or_b32 exec_lo, exec_lo, s72
.LBB6_2411:                             ;   in Loop: Header=BB6_2291 Depth=4
	s_or_b32 exec_lo, exec_lo, s63
	v_cmp_gt_i16_sdwa s63, v46, v59 src0_sel:BYTE_0 src1_sel:DWORD
	s_mov_b32 s16, 0
	s_and_saveexec_b32 s72, s63
	s_xor_b32 s63, exec_lo, s72
	s_cbranch_execz .LBB6_2953
; %bb.2412:                             ;   in Loop: Header=BB6_2291 Depth=4
	v_cmp_eq_u16_sdwa s73, v46, v60 src0_sel:BYTE_0 src1_sel:DWORD
	s_mov_b32 s16, -1
	s_and_saveexec_b32 s72, s73
; %bb.2413:                             ;   in Loop: Header=BB6_2291 Depth=4
	s_xor_b32 s16, exec_lo, -1
; %bb.2414:                             ;   in Loop: Header=BB6_2291 Depth=4
	s_or_b32 exec_lo, exec_lo, s72
	s_and_b32 s16, s16, exec_lo
	s_or_saveexec_b32 s63, s63
	v_mov_b32_e32 v86, 0x7f800001
	s_xor_b32 exec_lo, exec_lo, s63
	s_cbranch_execnz .LBB6_2954
.LBB6_2415:                             ;   in Loop: Header=BB6_2291 Depth=4
	s_or_b32 exec_lo, exec_lo, s63
	s_and_saveexec_b32 s63, s16
	s_cbranch_execz .LBB6_2417
.LBB6_2416:                             ;   in Loop: Header=BB6_2291 Depth=4
	v_and_b32_e32 v86, 3, v46
	v_lshrrev_b16 v58, 2, v46
	v_ffbh_u32_e32 v87, v86
	v_and_b32_e32 v58, 31, v58
	v_min_u32_e32 v87, 32, v87
	v_cmp_eq_u32_e32 vcc_lo, 0, v58
	v_subrev_nc_u32_e32 v79, 29, v87
	v_sub_nc_u32_e32 v87, 30, v87
	v_lshlrev_b32_e32 v79, v79, v46
	v_lshlrev_b32_e32 v46, 24, v46
	v_cndmask_b32_e32 v87, v58, v87, vcc_lo
	v_and_b32_e32 v79, 3, v79
	v_and_b32_e32 v46, 0x80000000, v46
	v_lshl_add_u32 v87, v87, 23, 0x37800000
	v_cndmask_b32_e32 v86, v86, v79, vcc_lo
	v_lshlrev_b32_e32 v86, 21, v86
	v_or3_b32 v86, v46, v87, v86
.LBB6_2417:                             ;   in Loop: Header=BB6_2291 Depth=4
	s_or_b32 exec_lo, exec_lo, s63
	s_waitcnt vmcnt(25) lgkmcnt(25)
	v_cmp_gt_i16_sdwa s63, v37, v59 src0_sel:BYTE_0 src1_sel:DWORD
	s_mov_b32 s16, 0
	s_and_saveexec_b32 s72, s63
	s_xor_b32 s63, exec_lo, s72
	s_cbranch_execz .LBB6_2955
; %bb.2418:                             ;   in Loop: Header=BB6_2291 Depth=4
	v_cmp_eq_u16_sdwa s73, v37, v60 src0_sel:BYTE_0 src1_sel:DWORD
	s_mov_b32 s16, -1
	s_and_saveexec_b32 s72, s73
; %bb.2419:                             ;   in Loop: Header=BB6_2291 Depth=4
	s_xor_b32 s16, exec_lo, -1
; %bb.2420:                             ;   in Loop: Header=BB6_2291 Depth=4
	s_or_b32 exec_lo, exec_lo, s72
	s_and_b32 s16, s16, exec_lo
	s_or_saveexec_b32 s63, s63
	v_mov_b32_e32 v87, 0x7f800001
	s_xor_b32 exec_lo, exec_lo, s63
	s_cbranch_execnz .LBB6_2956
.LBB6_2421:                             ;   in Loop: Header=BB6_2291 Depth=4
	s_or_b32 exec_lo, exec_lo, s63
	s_and_saveexec_b32 s63, s16
	s_cbranch_execz .LBB6_2423
.LBB6_2422:                             ;   in Loop: Header=BB6_2291 Depth=4
	v_and_b32_e32 v87, 3, v37
	v_lshrrev_b16 v58, 2, v37
	v_ffbh_u32_e32 v46, v87
	v_and_b32_e32 v58, 31, v58
	v_min_u32_e32 v46, 32, v46
	v_cmp_eq_u32_e32 vcc_lo, 0, v58
	v_subrev_nc_u32_e32 v79, 29, v46
	v_sub_nc_u32_e32 v46, 30, v46
	v_lshlrev_b32_e32 v79, v79, v37
	v_lshlrev_b32_e32 v37, 24, v37
	v_cndmask_b32_e32 v46, v58, v46, vcc_lo
	v_and_b32_e32 v79, 3, v79
	v_and_b32_e32 v37, 0x80000000, v37
	v_lshl_add_u32 v46, v46, 23, 0x37800000
	v_cndmask_b32_e32 v87, v87, v79, vcc_lo
	v_lshlrev_b32_e32 v87, 21, v87
	v_or3_b32 v87, v37, v46, v87
.LBB6_2423:                             ;   in Loop: Header=BB6_2291 Depth=4
	s_or_b32 exec_lo, exec_lo, s63
	v_mul_f32_e32 v86, v86, v87
	v_and_b32_e32 v37, 0x7f800000, v86
	v_cmp_ne_u32_e32 vcc_lo, 0x7f800000, v37
	v_mov_b32_e32 v37, 0x80
	s_and_saveexec_b32 s63, vcc_lo
	s_cbranch_execz .LBB6_2431
; %bb.2424:                             ;   in Loop: Header=BB6_2291 Depth=4
	v_mov_b32_e32 v37, 0
	s_mov_b32 s72, exec_lo
	v_cmpx_ne_u32_e32 0, v86
	s_cbranch_execz .LBB6_2430
; %bb.2425:                             ;   in Loop: Header=BB6_2291 Depth=4
	v_bfe_u32 v87, v86, 23, 8
	v_and_b32_e32 v37, 0x7fffff, v86
	v_cmp_gt_u32_e64 s16, 0x71, v87
	v_sub_nc_u32_e32 v46, 0x70, v87
	v_cmp_eq_u32_e32 vcc_lo, 0, v87
	v_or_b32_e32 v58, 0x800000, v37
	v_cndmask_b32_e64 v46, 0, v46, s16
	v_cndmask_b32_e32 v37, v58, v37, vcc_lo
	v_cndmask_b32_e64 v46, v46, 0x6f, vcc_lo
	v_lshl_add_u32 v58, 0x200000, v46, -1
	v_lshlrev_b32_e64 v79, v46, 0x100000
	v_and_b32_e32 v58, v58, v37
	v_cmp_eq_u32_e64 s16, v58, v79
	v_lshrrev_b32_e32 v58, v46, v37
	v_add_nc_u32_e32 v37, 0xffffff91, v87
	v_lshrrev_b32_e32 v87, 23, v58
	v_cndmask_b32_e64 v37, v37, 0xffffff92, vcc_lo
	v_xor_b32_e32 v87, 1, v87
	v_add_nc_u32_e32 v37, v46, v37
	v_bfe_u32 v46, v58, 21, 1
	v_add_nc_u32_e32 v46, -1, v46
	v_cndmask_b32_e64 v46, 0, v46, s16
	s_mov_b32 s16, exec_lo
	v_add_nc_u32_e32 v46, v46, v58
	v_and_b32_e32 v46, 0x1fffff, v46
	v_add_nc_u32_e32 v46, v46, v58
                                        ; implicit-def: $vgpr58
	v_cmpx_ne_u32_e64 v37, v87
	s_xor_b32 s16, exec_lo, s16
; %bb.2426:                             ;   in Loop: Header=BB6_2291 Depth=4
	v_cmp_lt_u32_e32 vcc_lo, 0xffffff, v46
	v_sub_nc_u32_e32 v37, v37, v87
	v_cndmask_b32_e64 v87, 0, 1, vcc_lo
	v_add_co_ci_u32_e64 v58, null, 0, v37, vcc_lo
	v_lshrrev_b32_e32 v46, v87, v46
; %bb.2427:                             ;   in Loop: Header=BB6_2291 Depth=4
	s_andn2_saveexec_b32 s16, s16
; %bb.2428:                             ;   in Loop: Header=BB6_2291 Depth=4
	v_bfe_u32 v58, v46, 23, 1
; %bb.2429:                             ;   in Loop: Header=BB6_2291 Depth=4
	s_or_b32 exec_lo, exec_lo, s16
	v_and_b32_sdwa v37, v86, v60 dst_sel:DWORD dst_unused:UNUSED_PAD src0_sel:BYTE_3 src1_sel:DWORD
	v_lshrrev_b32_e32 v86, 21, v46
	v_cmp_gt_i32_e32 vcc_lo, 32, v58
	v_min_i32_e32 v87, 31, v58
	v_cndmask_b32_e32 v86, 3, v86, vcc_lo
	v_lshlrev_b32_e32 v87, 2, v87
	v_or_b32_e32 v46, v58, v86
	v_and_b32_e32 v86, 3, v86
	v_cmp_ne_u32_e32 vcc_lo, 0, v46
	v_or3_b32 v37, v87, v37, v86
	v_cndmask_b32_e32 v37, 0, v37, vcc_lo
.LBB6_2430:                             ;   in Loop: Header=BB6_2291 Depth=4
	s_or_b32 exec_lo, exec_lo, s72
.LBB6_2431:                             ;   in Loop: Header=BB6_2291 Depth=4
	s_or_b32 exec_lo, exec_lo, s63
	v_cmp_gt_i16_sdwa s63, v122, v59 src0_sel:BYTE_0 src1_sel:DWORD
	s_mov_b32 s16, 0
	s_and_saveexec_b32 s72, s63
	s_xor_b32 s63, exec_lo, s72
	s_cbranch_execz .LBB6_2957
; %bb.2432:                             ;   in Loop: Header=BB6_2291 Depth=4
	v_cmp_eq_u16_sdwa s73, v122, v60 src0_sel:BYTE_0 src1_sel:DWORD
	s_mov_b32 s16, -1
	s_and_saveexec_b32 s72, s73
; %bb.2433:                             ;   in Loop: Header=BB6_2291 Depth=4
	s_xor_b32 s16, exec_lo, -1
; %bb.2434:                             ;   in Loop: Header=BB6_2291 Depth=4
	s_or_b32 exec_lo, exec_lo, s72
	s_and_b32 s16, s16, exec_lo
	s_or_saveexec_b32 s63, s63
	v_mov_b32_e32 v86, 0x7f800001
	s_xor_b32 exec_lo, exec_lo, s63
	s_cbranch_execnz .LBB6_2958
.LBB6_2435:                             ;   in Loop: Header=BB6_2291 Depth=4
	s_or_b32 exec_lo, exec_lo, s63
	s_and_saveexec_b32 s63, s16
	s_cbranch_execz .LBB6_2437
.LBB6_2436:                             ;   in Loop: Header=BB6_2291 Depth=4
	v_and_b32_e32 v86, 3, v122
	v_lshrrev_b16 v46, 2, v122
	v_lshlrev_b32_e32 v79, 24, v122
	v_ffbh_u32_e32 v87, v86
	v_and_b32_e32 v46, 31, v46
	v_min_u32_e32 v87, 32, v87
	v_cmp_eq_u32_e32 vcc_lo, 0, v46
	v_subrev_nc_u32_e32 v58, 29, v87
	v_sub_nc_u32_e32 v87, 30, v87
	v_lshlrev_b32_e32 v58, v58, v122
	v_cndmask_b32_e32 v87, v46, v87, vcc_lo
	v_and_b32_e32 v46, 0x80000000, v79
	v_and_b32_e32 v58, 3, v58
	v_lshl_add_u32 v87, v87, 23, 0x37800000
	v_cndmask_b32_e32 v86, v86, v58, vcc_lo
	v_lshlrev_b32_e32 v86, 21, v86
	v_or3_b32 v86, v46, v87, v86
.LBB6_2437:                             ;   in Loop: Header=BB6_2291 Depth=4
	s_or_b32 exec_lo, exec_lo, s63
	s_waitcnt vmcnt(24) lgkmcnt(24)
	v_cmp_gt_i16_sdwa s63, v48, v59 src0_sel:BYTE_0 src1_sel:DWORD
	s_mov_b32 s16, 0
	s_and_saveexec_b32 s72, s63
	s_xor_b32 s63, exec_lo, s72
	s_cbranch_execz .LBB6_2959
; %bb.2438:                             ;   in Loop: Header=BB6_2291 Depth=4
	v_cmp_eq_u16_sdwa s73, v48, v60 src0_sel:BYTE_0 src1_sel:DWORD
	s_mov_b32 s16, -1
	s_and_saveexec_b32 s72, s73
; %bb.2439:                             ;   in Loop: Header=BB6_2291 Depth=4
	s_xor_b32 s16, exec_lo, -1
; %bb.2440:                             ;   in Loop: Header=BB6_2291 Depth=4
	s_or_b32 exec_lo, exec_lo, s72
	s_and_b32 s16, s16, exec_lo
	s_or_saveexec_b32 s63, s63
	v_mov_b32_e32 v87, 0x7f800001
	s_xor_b32 exec_lo, exec_lo, s63
	s_cbranch_execnz .LBB6_2960
.LBB6_2441:                             ;   in Loop: Header=BB6_2291 Depth=4
	s_or_b32 exec_lo, exec_lo, s63
	s_and_saveexec_b32 s63, s16
	s_cbranch_execz .LBB6_2443
.LBB6_2442:                             ;   in Loop: Header=BB6_2291 Depth=4
	v_and_b32_e32 v87, 3, v48
	v_lshrrev_b16 v58, 2, v48
	v_ffbh_u32_e32 v46, v87
	v_and_b32_e32 v58, 31, v58
	v_min_u32_e32 v46, 32, v46
	v_cmp_eq_u32_e32 vcc_lo, 0, v58
	v_subrev_nc_u32_e32 v79, 29, v46
	v_sub_nc_u32_e32 v46, 30, v46
	v_lshlrev_b32_e32 v79, v79, v48
	v_lshlrev_b32_e32 v48, 24, v48
	v_cndmask_b32_e32 v46, v58, v46, vcc_lo
	v_and_b32_e32 v79, 3, v79
	v_and_b32_e32 v48, 0x80000000, v48
	v_lshl_add_u32 v46, v46, 23, 0x37800000
	v_cndmask_b32_e32 v87, v87, v79, vcc_lo
	v_lshlrev_b32_e32 v87, 21, v87
	v_or3_b32 v87, v48, v46, v87
.LBB6_2443:                             ;   in Loop: Header=BB6_2291 Depth=4
	s_or_b32 exec_lo, exec_lo, s63
	v_mul_f32_e32 v86, v86, v87
	v_and_b32_e32 v48, 0x7f800000, v86
	v_cmp_ne_u32_e32 vcc_lo, 0x7f800000, v48
	v_mov_b32_e32 v48, 0x80
	s_and_saveexec_b32 s63, vcc_lo
	s_cbranch_execz .LBB6_2451
; %bb.2444:                             ;   in Loop: Header=BB6_2291 Depth=4
	v_mov_b32_e32 v48, 0
	s_mov_b32 s72, exec_lo
	v_cmpx_ne_u32_e32 0, v86
	s_cbranch_execz .LBB6_2450
; %bb.2445:                             ;   in Loop: Header=BB6_2291 Depth=4
	v_bfe_u32 v87, v86, 23, 8
	v_and_b32_e32 v48, 0x7fffff, v86
	v_cmp_gt_u32_e64 s16, 0x71, v87
	v_sub_nc_u32_e32 v46, 0x70, v87
	v_cmp_eq_u32_e32 vcc_lo, 0, v87
	v_or_b32_e32 v58, 0x800000, v48
	v_cndmask_b32_e64 v46, 0, v46, s16
	v_cndmask_b32_e32 v48, v58, v48, vcc_lo
	v_cndmask_b32_e64 v46, v46, 0x6f, vcc_lo
	v_lshl_add_u32 v58, 0x200000, v46, -1
	v_lshlrev_b32_e64 v79, v46, 0x100000
	v_and_b32_e32 v58, v58, v48
	v_cmp_eq_u32_e64 s16, v58, v79
	v_lshrrev_b32_e32 v58, v46, v48
	v_add_nc_u32_e32 v48, 0xffffff91, v87
	v_lshrrev_b32_e32 v87, 23, v58
	v_cndmask_b32_e64 v48, v48, 0xffffff92, vcc_lo
	v_xor_b32_e32 v87, 1, v87
	v_add_nc_u32_e32 v48, v46, v48
	v_bfe_u32 v46, v58, 21, 1
	v_add_nc_u32_e32 v46, -1, v46
	v_cndmask_b32_e64 v46, 0, v46, s16
	s_mov_b32 s16, exec_lo
	v_add_nc_u32_e32 v46, v46, v58
	v_and_b32_e32 v46, 0x1fffff, v46
	v_add_nc_u32_e32 v46, v46, v58
                                        ; implicit-def: $vgpr58
	v_cmpx_ne_u32_e64 v48, v87
	s_xor_b32 s16, exec_lo, s16
; %bb.2446:                             ;   in Loop: Header=BB6_2291 Depth=4
	v_cmp_lt_u32_e32 vcc_lo, 0xffffff, v46
	v_sub_nc_u32_e32 v48, v48, v87
	v_cndmask_b32_e64 v87, 0, 1, vcc_lo
	v_add_co_ci_u32_e64 v58, null, 0, v48, vcc_lo
	v_lshrrev_b32_e32 v46, v87, v46
; %bb.2447:                             ;   in Loop: Header=BB6_2291 Depth=4
	s_andn2_saveexec_b32 s16, s16
; %bb.2448:                             ;   in Loop: Header=BB6_2291 Depth=4
	v_bfe_u32 v58, v46, 23, 1
; %bb.2449:                             ;   in Loop: Header=BB6_2291 Depth=4
	s_or_b32 exec_lo, exec_lo, s16
	v_and_b32_sdwa v48, v86, v60 dst_sel:DWORD dst_unused:UNUSED_PAD src0_sel:BYTE_3 src1_sel:DWORD
	v_lshrrev_b32_e32 v86, 21, v46
	v_cmp_gt_i32_e32 vcc_lo, 32, v58
	v_min_i32_e32 v87, 31, v58
	v_cndmask_b32_e32 v86, 3, v86, vcc_lo
	v_lshlrev_b32_e32 v87, 2, v87
	v_or_b32_e32 v46, v58, v86
	v_and_b32_e32 v86, 3, v86
	v_cmp_ne_u32_e32 vcc_lo, 0, v46
	v_or3_b32 v48, v87, v48, v86
	v_cndmask_b32_e32 v48, 0, v48, vcc_lo
.LBB6_2450:                             ;   in Loop: Header=BB6_2291 Depth=4
	s_or_b32 exec_lo, exec_lo, s72
.LBB6_2451:                             ;   in Loop: Header=BB6_2291 Depth=4
	s_or_b32 exec_lo, exec_lo, s63
	v_cmp_gt_i16_sdwa s63, v51, v59 src0_sel:BYTE_0 src1_sel:DWORD
	s_mov_b32 s16, 0
	s_and_saveexec_b32 s72, s63
	s_xor_b32 s63, exec_lo, s72
	s_cbranch_execz .LBB6_2961
; %bb.2452:                             ;   in Loop: Header=BB6_2291 Depth=4
	v_cmp_eq_u16_sdwa s73, v51, v60 src0_sel:BYTE_0 src1_sel:DWORD
	s_mov_b32 s16, -1
	s_and_saveexec_b32 s72, s73
; %bb.2453:                             ;   in Loop: Header=BB6_2291 Depth=4
	s_xor_b32 s16, exec_lo, -1
; %bb.2454:                             ;   in Loop: Header=BB6_2291 Depth=4
	s_or_b32 exec_lo, exec_lo, s72
	s_and_b32 s16, s16, exec_lo
	s_or_saveexec_b32 s63, s63
	v_mov_b32_e32 v86, 0x7f800001
	s_xor_b32 exec_lo, exec_lo, s63
	s_cbranch_execnz .LBB6_2962
.LBB6_2455:                             ;   in Loop: Header=BB6_2291 Depth=4
	s_or_b32 exec_lo, exec_lo, s63
	s_and_saveexec_b32 s63, s16
	s_cbranch_execz .LBB6_2457
.LBB6_2456:                             ;   in Loop: Header=BB6_2291 Depth=4
	v_and_b32_e32 v86, 3, v51
	v_lshrrev_b16 v46, 2, v51
	v_ffbh_u32_e32 v87, v86
	v_and_b32_e32 v46, 31, v46
	v_min_u32_e32 v87, 32, v87
	v_cmp_eq_u32_e32 vcc_lo, 0, v46
	v_subrev_nc_u32_e32 v58, 29, v87
	v_sub_nc_u32_e32 v87, 30, v87
	v_lshlrev_b32_e32 v58, v58, v51
	v_lshlrev_b32_e32 v51, 24, v51
	v_cndmask_b32_e32 v87, v46, v87, vcc_lo
	v_and_b32_e32 v58, 3, v58
	v_and_b32_e32 v51, 0x80000000, v51
	v_lshl_add_u32 v87, v87, 23, 0x37800000
	v_cndmask_b32_e32 v86, v86, v58, vcc_lo
	v_lshlrev_b32_e32 v86, 21, v86
	v_or3_b32 v86, v51, v87, v86
.LBB6_2457:                             ;   in Loop: Header=BB6_2291 Depth=4
	s_or_b32 exec_lo, exec_lo, s63
	s_waitcnt vmcnt(23) lgkmcnt(23)
	v_cmp_gt_i16_sdwa s63, v121, v59 src0_sel:BYTE_0 src1_sel:DWORD
	s_mov_b32 s16, 0
	s_and_saveexec_b32 s72, s63
	s_xor_b32 s63, exec_lo, s72
	s_cbranch_execz .LBB6_2963
; %bb.2458:                             ;   in Loop: Header=BB6_2291 Depth=4
	v_cmp_eq_u16_sdwa s73, v121, v60 src0_sel:BYTE_0 src1_sel:DWORD
	s_mov_b32 s16, -1
	s_and_saveexec_b32 s72, s73
; %bb.2459:                             ;   in Loop: Header=BB6_2291 Depth=4
	s_xor_b32 s16, exec_lo, -1
; %bb.2460:                             ;   in Loop: Header=BB6_2291 Depth=4
	s_or_b32 exec_lo, exec_lo, s72
	s_and_b32 s16, s16, exec_lo
	s_or_saveexec_b32 s63, s63
	v_mov_b32_e32 v51, 0x7f800001
	s_xor_b32 exec_lo, exec_lo, s63
	s_cbranch_execnz .LBB6_2964
.LBB6_2461:                             ;   in Loop: Header=BB6_2291 Depth=4
	s_or_b32 exec_lo, exec_lo, s63
	s_and_saveexec_b32 s63, s16
	s_cbranch_execz .LBB6_2463
.LBB6_2462:                             ;   in Loop: Header=BB6_2291 Depth=4
	v_and_b32_e32 v51, 3, v121
	v_lshrrev_b16 v46, 2, v121
	v_lshlrev_b32_e32 v79, 24, v121
	v_ffbh_u32_e32 v87, v51
	v_and_b32_e32 v46, 31, v46
	v_min_u32_e32 v87, 32, v87
	v_cmp_eq_u32_e32 vcc_lo, 0, v46
	v_subrev_nc_u32_e32 v58, 29, v87
	v_sub_nc_u32_e32 v87, 30, v87
	v_lshlrev_b32_e32 v58, v58, v121
	v_cndmask_b32_e32 v87, v46, v87, vcc_lo
	v_and_b32_e32 v46, 0x80000000, v79
	v_and_b32_e32 v58, 3, v58
	v_lshl_add_u32 v87, v87, 23, 0x37800000
	v_cndmask_b32_e32 v51, v51, v58, vcc_lo
	v_lshlrev_b32_e32 v51, 21, v51
	v_or3_b32 v51, v46, v87, v51
.LBB6_2463:                             ;   in Loop: Header=BB6_2291 Depth=4
	s_or_b32 exec_lo, exec_lo, s63
	v_mul_f32_e32 v86, v86, v51
	v_and_b32_e32 v51, 0x7f800000, v86
	v_cmp_ne_u32_e32 vcc_lo, 0x7f800000, v51
	v_mov_b32_e32 v51, 0x80
	s_and_saveexec_b32 s63, vcc_lo
	s_cbranch_execz .LBB6_2471
; %bb.2464:                             ;   in Loop: Header=BB6_2291 Depth=4
	v_mov_b32_e32 v51, 0
	s_mov_b32 s72, exec_lo
	v_cmpx_ne_u32_e32 0, v86
	s_cbranch_execz .LBB6_2470
; %bb.2465:                             ;   in Loop: Header=BB6_2291 Depth=4
	v_bfe_u32 v87, v86, 23, 8
	v_and_b32_e32 v51, 0x7fffff, v86
	v_cmp_gt_u32_e64 s16, 0x71, v87
	v_sub_nc_u32_e32 v46, 0x70, v87
	v_cmp_eq_u32_e32 vcc_lo, 0, v87
	v_or_b32_e32 v58, 0x800000, v51
	v_cndmask_b32_e64 v46, 0, v46, s16
	v_cndmask_b32_e32 v51, v58, v51, vcc_lo
	v_cndmask_b32_e64 v46, v46, 0x6f, vcc_lo
	v_lshl_add_u32 v58, 0x200000, v46, -1
	v_lshlrev_b32_e64 v79, v46, 0x100000
	v_and_b32_e32 v58, v58, v51
	v_cmp_eq_u32_e64 s16, v58, v79
	v_lshrrev_b32_e32 v58, v46, v51
	v_add_nc_u32_e32 v51, 0xffffff91, v87
	v_lshrrev_b32_e32 v87, 23, v58
	v_cndmask_b32_e64 v51, v51, 0xffffff92, vcc_lo
	v_xor_b32_e32 v87, 1, v87
	v_add_nc_u32_e32 v51, v46, v51
	v_bfe_u32 v46, v58, 21, 1
	v_add_nc_u32_e32 v46, -1, v46
	v_cndmask_b32_e64 v46, 0, v46, s16
	s_mov_b32 s16, exec_lo
	v_add_nc_u32_e32 v46, v46, v58
	v_and_b32_e32 v46, 0x1fffff, v46
	v_add_nc_u32_e32 v46, v46, v58
                                        ; implicit-def: $vgpr58
	v_cmpx_ne_u32_e64 v51, v87
	s_xor_b32 s16, exec_lo, s16
; %bb.2466:                             ;   in Loop: Header=BB6_2291 Depth=4
	v_cmp_lt_u32_e32 vcc_lo, 0xffffff, v46
	v_sub_nc_u32_e32 v51, v51, v87
	v_cndmask_b32_e64 v87, 0, 1, vcc_lo
	v_add_co_ci_u32_e64 v58, null, 0, v51, vcc_lo
	v_lshrrev_b32_e32 v46, v87, v46
; %bb.2467:                             ;   in Loop: Header=BB6_2291 Depth=4
	s_andn2_saveexec_b32 s16, s16
; %bb.2468:                             ;   in Loop: Header=BB6_2291 Depth=4
	v_bfe_u32 v58, v46, 23, 1
; %bb.2469:                             ;   in Loop: Header=BB6_2291 Depth=4
	s_or_b32 exec_lo, exec_lo, s16
	v_and_b32_sdwa v51, v86, v60 dst_sel:DWORD dst_unused:UNUSED_PAD src0_sel:BYTE_3 src1_sel:DWORD
	v_lshrrev_b32_e32 v86, 21, v46
	v_cmp_gt_i32_e32 vcc_lo, 32, v58
	v_min_i32_e32 v87, 31, v58
	v_cndmask_b32_e32 v86, 3, v86, vcc_lo
	v_lshlrev_b32_e32 v87, 2, v87
	v_or_b32_e32 v46, v58, v86
	v_and_b32_e32 v86, 3, v86
	v_cmp_ne_u32_e32 vcc_lo, 0, v46
	v_or3_b32 v51, v87, v51, v86
	v_cndmask_b32_e32 v51, 0, v51, vcc_lo
.LBB6_2470:                             ;   in Loop: Header=BB6_2291 Depth=4
	s_or_b32 exec_lo, exec_lo, s72
.LBB6_2471:                             ;   in Loop: Header=BB6_2291 Depth=4
	s_or_b32 exec_lo, exec_lo, s63
	v_cmp_gt_i16_sdwa s63, v54, v59 src0_sel:BYTE_0 src1_sel:DWORD
	s_mov_b32 s16, 0
	s_and_saveexec_b32 s72, s63
	s_xor_b32 s63, exec_lo, s72
	s_cbranch_execz .LBB6_2965
; %bb.2472:                             ;   in Loop: Header=BB6_2291 Depth=4
	v_cmp_eq_u16_sdwa s73, v54, v60 src0_sel:BYTE_0 src1_sel:DWORD
	s_mov_b32 s16, -1
	s_and_saveexec_b32 s72, s73
; %bb.2473:                             ;   in Loop: Header=BB6_2291 Depth=4
	s_xor_b32 s16, exec_lo, -1
; %bb.2474:                             ;   in Loop: Header=BB6_2291 Depth=4
	s_or_b32 exec_lo, exec_lo, s72
	s_and_b32 s16, s16, exec_lo
	s_or_saveexec_b32 s63, s63
	v_mov_b32_e32 v86, 0x7f800001
	s_xor_b32 exec_lo, exec_lo, s63
	s_cbranch_execnz .LBB6_2966
.LBB6_2475:                             ;   in Loop: Header=BB6_2291 Depth=4
	s_or_b32 exec_lo, exec_lo, s63
	s_and_saveexec_b32 s63, s16
	s_cbranch_execz .LBB6_2477
.LBB6_2476:                             ;   in Loop: Header=BB6_2291 Depth=4
	v_and_b32_e32 v86, 3, v54
	v_lshrrev_b16 v46, 2, v54
	v_ffbh_u32_e32 v87, v86
	v_and_b32_e32 v46, 31, v46
	v_min_u32_e32 v87, 32, v87
	v_cmp_eq_u32_e32 vcc_lo, 0, v46
	v_subrev_nc_u32_e32 v58, 29, v87
	v_sub_nc_u32_e32 v87, 30, v87
	v_lshlrev_b32_e32 v58, v58, v54
	v_lshlrev_b32_e32 v54, 24, v54
	v_cndmask_b32_e32 v87, v46, v87, vcc_lo
	v_and_b32_e32 v58, 3, v58
	v_and_b32_e32 v54, 0x80000000, v54
	v_lshl_add_u32 v87, v87, 23, 0x37800000
	v_cndmask_b32_e32 v86, v86, v58, vcc_lo
	v_lshlrev_b32_e32 v86, 21, v86
	v_or3_b32 v86, v54, v87, v86
.LBB6_2477:                             ;   in Loop: Header=BB6_2291 Depth=4
	s_or_b32 exec_lo, exec_lo, s63
	s_waitcnt vmcnt(22) lgkmcnt(22)
	v_cmp_gt_i16_sdwa s63, v73, v59 src0_sel:BYTE_0 src1_sel:DWORD
	s_mov_b32 s16, 0
	s_and_saveexec_b32 s72, s63
	s_xor_b32 s63, exec_lo, s72
	s_cbranch_execz .LBB6_2967
; %bb.2478:                             ;   in Loop: Header=BB6_2291 Depth=4
	v_cmp_eq_u16_sdwa s73, v73, v60 src0_sel:BYTE_0 src1_sel:DWORD
	s_mov_b32 s16, -1
	s_and_saveexec_b32 s72, s73
; %bb.2479:                             ;   in Loop: Header=BB6_2291 Depth=4
	s_xor_b32 s16, exec_lo, -1
; %bb.2480:                             ;   in Loop: Header=BB6_2291 Depth=4
	s_or_b32 exec_lo, exec_lo, s72
	s_and_b32 s16, s16, exec_lo
	s_or_saveexec_b32 s63, s63
	v_mov_b32_e32 v54, 0x7f800001
	s_xor_b32 exec_lo, exec_lo, s63
	s_cbranch_execnz .LBB6_2968
.LBB6_2481:                             ;   in Loop: Header=BB6_2291 Depth=4
	s_or_b32 exec_lo, exec_lo, s63
	s_and_saveexec_b32 s63, s16
	s_cbranch_execz .LBB6_2483
.LBB6_2482:                             ;   in Loop: Header=BB6_2291 Depth=4
	v_and_b32_e32 v54, 3, v73
	v_lshrrev_b16 v46, 2, v73
	v_ffbh_u32_e32 v87, v54
	v_and_b32_e32 v46, 31, v46
	v_min_u32_e32 v87, 32, v87
	v_cmp_eq_u32_e32 vcc_lo, 0, v46
	v_subrev_nc_u32_e32 v58, 29, v87
	v_sub_nc_u32_e32 v87, 30, v87
	v_lshlrev_b32_e32 v58, v58, v73
	v_lshlrev_b32_e32 v73, 24, v73
	v_cndmask_b32_e32 v87, v46, v87, vcc_lo
	v_and_b32_e32 v58, 3, v58
	v_and_b32_e32 v46, 0x80000000, v73
	v_lshl_add_u32 v87, v87, 23, 0x37800000
	v_cndmask_b32_e32 v54, v54, v58, vcc_lo
	v_lshlrev_b32_e32 v54, 21, v54
	v_or3_b32 v54, v46, v87, v54
.LBB6_2483:                             ;   in Loop: Header=BB6_2291 Depth=4
	s_or_b32 exec_lo, exec_lo, s63
	v_mul_f32_e32 v86, v86, v54
	v_and_b32_e32 v54, 0x7f800000, v86
	v_cmp_ne_u32_e32 vcc_lo, 0x7f800000, v54
	v_mov_b32_e32 v54, 0x80
	s_and_saveexec_b32 s63, vcc_lo
	s_cbranch_execz .LBB6_2491
; %bb.2484:                             ;   in Loop: Header=BB6_2291 Depth=4
	v_mov_b32_e32 v54, 0
	s_mov_b32 s72, exec_lo
	v_cmpx_ne_u32_e32 0, v86
	s_cbranch_execz .LBB6_2490
; %bb.2485:                             ;   in Loop: Header=BB6_2291 Depth=4
	v_bfe_u32 v87, v86, 23, 8
	v_and_b32_e32 v54, 0x7fffff, v86
	v_cmp_gt_u32_e64 s16, 0x71, v87
	v_sub_nc_u32_e32 v46, 0x70, v87
	v_cmp_eq_u32_e32 vcc_lo, 0, v87
	v_or_b32_e32 v58, 0x800000, v54
	v_cndmask_b32_e64 v46, 0, v46, s16
	v_cndmask_b32_e32 v54, v58, v54, vcc_lo
	v_cndmask_b32_e64 v46, v46, 0x6f, vcc_lo
	v_lshl_add_u32 v58, 0x200000, v46, -1
	v_lshlrev_b32_e64 v73, v46, 0x100000
	v_and_b32_e32 v58, v58, v54
	v_cmp_eq_u32_e64 s16, v58, v73
	v_lshrrev_b32_e32 v58, v46, v54
	v_add_nc_u32_e32 v54, 0xffffff91, v87
	v_lshrrev_b32_e32 v87, 23, v58
	v_cndmask_b32_e64 v54, v54, 0xffffff92, vcc_lo
	v_xor_b32_e32 v87, 1, v87
	v_add_nc_u32_e32 v54, v46, v54
	v_bfe_u32 v46, v58, 21, 1
	v_add_nc_u32_e32 v46, -1, v46
	v_cndmask_b32_e64 v46, 0, v46, s16
	s_mov_b32 s16, exec_lo
	v_add_nc_u32_e32 v46, v46, v58
	v_and_b32_e32 v46, 0x1fffff, v46
	v_add_nc_u32_e32 v46, v46, v58
                                        ; implicit-def: $vgpr58
	v_cmpx_ne_u32_e64 v54, v87
	s_xor_b32 s16, exec_lo, s16
; %bb.2486:                             ;   in Loop: Header=BB6_2291 Depth=4
	v_cmp_lt_u32_e32 vcc_lo, 0xffffff, v46
	v_sub_nc_u32_e32 v54, v54, v87
	v_cndmask_b32_e64 v87, 0, 1, vcc_lo
	v_add_co_ci_u32_e64 v58, null, 0, v54, vcc_lo
	v_lshrrev_b32_e32 v46, v87, v46
; %bb.2487:                             ;   in Loop: Header=BB6_2291 Depth=4
	s_andn2_saveexec_b32 s16, s16
; %bb.2488:                             ;   in Loop: Header=BB6_2291 Depth=4
	v_bfe_u32 v58, v46, 23, 1
; %bb.2489:                             ;   in Loop: Header=BB6_2291 Depth=4
	s_or_b32 exec_lo, exec_lo, s16
	v_and_b32_sdwa v54, v86, v60 dst_sel:DWORD dst_unused:UNUSED_PAD src0_sel:BYTE_3 src1_sel:DWORD
	v_lshrrev_b32_e32 v86, 21, v46
	v_cmp_gt_i32_e32 vcc_lo, 32, v58
	v_min_i32_e32 v87, 31, v58
	v_cndmask_b32_e32 v86, 3, v86, vcc_lo
	v_lshlrev_b32_e32 v87, 2, v87
	v_or_b32_e32 v46, v58, v86
	v_and_b32_e32 v86, 3, v86
	v_cmp_ne_u32_e32 vcc_lo, 0, v46
	v_or3_b32 v54, v87, v54, v86
	v_cndmask_b32_e32 v54, 0, v54, vcc_lo
.LBB6_2490:                             ;   in Loop: Header=BB6_2291 Depth=4
	s_or_b32 exec_lo, exec_lo, s72
.LBB6_2491:                             ;   in Loop: Header=BB6_2291 Depth=4
	s_or_b32 exec_lo, exec_lo, s63
	v_cmp_gt_i16_sdwa s63, v83, v59 src0_sel:BYTE_0 src1_sel:DWORD
	s_mov_b32 s16, 0
	s_and_saveexec_b32 s72, s63
	s_xor_b32 s63, exec_lo, s72
	s_cbranch_execz .LBB6_2969
; %bb.2492:                             ;   in Loop: Header=BB6_2291 Depth=4
	v_cmp_eq_u16_sdwa s73, v83, v60 src0_sel:BYTE_0 src1_sel:DWORD
	s_mov_b32 s16, -1
	s_and_saveexec_b32 s72, s73
; %bb.2493:                             ;   in Loop: Header=BB6_2291 Depth=4
	s_xor_b32 s16, exec_lo, -1
; %bb.2494:                             ;   in Loop: Header=BB6_2291 Depth=4
	s_or_b32 exec_lo, exec_lo, s72
	s_and_b32 s16, s16, exec_lo
	s_or_saveexec_b32 s63, s63
	v_mov_b32_e32 v86, 0x7f800001
	s_xor_b32 exec_lo, exec_lo, s63
	s_cbranch_execnz .LBB6_2970
.LBB6_2495:                             ;   in Loop: Header=BB6_2291 Depth=4
	s_or_b32 exec_lo, exec_lo, s63
	s_and_saveexec_b32 s63, s16
	s_cbranch_execz .LBB6_2497
.LBB6_2496:                             ;   in Loop: Header=BB6_2291 Depth=4
	v_and_b32_e32 v86, 3, v83
	v_lshrrev_b16 v46, 2, v83
	v_ffbh_u32_e32 v87, v86
	v_and_b32_e32 v46, 31, v46
	v_min_u32_e32 v87, 32, v87
	v_cmp_eq_u32_e32 vcc_lo, 0, v46
	v_subrev_nc_u32_e32 v58, 29, v87
	v_sub_nc_u32_e32 v87, 30, v87
	v_lshlrev_b32_e32 v58, v58, v83
	v_lshlrev_b32_e32 v83, 24, v83
	v_cndmask_b32_e32 v87, v46, v87, vcc_lo
	v_and_b32_e32 v58, 3, v58
	v_and_b32_e32 v83, 0x80000000, v83
	v_lshl_add_u32 v87, v87, 23, 0x37800000
	v_cndmask_b32_e32 v86, v86, v58, vcc_lo
	v_lshlrev_b32_e32 v86, 21, v86
	v_or3_b32 v86, v83, v87, v86
.LBB6_2497:                             ;   in Loop: Header=BB6_2291 Depth=4
	s_or_b32 exec_lo, exec_lo, s63
	s_waitcnt vmcnt(21) lgkmcnt(21)
	v_cmp_gt_i16_sdwa s63, v105, v59 src0_sel:BYTE_0 src1_sel:DWORD
	s_mov_b32 s16, 0
	s_and_saveexec_b32 s72, s63
	s_xor_b32 s63, exec_lo, s72
	s_cbranch_execz .LBB6_2971
; %bb.2498:                             ;   in Loop: Header=BB6_2291 Depth=4
	v_cmp_eq_u16_sdwa s73, v105, v60 src0_sel:BYTE_0 src1_sel:DWORD
	s_mov_b32 s16, -1
	s_and_saveexec_b32 s72, s73
; %bb.2499:                             ;   in Loop: Header=BB6_2291 Depth=4
	s_xor_b32 s16, exec_lo, -1
; %bb.2500:                             ;   in Loop: Header=BB6_2291 Depth=4
	s_or_b32 exec_lo, exec_lo, s72
	s_and_b32 s16, s16, exec_lo
	s_or_saveexec_b32 s63, s63
	v_mov_b32_e32 v83, 0x7f800001
	s_xor_b32 exec_lo, exec_lo, s63
	s_cbranch_execnz .LBB6_2972
.LBB6_2501:                             ;   in Loop: Header=BB6_2291 Depth=4
	s_or_b32 exec_lo, exec_lo, s63
	s_and_saveexec_b32 s63, s16
	s_cbranch_execz .LBB6_2503
.LBB6_2502:                             ;   in Loop: Header=BB6_2291 Depth=4
	v_and_b32_e32 v83, 3, v105
	v_lshrrev_b16 v46, 2, v105
	v_lshlrev_b32_e32 v73, 24, v105
	v_ffbh_u32_e32 v87, v83
	v_and_b32_e32 v46, 31, v46
	v_min_u32_e32 v87, 32, v87
	v_cmp_eq_u32_e32 vcc_lo, 0, v46
	v_subrev_nc_u32_e32 v58, 29, v87
	v_sub_nc_u32_e32 v87, 30, v87
	v_lshlrev_b32_e32 v58, v58, v105
	v_cndmask_b32_e32 v87, v46, v87, vcc_lo
	v_and_b32_e32 v46, 0x80000000, v73
	v_and_b32_e32 v58, 3, v58
	v_lshl_add_u32 v87, v87, 23, 0x37800000
	v_cndmask_b32_e32 v83, v83, v58, vcc_lo
	v_lshlrev_b32_e32 v83, 21, v83
	v_or3_b32 v83, v46, v87, v83
.LBB6_2503:                             ;   in Loop: Header=BB6_2291 Depth=4
	s_or_b32 exec_lo, exec_lo, s63
	v_mul_f32_e32 v86, v86, v83
	v_and_b32_e32 v83, 0x7f800000, v86
	v_cmp_ne_u32_e32 vcc_lo, 0x7f800000, v83
	v_mov_b32_e32 v83, 0x80
	s_and_saveexec_b32 s63, vcc_lo
	s_cbranch_execz .LBB6_2511
; %bb.2504:                             ;   in Loop: Header=BB6_2291 Depth=4
	v_mov_b32_e32 v83, 0
	s_mov_b32 s72, exec_lo
	v_cmpx_ne_u32_e32 0, v86
	s_cbranch_execz .LBB6_2510
; %bb.2505:                             ;   in Loop: Header=BB6_2291 Depth=4
	v_bfe_u32 v87, v86, 23, 8
	v_and_b32_e32 v83, 0x7fffff, v86
	v_cmp_gt_u32_e64 s16, 0x71, v87
	v_sub_nc_u32_e32 v46, 0x70, v87
	v_cmp_eq_u32_e32 vcc_lo, 0, v87
	v_or_b32_e32 v58, 0x800000, v83
	v_cndmask_b32_e64 v46, 0, v46, s16
	v_cndmask_b32_e32 v83, v58, v83, vcc_lo
	v_cndmask_b32_e64 v46, v46, 0x6f, vcc_lo
	v_lshl_add_u32 v58, 0x200000, v46, -1
	v_lshlrev_b32_e64 v73, v46, 0x100000
	v_and_b32_e32 v58, v58, v83
	v_cmp_eq_u32_e64 s16, v58, v73
	v_lshrrev_b32_e32 v58, v46, v83
	v_add_nc_u32_e32 v83, 0xffffff91, v87
	v_lshrrev_b32_e32 v87, 23, v58
	v_cndmask_b32_e64 v83, v83, 0xffffff92, vcc_lo
	v_xor_b32_e32 v87, 1, v87
	v_add_nc_u32_e32 v83, v46, v83
	v_bfe_u32 v46, v58, 21, 1
	v_add_nc_u32_e32 v46, -1, v46
	v_cndmask_b32_e64 v46, 0, v46, s16
	s_mov_b32 s16, exec_lo
	v_add_nc_u32_e32 v46, v46, v58
	v_and_b32_e32 v46, 0x1fffff, v46
	v_add_nc_u32_e32 v46, v46, v58
                                        ; implicit-def: $vgpr58
	v_cmpx_ne_u32_e64 v83, v87
	s_xor_b32 s16, exec_lo, s16
; %bb.2506:                             ;   in Loop: Header=BB6_2291 Depth=4
	v_cmp_lt_u32_e32 vcc_lo, 0xffffff, v46
	v_sub_nc_u32_e32 v83, v83, v87
	v_cndmask_b32_e64 v87, 0, 1, vcc_lo
	v_add_co_ci_u32_e64 v58, null, 0, v83, vcc_lo
	v_lshrrev_b32_e32 v46, v87, v46
; %bb.2507:                             ;   in Loop: Header=BB6_2291 Depth=4
	s_andn2_saveexec_b32 s16, s16
; %bb.2508:                             ;   in Loop: Header=BB6_2291 Depth=4
	v_bfe_u32 v58, v46, 23, 1
; %bb.2509:                             ;   in Loop: Header=BB6_2291 Depth=4
	s_or_b32 exec_lo, exec_lo, s16
	v_and_b32_sdwa v83, v86, v60 dst_sel:DWORD dst_unused:UNUSED_PAD src0_sel:BYTE_3 src1_sel:DWORD
	v_lshrrev_b32_e32 v86, 21, v46
	v_cmp_gt_i32_e32 vcc_lo, 32, v58
	v_min_i32_e32 v87, 31, v58
	v_cndmask_b32_e32 v86, 3, v86, vcc_lo
	v_lshlrev_b32_e32 v87, 2, v87
	v_or_b32_e32 v46, v58, v86
	v_and_b32_e32 v86, 3, v86
	v_cmp_ne_u32_e32 vcc_lo, 0, v46
	v_or3_b32 v83, v87, v83, v86
	v_cndmask_b32_e32 v83, 0, v83, vcc_lo
.LBB6_2510:                             ;   in Loop: Header=BB6_2291 Depth=4
	s_or_b32 exec_lo, exec_lo, s72
.LBB6_2511:                             ;   in Loop: Header=BB6_2291 Depth=4
	s_or_b32 exec_lo, exec_lo, s63
	v_cmp_gt_i16_sdwa s63, v101, v59 src0_sel:BYTE_0 src1_sel:DWORD
	s_mov_b32 s16, 0
	s_and_saveexec_b32 s72, s63
	s_xor_b32 s63, exec_lo, s72
	s_cbranch_execz .LBB6_2973
; %bb.2512:                             ;   in Loop: Header=BB6_2291 Depth=4
	v_cmp_eq_u16_sdwa s73, v101, v60 src0_sel:BYTE_0 src1_sel:DWORD
	s_mov_b32 s16, -1
	s_and_saveexec_b32 s72, s73
; %bb.2513:                             ;   in Loop: Header=BB6_2291 Depth=4
	s_xor_b32 s16, exec_lo, -1
; %bb.2514:                             ;   in Loop: Header=BB6_2291 Depth=4
	s_or_b32 exec_lo, exec_lo, s72
	s_and_b32 s16, s16, exec_lo
	s_or_saveexec_b32 s63, s63
	v_mov_b32_e32 v86, 0x7f800001
	s_xor_b32 exec_lo, exec_lo, s63
	s_cbranch_execnz .LBB6_2974
.LBB6_2515:                             ;   in Loop: Header=BB6_2291 Depth=4
	s_or_b32 exec_lo, exec_lo, s63
	s_and_saveexec_b32 s63, s16
	s_cbranch_execz .LBB6_2517
.LBB6_2516:                             ;   in Loop: Header=BB6_2291 Depth=4
	v_and_b32_e32 v86, 3, v101
	v_lshrrev_b16 v46, 2, v101
	v_ffbh_u32_e32 v87, v86
	v_and_b32_e32 v46, 31, v46
	v_min_u32_e32 v87, 32, v87
	v_cmp_eq_u32_e32 vcc_lo, 0, v46
	v_subrev_nc_u32_e32 v58, 29, v87
	v_sub_nc_u32_e32 v87, 30, v87
	v_lshlrev_b32_e32 v58, v58, v101
	v_lshlrev_b32_e32 v101, 24, v101
	v_cndmask_b32_e32 v87, v46, v87, vcc_lo
	v_and_b32_e32 v58, 3, v58
	v_and_b32_e32 v101, 0x80000000, v101
	v_lshl_add_u32 v87, v87, 23, 0x37800000
	v_cndmask_b32_e32 v86, v86, v58, vcc_lo
	v_lshlrev_b32_e32 v86, 21, v86
	v_or3_b32 v86, v101, v87, v86
.LBB6_2517:                             ;   in Loop: Header=BB6_2291 Depth=4
	s_or_b32 exec_lo, exec_lo, s63
	s_waitcnt vmcnt(20) lgkmcnt(20)
	v_cmp_gt_i16_sdwa s63, v120, v59 src0_sel:BYTE_0 src1_sel:DWORD
	s_mov_b32 s16, 0
	s_and_saveexec_b32 s72, s63
	s_xor_b32 s63, exec_lo, s72
	s_cbranch_execz .LBB6_2975
; %bb.2518:                             ;   in Loop: Header=BB6_2291 Depth=4
	v_cmp_eq_u16_sdwa s73, v120, v60 src0_sel:BYTE_0 src1_sel:DWORD
	s_mov_b32 s16, -1
	s_and_saveexec_b32 s72, s73
; %bb.2519:                             ;   in Loop: Header=BB6_2291 Depth=4
	s_xor_b32 s16, exec_lo, -1
; %bb.2520:                             ;   in Loop: Header=BB6_2291 Depth=4
	s_or_b32 exec_lo, exec_lo, s72
	s_and_b32 s16, s16, exec_lo
	s_or_saveexec_b32 s63, s63
	v_mov_b32_e32 v87, 0x7f800001
	s_xor_b32 exec_lo, exec_lo, s63
	s_cbranch_execnz .LBB6_2976
.LBB6_2521:                             ;   in Loop: Header=BB6_2291 Depth=4
	s_or_b32 exec_lo, exec_lo, s63
	s_and_saveexec_b32 s63, s16
	s_cbranch_execz .LBB6_2523
.LBB6_2522:                             ;   in Loop: Header=BB6_2291 Depth=4
	v_and_b32_e32 v87, 3, v120
	v_lshrrev_b16 v46, 2, v120
	v_lshlrev_b32_e32 v73, 24, v120
	v_ffbh_u32_e32 v101, v87
	v_and_b32_e32 v46, 31, v46
	v_min_u32_e32 v101, 32, v101
	v_cmp_eq_u32_e32 vcc_lo, 0, v46
	v_subrev_nc_u32_e32 v58, 29, v101
	v_sub_nc_u32_e32 v101, 30, v101
	v_lshlrev_b32_e32 v58, v58, v120
	v_cndmask_b32_e32 v101, v46, v101, vcc_lo
	v_and_b32_e32 v46, 0x80000000, v73
	v_and_b32_e32 v58, 3, v58
	v_lshl_add_u32 v101, v101, 23, 0x37800000
	v_cndmask_b32_e32 v87, v87, v58, vcc_lo
	v_lshlrev_b32_e32 v87, 21, v87
	v_or3_b32 v87, v46, v101, v87
.LBB6_2523:                             ;   in Loop: Header=BB6_2291 Depth=4
	s_or_b32 exec_lo, exec_lo, s63
	v_mul_f32_e32 v86, v86, v87
	v_mov_b32_e32 v101, 0x80
	s_mov_b32 s63, exec_lo
	v_and_b32_e32 v87, 0x7f800000, v86
	v_cmpx_ne_u32_e32 0x7f800000, v87
	s_cbranch_execz .LBB6_2531
; %bb.2524:                             ;   in Loop: Header=BB6_2291 Depth=4
	v_mov_b32_e32 v101, 0
	s_mov_b32 s72, exec_lo
	v_cmpx_ne_u32_e32 0, v86
	s_cbranch_execz .LBB6_2530
; %bb.2525:                             ;   in Loop: Header=BB6_2291 Depth=4
	v_bfe_u32 v101, v86, 23, 8
	v_and_b32_e32 v87, 0x7fffff, v86
	v_cmp_gt_u32_e64 s16, 0x71, v101
	v_sub_nc_u32_e32 v46, 0x70, v101
	v_cmp_eq_u32_e32 vcc_lo, 0, v101
	v_or_b32_e32 v58, 0x800000, v87
	v_cndmask_b32_e64 v46, 0, v46, s16
	v_cndmask_b32_e32 v87, v58, v87, vcc_lo
	v_cndmask_b32_e64 v46, v46, 0x6f, vcc_lo
	v_lshl_add_u32 v58, 0x200000, v46, -1
	v_lshlrev_b32_e64 v73, v46, 0x100000
	v_and_b32_e32 v58, v58, v87
	v_cmp_eq_u32_e64 s16, v58, v73
	v_lshrrev_b32_e32 v58, v46, v87
	v_add_nc_u32_e32 v87, 0xffffff91, v101
	v_lshrrev_b32_e32 v101, 23, v58
	v_cndmask_b32_e64 v87, v87, 0xffffff92, vcc_lo
	v_xor_b32_e32 v101, 1, v101
	v_add_nc_u32_e32 v87, v46, v87
	v_bfe_u32 v46, v58, 21, 1
	v_add_nc_u32_e32 v46, -1, v46
	v_cndmask_b32_e64 v46, 0, v46, s16
	s_mov_b32 s16, exec_lo
	v_add_nc_u32_e32 v46, v46, v58
	v_and_b32_e32 v46, 0x1fffff, v46
	v_add_nc_u32_e32 v46, v46, v58
                                        ; implicit-def: $vgpr58
	v_cmpx_ne_u32_e64 v87, v101
	s_xor_b32 s16, exec_lo, s16
; %bb.2526:                             ;   in Loop: Header=BB6_2291 Depth=4
	v_cmp_lt_u32_e32 vcc_lo, 0xffffff, v46
	v_sub_nc_u32_e32 v87, v87, v101
	v_cndmask_b32_e64 v101, 0, 1, vcc_lo
	v_add_co_ci_u32_e64 v58, null, 0, v87, vcc_lo
	v_lshrrev_b32_e32 v46, v101, v46
; %bb.2527:                             ;   in Loop: Header=BB6_2291 Depth=4
	s_andn2_saveexec_b32 s16, s16
; %bb.2528:                             ;   in Loop: Header=BB6_2291 Depth=4
	v_bfe_u32 v58, v46, 23, 1
; %bb.2529:                             ;   in Loop: Header=BB6_2291 Depth=4
	s_or_b32 exec_lo, exec_lo, s16
	v_lshrrev_b32_e32 v87, 21, v46
	v_cmp_gt_i32_e32 vcc_lo, 32, v58
	v_min_i32_e32 v101, 31, v58
	v_and_b32_sdwa v86, v86, v60 dst_sel:DWORD dst_unused:UNUSED_PAD src0_sel:BYTE_3 src1_sel:DWORD
	v_cndmask_b32_e32 v87, 3, v87, vcc_lo
	v_lshlrev_b32_e32 v101, 2, v101
	v_or_b32_e32 v46, v58, v87
	v_and_b32_e32 v87, 3, v87
	v_cmp_ne_u32_e32 vcc_lo, 0, v46
	v_or3_b32 v86, v101, v86, v87
	v_cndmask_b32_e32 v101, 0, v86, vcc_lo
.LBB6_2530:                             ;   in Loop: Header=BB6_2291 Depth=4
	s_or_b32 exec_lo, exec_lo, s72
.LBB6_2531:                             ;   in Loop: Header=BB6_2291 Depth=4
	s_or_b32 exec_lo, exec_lo, s63
	v_cmp_gt_i16_sdwa s63, v114, v59 src0_sel:BYTE_0 src1_sel:DWORD
	s_mov_b32 s16, 0
	s_and_saveexec_b32 s72, s63
	s_xor_b32 s63, exec_lo, s72
	s_cbranch_execz .LBB6_2977
; %bb.2532:                             ;   in Loop: Header=BB6_2291 Depth=4
	v_cmp_eq_u16_sdwa s73, v114, v60 src0_sel:BYTE_0 src1_sel:DWORD
	s_mov_b32 s16, -1
	s_and_saveexec_b32 s72, s73
; %bb.2533:                             ;   in Loop: Header=BB6_2291 Depth=4
	s_xor_b32 s16, exec_lo, -1
; %bb.2534:                             ;   in Loop: Header=BB6_2291 Depth=4
	s_or_b32 exec_lo, exec_lo, s72
	s_and_b32 s16, s16, exec_lo
	s_or_saveexec_b32 s63, s63
	v_mov_b32_e32 v86, 0x7f800001
	s_xor_b32 exec_lo, exec_lo, s63
	s_cbranch_execnz .LBB6_2978
.LBB6_2535:                             ;   in Loop: Header=BB6_2291 Depth=4
	s_or_b32 exec_lo, exec_lo, s63
	s_and_saveexec_b32 s63, s16
	s_cbranch_execz .LBB6_2537
.LBB6_2536:                             ;   in Loop: Header=BB6_2291 Depth=4
	v_and_b32_e32 v86, 3, v114
	v_lshrrev_b16 v46, 2, v114
	v_ffbh_u32_e32 v87, v86
	v_and_b32_e32 v46, 31, v46
	v_min_u32_e32 v87, 32, v87
	v_cmp_eq_u32_e32 vcc_lo, 0, v46
	v_subrev_nc_u32_e32 v58, 29, v87
	v_sub_nc_u32_e32 v87, 30, v87
	v_lshlrev_b32_e32 v58, v58, v114
	v_lshlrev_b32_e32 v114, 24, v114
	v_cndmask_b32_e32 v87, v46, v87, vcc_lo
	v_and_b32_e32 v58, 3, v58
	v_and_b32_e32 v114, 0x80000000, v114
	v_lshl_add_u32 v87, v87, 23, 0x37800000
	v_cndmask_b32_e32 v86, v86, v58, vcc_lo
	v_lshlrev_b32_e32 v86, 21, v86
	v_or3_b32 v86, v114, v87, v86
.LBB6_2537:                             ;   in Loop: Header=BB6_2291 Depth=4
	s_or_b32 exec_lo, exec_lo, s63
	s_waitcnt vmcnt(19) lgkmcnt(19)
	v_cmp_gt_i16_sdwa s63, v111, v59 src0_sel:BYTE_0 src1_sel:DWORD
	s_mov_b32 s16, 0
	s_and_saveexec_b32 s72, s63
	s_xor_b32 s63, exec_lo, s72
	s_cbranch_execz .LBB6_2979
; %bb.2538:                             ;   in Loop: Header=BB6_2291 Depth=4
	v_cmp_eq_u16_sdwa s73, v111, v60 src0_sel:BYTE_0 src1_sel:DWORD
	s_mov_b32 s16, -1
	s_and_saveexec_b32 s72, s73
; %bb.2539:                             ;   in Loop: Header=BB6_2291 Depth=4
	s_xor_b32 s16, exec_lo, -1
; %bb.2540:                             ;   in Loop: Header=BB6_2291 Depth=4
	s_or_b32 exec_lo, exec_lo, s72
	s_and_b32 s16, s16, exec_lo
	s_or_saveexec_b32 s63, s63
	v_mov_b32_e32 v87, 0x7f800001
	s_xor_b32 exec_lo, exec_lo, s63
	s_cbranch_execnz .LBB6_2980
.LBB6_2541:                             ;   in Loop: Header=BB6_2291 Depth=4
	s_or_b32 exec_lo, exec_lo, s63
	s_and_saveexec_b32 s63, s16
	s_cbranch_execz .LBB6_2543
.LBB6_2542:                             ;   in Loop: Header=BB6_2291 Depth=4
	v_and_b32_e32 v87, 3, v111
	v_lshrrev_b16 v46, 2, v111
	v_lshlrev_b32_e32 v73, 24, v111
	v_ffbh_u32_e32 v114, v87
	v_and_b32_e32 v46, 31, v46
	v_min_u32_e32 v114, 32, v114
	v_cmp_eq_u32_e32 vcc_lo, 0, v46
	v_subrev_nc_u32_e32 v58, 29, v114
	v_sub_nc_u32_e32 v114, 30, v114
	v_lshlrev_b32_e32 v58, v58, v111
	v_cndmask_b32_e32 v114, v46, v114, vcc_lo
	v_and_b32_e32 v46, 0x80000000, v73
	v_and_b32_e32 v58, 3, v58
	v_lshl_add_u32 v114, v114, 23, 0x37800000
	v_cndmask_b32_e32 v87, v87, v58, vcc_lo
	v_lshlrev_b32_e32 v87, 21, v87
	v_or3_b32 v87, v46, v114, v87
.LBB6_2543:                             ;   in Loop: Header=BB6_2291 Depth=4
	s_or_b32 exec_lo, exec_lo, s63
	v_mul_f32_e32 v86, v86, v87
	v_mov_b32_e32 v114, 0x80
	s_mov_b32 s63, exec_lo
	v_and_b32_e32 v87, 0x7f800000, v86
	v_cmpx_ne_u32_e32 0x7f800000, v87
	s_cbranch_execz .LBB6_2551
; %bb.2544:                             ;   in Loop: Header=BB6_2291 Depth=4
	v_mov_b32_e32 v114, 0
	s_mov_b32 s72, exec_lo
	v_cmpx_ne_u32_e32 0, v86
	s_cbranch_execz .LBB6_2550
; %bb.2545:                             ;   in Loop: Header=BB6_2291 Depth=4
	v_bfe_u32 v114, v86, 23, 8
	v_and_b32_e32 v87, 0x7fffff, v86
	v_cmp_gt_u32_e64 s16, 0x71, v114
	v_sub_nc_u32_e32 v46, 0x70, v114
	v_cmp_eq_u32_e32 vcc_lo, 0, v114
	v_or_b32_e32 v58, 0x800000, v87
	v_cndmask_b32_e64 v46, 0, v46, s16
	v_cndmask_b32_e32 v87, v58, v87, vcc_lo
	v_cndmask_b32_e64 v46, v46, 0x6f, vcc_lo
	v_lshl_add_u32 v58, 0x200000, v46, -1
	v_lshlrev_b32_e64 v73, v46, 0x100000
	v_and_b32_e32 v58, v58, v87
	v_cmp_eq_u32_e64 s16, v58, v73
	v_lshrrev_b32_e32 v58, v46, v87
	v_add_nc_u32_e32 v87, 0xffffff91, v114
	v_lshrrev_b32_e32 v114, 23, v58
	v_cndmask_b32_e64 v87, v87, 0xffffff92, vcc_lo
	v_xor_b32_e32 v114, 1, v114
	v_add_nc_u32_e32 v87, v46, v87
	v_bfe_u32 v46, v58, 21, 1
	v_add_nc_u32_e32 v46, -1, v46
	v_cndmask_b32_e64 v46, 0, v46, s16
	s_mov_b32 s16, exec_lo
	v_add_nc_u32_e32 v46, v46, v58
	v_and_b32_e32 v46, 0x1fffff, v46
	v_add_nc_u32_e32 v46, v46, v58
                                        ; implicit-def: $vgpr58
	v_cmpx_ne_u32_e64 v87, v114
	s_xor_b32 s16, exec_lo, s16
; %bb.2546:                             ;   in Loop: Header=BB6_2291 Depth=4
	v_cmp_lt_u32_e32 vcc_lo, 0xffffff, v46
	v_sub_nc_u32_e32 v87, v87, v114
	v_cndmask_b32_e64 v114, 0, 1, vcc_lo
	v_add_co_ci_u32_e64 v58, null, 0, v87, vcc_lo
	v_lshrrev_b32_e32 v46, v114, v46
; %bb.2547:                             ;   in Loop: Header=BB6_2291 Depth=4
	s_andn2_saveexec_b32 s16, s16
; %bb.2548:                             ;   in Loop: Header=BB6_2291 Depth=4
	v_bfe_u32 v58, v46, 23, 1
; %bb.2549:                             ;   in Loop: Header=BB6_2291 Depth=4
	s_or_b32 exec_lo, exec_lo, s16
	v_lshrrev_b32_e32 v87, 21, v46
	v_cmp_gt_i32_e32 vcc_lo, 32, v58
	v_min_i32_e32 v114, 31, v58
	v_and_b32_sdwa v86, v86, v60 dst_sel:DWORD dst_unused:UNUSED_PAD src0_sel:BYTE_3 src1_sel:DWORD
	v_cndmask_b32_e32 v87, 3, v87, vcc_lo
	v_lshlrev_b32_e32 v114, 2, v114
	v_or_b32_e32 v46, v58, v87
	v_and_b32_e32 v87, 3, v87
	v_cmp_ne_u32_e32 vcc_lo, 0, v46
	v_or3_b32 v86, v114, v86, v87
	v_cndmask_b32_e32 v114, 0, v86, vcc_lo
.LBB6_2550:                             ;   in Loop: Header=BB6_2291 Depth=4
	s_or_b32 exec_lo, exec_lo, s72
.LBB6_2551:                             ;   in Loop: Header=BB6_2291 Depth=4
	s_or_b32 exec_lo, exec_lo, s63
	v_cmp_gt_i16_sdwa s63, v117, v59 src0_sel:BYTE_0 src1_sel:DWORD
	s_mov_b32 s16, 0
	s_and_saveexec_b32 s72, s63
	s_xor_b32 s63, exec_lo, s72
	s_cbranch_execz .LBB6_2981
; %bb.2552:                             ;   in Loop: Header=BB6_2291 Depth=4
	v_cmp_eq_u16_sdwa s73, v117, v60 src0_sel:BYTE_0 src1_sel:DWORD
	s_mov_b32 s16, -1
	s_and_saveexec_b32 s72, s73
; %bb.2553:                             ;   in Loop: Header=BB6_2291 Depth=4
	s_xor_b32 s16, exec_lo, -1
; %bb.2554:                             ;   in Loop: Header=BB6_2291 Depth=4
	s_or_b32 exec_lo, exec_lo, s72
	s_and_b32 s16, s16, exec_lo
	s_or_saveexec_b32 s63, s63
	v_mov_b32_e32 v86, 0x7f800001
	s_xor_b32 exec_lo, exec_lo, s63
	s_cbranch_execnz .LBB6_2982
.LBB6_2555:                             ;   in Loop: Header=BB6_2291 Depth=4
	s_or_b32 exec_lo, exec_lo, s63
	s_and_saveexec_b32 s63, s16
	s_cbranch_execz .LBB6_2557
.LBB6_2556:                             ;   in Loop: Header=BB6_2291 Depth=4
	v_and_b32_e32 v86, 3, v117
	v_lshrrev_b16 v46, 2, v117
	v_ffbh_u32_e32 v87, v86
	v_and_b32_e32 v46, 31, v46
	v_min_u32_e32 v87, 32, v87
	v_cmp_eq_u32_e32 vcc_lo, 0, v46
	v_subrev_nc_u32_e32 v58, 29, v87
	v_sub_nc_u32_e32 v87, 30, v87
	v_lshlrev_b32_e32 v58, v58, v117
	v_lshlrev_b32_e32 v117, 24, v117
	v_cndmask_b32_e32 v87, v46, v87, vcc_lo
	v_and_b32_e32 v58, 3, v58
	v_and_b32_e32 v117, 0x80000000, v117
	v_lshl_add_u32 v87, v87, 23, 0x37800000
	v_cndmask_b32_e32 v86, v86, v58, vcc_lo
	v_lshlrev_b32_e32 v86, 21, v86
	v_or3_b32 v86, v117, v87, v86
.LBB6_2557:                             ;   in Loop: Header=BB6_2291 Depth=4
	s_or_b32 exec_lo, exec_lo, s63
	s_waitcnt vmcnt(18) lgkmcnt(18)
	v_cmp_gt_i16_sdwa s63, v40, v59 src0_sel:BYTE_0 src1_sel:DWORD
	s_mov_b32 s16, 0
	s_and_saveexec_b32 s72, s63
	s_xor_b32 s63, exec_lo, s72
	s_cbranch_execz .LBB6_2983
; %bb.2558:                             ;   in Loop: Header=BB6_2291 Depth=4
	v_cmp_eq_u16_sdwa s73, v40, v60 src0_sel:BYTE_0 src1_sel:DWORD
	s_mov_b32 s16, -1
	s_and_saveexec_b32 s72, s73
; %bb.2559:                             ;   in Loop: Header=BB6_2291 Depth=4
	s_xor_b32 s16, exec_lo, -1
; %bb.2560:                             ;   in Loop: Header=BB6_2291 Depth=4
	s_or_b32 exec_lo, exec_lo, s72
	s_and_b32 s16, s16, exec_lo
	s_or_saveexec_b32 s63, s63
	v_mov_b32_e32 v87, 0x7f800001
	s_xor_b32 exec_lo, exec_lo, s63
	s_cbranch_execnz .LBB6_2984
.LBB6_2561:                             ;   in Loop: Header=BB6_2291 Depth=4
	s_or_b32 exec_lo, exec_lo, s63
	s_and_saveexec_b32 s63, s16
	s_cbranch_execz .LBB6_2563
.LBB6_2562:                             ;   in Loop: Header=BB6_2291 Depth=4
	v_and_b32_e32 v87, 3, v40
	v_lshrrev_b16 v46, 2, v40
	v_ffbh_u32_e32 v117, v87
	v_and_b32_e32 v46, 31, v46
	v_min_u32_e32 v117, 32, v117
	v_cmp_eq_u32_e32 vcc_lo, 0, v46
	v_subrev_nc_u32_e32 v58, 29, v117
	v_sub_nc_u32_e32 v117, 30, v117
	v_lshlrev_b32_e32 v58, v58, v40
	v_lshlrev_b32_e32 v40, 24, v40
	v_cndmask_b32_e32 v117, v46, v117, vcc_lo
	v_and_b32_e32 v58, 3, v58
	v_and_b32_e32 v40, 0x80000000, v40
	v_lshl_add_u32 v117, v117, 23, 0x37800000
	v_cndmask_b32_e32 v87, v87, v58, vcc_lo
	v_lshlrev_b32_e32 v87, 21, v87
	v_or3_b32 v87, v40, v117, v87
.LBB6_2563:                             ;   in Loop: Header=BB6_2291 Depth=4
	s_or_b32 exec_lo, exec_lo, s63
	v_mul_f32_e32 v86, v86, v87
	v_mov_b32_e32 v117, 0x80
	s_mov_b32 s63, exec_lo
	v_and_b32_e32 v87, 0x7f800000, v86
	v_cmpx_ne_u32_e32 0x7f800000, v87
	s_cbranch_execz .LBB6_2571
; %bb.2564:                             ;   in Loop: Header=BB6_2291 Depth=4
	v_mov_b32_e32 v117, 0
	s_mov_b32 s72, exec_lo
	v_cmpx_ne_u32_e32 0, v86
	s_cbranch_execz .LBB6_2570
; %bb.2565:                             ;   in Loop: Header=BB6_2291 Depth=4
	v_bfe_u32 v117, v86, 23, 8
	v_and_b32_e32 v87, 0x7fffff, v86
	v_cmp_gt_u32_e64 s16, 0x71, v117
	v_sub_nc_u32_e32 v40, 0x70, v117
	v_cmp_eq_u32_e32 vcc_lo, 0, v117
	v_or_b32_e32 v46, 0x800000, v87
	v_cndmask_b32_e64 v40, 0, v40, s16
	v_cndmask_b32_e32 v87, v46, v87, vcc_lo
	v_cndmask_b32_e64 v40, v40, 0x6f, vcc_lo
	v_lshl_add_u32 v46, 0x200000, v40, -1
	v_lshlrev_b32_e64 v58, v40, 0x100000
	v_and_b32_e32 v46, v46, v87
	v_cmp_eq_u32_e64 s16, v46, v58
	v_lshrrev_b32_e32 v46, v40, v87
	v_add_nc_u32_e32 v87, 0xffffff91, v117
	v_lshrrev_b32_e32 v117, 23, v46
	v_cndmask_b32_e64 v87, v87, 0xffffff92, vcc_lo
	v_xor_b32_e32 v117, 1, v117
	v_add_nc_u32_e32 v87, v40, v87
	v_bfe_u32 v40, v46, 21, 1
	v_add_nc_u32_e32 v40, -1, v40
	v_cndmask_b32_e64 v40, 0, v40, s16
	s_mov_b32 s16, exec_lo
	v_add_nc_u32_e32 v40, v40, v46
	v_and_b32_e32 v40, 0x1fffff, v40
	v_add_nc_u32_e32 v40, v40, v46
                                        ; implicit-def: $vgpr46
	v_cmpx_ne_u32_e64 v87, v117
	s_xor_b32 s16, exec_lo, s16
; %bb.2566:                             ;   in Loop: Header=BB6_2291 Depth=4
	v_cmp_lt_u32_e32 vcc_lo, 0xffffff, v40
	v_sub_nc_u32_e32 v87, v87, v117
	v_cndmask_b32_e64 v117, 0, 1, vcc_lo
	v_add_co_ci_u32_e64 v46, null, 0, v87, vcc_lo
	v_lshrrev_b32_e32 v40, v117, v40
; %bb.2567:                             ;   in Loop: Header=BB6_2291 Depth=4
	s_andn2_saveexec_b32 s16, s16
; %bb.2568:                             ;   in Loop: Header=BB6_2291 Depth=4
	v_bfe_u32 v46, v40, 23, 1
; %bb.2569:                             ;   in Loop: Header=BB6_2291 Depth=4
	s_or_b32 exec_lo, exec_lo, s16
	v_lshrrev_b32_e32 v87, 21, v40
	v_cmp_gt_i32_e32 vcc_lo, 32, v46
	v_min_i32_e32 v117, 31, v46
	v_and_b32_sdwa v86, v86, v60 dst_sel:DWORD dst_unused:UNUSED_PAD src0_sel:BYTE_3 src1_sel:DWORD
	v_cndmask_b32_e32 v87, 3, v87, vcc_lo
	v_lshlrev_b32_e32 v117, 2, v117
	v_or_b32_e32 v40, v46, v87
	v_and_b32_e32 v87, 3, v87
	v_cmp_ne_u32_e32 vcc_lo, 0, v40
	v_or3_b32 v86, v117, v86, v87
	v_cndmask_b32_e32 v117, 0, v86, vcc_lo
.LBB6_2570:                             ;   in Loop: Header=BB6_2291 Depth=4
	s_or_b32 exec_lo, exec_lo, s72
.LBB6_2571:                             ;   in Loop: Header=BB6_2291 Depth=4
	s_or_b32 exec_lo, exec_lo, s63
	v_cmp_gt_i16_sdwa s63, v98, v59 src0_sel:BYTE_0 src1_sel:DWORD
	s_mov_b32 s16, 0
	s_and_saveexec_b32 s72, s63
	s_xor_b32 s63, exec_lo, s72
	s_cbranch_execz .LBB6_2985
; %bb.2572:                             ;   in Loop: Header=BB6_2291 Depth=4
	v_cmp_eq_u16_sdwa s73, v98, v60 src0_sel:BYTE_0 src1_sel:DWORD
	s_mov_b32 s16, -1
	s_and_saveexec_b32 s72, s73
; %bb.2573:                             ;   in Loop: Header=BB6_2291 Depth=4
	s_xor_b32 s16, exec_lo, -1
; %bb.2574:                             ;   in Loop: Header=BB6_2291 Depth=4
	s_or_b32 exec_lo, exec_lo, s72
	s_and_b32 s16, s16, exec_lo
	s_or_saveexec_b32 s63, s63
	v_mov_b32_e32 v86, 0x7f800001
	s_xor_b32 exec_lo, exec_lo, s63
	s_cbranch_execnz .LBB6_2986
.LBB6_2575:                             ;   in Loop: Header=BB6_2291 Depth=4
	s_or_b32 exec_lo, exec_lo, s63
	s_and_saveexec_b32 s63, s16
	s_cbranch_execz .LBB6_2577
.LBB6_2576:                             ;   in Loop: Header=BB6_2291 Depth=4
	v_and_b32_e32 v86, 3, v98
	v_lshrrev_b16 v40, 2, v98
	v_ffbh_u32_e32 v87, v86
	v_and_b32_e32 v40, 31, v40
	v_min_u32_e32 v87, 32, v87
	v_cmp_eq_u32_e32 vcc_lo, 0, v40
	v_subrev_nc_u32_e32 v46, 29, v87
	v_sub_nc_u32_e32 v87, 30, v87
	v_lshlrev_b32_e32 v46, v46, v98
	v_lshlrev_b32_e32 v98, 24, v98
	v_cndmask_b32_e32 v87, v40, v87, vcc_lo
	v_and_b32_e32 v46, 3, v46
	v_and_b32_e32 v98, 0x80000000, v98
	v_lshl_add_u32 v87, v87, 23, 0x37800000
	v_cndmask_b32_e32 v86, v86, v46, vcc_lo
	v_lshlrev_b32_e32 v86, 21, v86
	v_or3_b32 v86, v98, v87, v86
.LBB6_2577:                             ;   in Loop: Header=BB6_2291 Depth=4
	s_or_b32 exec_lo, exec_lo, s63
	s_waitcnt vmcnt(17) lgkmcnt(17)
	v_cmp_gt_i16_sdwa s63, v99, v59 src0_sel:BYTE_0 src1_sel:DWORD
	s_mov_b32 s16, 0
	s_and_saveexec_b32 s72, s63
	s_xor_b32 s63, exec_lo, s72
	s_cbranch_execz .LBB6_2987
; %bb.2578:                             ;   in Loop: Header=BB6_2291 Depth=4
	v_cmp_eq_u16_sdwa s73, v99, v60 src0_sel:BYTE_0 src1_sel:DWORD
	s_mov_b32 s16, -1
	s_and_saveexec_b32 s72, s73
; %bb.2579:                             ;   in Loop: Header=BB6_2291 Depth=4
	s_xor_b32 s16, exec_lo, -1
; %bb.2580:                             ;   in Loop: Header=BB6_2291 Depth=4
	s_or_b32 exec_lo, exec_lo, s72
	s_and_b32 s16, s16, exec_lo
	s_or_saveexec_b32 s63, s63
	v_mov_b32_e32 v87, 0x7f800001
	s_xor_b32 exec_lo, exec_lo, s63
	s_cbranch_execnz .LBB6_2988
.LBB6_2581:                             ;   in Loop: Header=BB6_2291 Depth=4
	s_or_b32 exec_lo, exec_lo, s63
	s_and_saveexec_b32 s63, s16
	s_cbranch_execz .LBB6_2583
.LBB6_2582:                             ;   in Loop: Header=BB6_2291 Depth=4
	v_and_b32_e32 v87, 3, v99
	v_lshrrev_b16 v40, 2, v99
	v_ffbh_u32_e32 v98, v87
	v_and_b32_e32 v40, 31, v40
	v_min_u32_e32 v98, 32, v98
	v_cmp_eq_u32_e32 vcc_lo, 0, v40
	v_subrev_nc_u32_e32 v46, 29, v98
	v_sub_nc_u32_e32 v98, 30, v98
	v_lshlrev_b32_e32 v46, v46, v99
	v_lshlrev_b32_e32 v99, 24, v99
	v_cndmask_b32_e32 v98, v40, v98, vcc_lo
	v_and_b32_e32 v46, 3, v46
	v_and_b32_e32 v99, 0x80000000, v99
	v_lshl_add_u32 v98, v98, 23, 0x37800000
	v_cndmask_b32_e32 v87, v87, v46, vcc_lo
	v_lshlrev_b32_e32 v87, 21, v87
	v_or3_b32 v87, v99, v98, v87
.LBB6_2583:                             ;   in Loop: Header=BB6_2291 Depth=4
	s_or_b32 exec_lo, exec_lo, s63
	v_mul_f32_e32 v86, v86, v87
	v_mov_b32_e32 v40, 0x80
	s_mov_b32 s63, exec_lo
	v_and_b32_e32 v87, 0x7f800000, v86
	v_cmpx_ne_u32_e32 0x7f800000, v87
	s_cbranch_execz .LBB6_2591
; %bb.2584:                             ;   in Loop: Header=BB6_2291 Depth=4
	v_mov_b32_e32 v40, 0
	s_mov_b32 s72, exec_lo
	v_cmpx_ne_u32_e32 0, v86
	s_cbranch_execz .LBB6_2590
; %bb.2585:                             ;   in Loop: Header=BB6_2291 Depth=4
	v_bfe_u32 v98, v86, 23, 8
	v_and_b32_e32 v87, 0x7fffff, v86
	v_cmp_gt_u32_e64 s16, 0x71, v98
	v_sub_nc_u32_e32 v99, 0x70, v98
	v_cmp_eq_u32_e32 vcc_lo, 0, v98
	v_or_b32_e32 v40, 0x800000, v87
	v_cndmask_b32_e64 v99, 0, v99, s16
	v_cndmask_b32_e32 v87, v40, v87, vcc_lo
	v_cndmask_b32_e64 v99, v99, 0x6f, vcc_lo
	v_lshl_add_u32 v40, 0x200000, v99, -1
	v_lshlrev_b32_e64 v46, v99, 0x100000
	v_and_b32_e32 v40, v40, v87
	v_cmp_eq_u32_e64 s16, v40, v46
	v_lshrrev_b32_e32 v40, v99, v87
	v_add_nc_u32_e32 v87, 0xffffff91, v98
	v_lshrrev_b32_e32 v98, 23, v40
	v_cndmask_b32_e64 v87, v87, 0xffffff92, vcc_lo
	v_xor_b32_e32 v98, 1, v98
	v_add_nc_u32_e32 v87, v99, v87
	v_bfe_u32 v99, v40, 21, 1
	v_add_nc_u32_e32 v99, -1, v99
	v_cndmask_b32_e64 v99, 0, v99, s16
	s_mov_b32 s16, exec_lo
	v_add_nc_u32_e32 v99, v99, v40
	v_and_b32_e32 v99, 0x1fffff, v99
	v_add_nc_u32_e32 v99, v99, v40
                                        ; implicit-def: $vgpr40
	v_cmpx_ne_u32_e64 v87, v98
	s_xor_b32 s16, exec_lo, s16
; %bb.2586:                             ;   in Loop: Header=BB6_2291 Depth=4
	v_cmp_lt_u32_e32 vcc_lo, 0xffffff, v99
	v_sub_nc_u32_e32 v87, v87, v98
	v_cndmask_b32_e64 v98, 0, 1, vcc_lo
	v_add_co_ci_u32_e64 v40, null, 0, v87, vcc_lo
	v_lshrrev_b32_e32 v99, v98, v99
; %bb.2587:                             ;   in Loop: Header=BB6_2291 Depth=4
	s_andn2_saveexec_b32 s16, s16
; %bb.2588:                             ;   in Loop: Header=BB6_2291 Depth=4
	v_bfe_u32 v40, v99, 23, 1
; %bb.2589:                             ;   in Loop: Header=BB6_2291 Depth=4
	s_or_b32 exec_lo, exec_lo, s16
	v_lshrrev_b32_e32 v87, 21, v99
	v_cmp_gt_i32_e32 vcc_lo, 32, v40
	v_min_i32_e32 v98, 31, v40
	v_and_b32_sdwa v86, v86, v60 dst_sel:DWORD dst_unused:UNUSED_PAD src0_sel:BYTE_3 src1_sel:DWORD
	v_cndmask_b32_e32 v87, 3, v87, vcc_lo
	v_lshlrev_b32_e32 v98, 2, v98
	v_or_b32_e32 v99, v40, v87
	v_and_b32_e32 v87, 3, v87
	v_cmp_ne_u32_e32 vcc_lo, 0, v99
	v_or3_b32 v86, v98, v86, v87
	v_cndmask_b32_e32 v40, 0, v86, vcc_lo
.LBB6_2590:                             ;   in Loop: Header=BB6_2291 Depth=4
	s_or_b32 exec_lo, exec_lo, s72
.LBB6_2591:                             ;   in Loop: Header=BB6_2291 Depth=4
	s_or_b32 exec_lo, exec_lo, s63
	v_cmp_gt_i16_sdwa s63, v107, v59 src0_sel:BYTE_0 src1_sel:DWORD
	s_mov_b32 s16, 0
	s_and_saveexec_b32 s72, s63
	s_xor_b32 s63, exec_lo, s72
	s_cbranch_execz .LBB6_2989
; %bb.2592:                             ;   in Loop: Header=BB6_2291 Depth=4
	v_cmp_eq_u16_sdwa s73, v107, v60 src0_sel:BYTE_0 src1_sel:DWORD
	s_mov_b32 s16, -1
	s_and_saveexec_b32 s72, s73
; %bb.2593:                             ;   in Loop: Header=BB6_2291 Depth=4
	s_xor_b32 s16, exec_lo, -1
; %bb.2594:                             ;   in Loop: Header=BB6_2291 Depth=4
	s_or_b32 exec_lo, exec_lo, s72
	s_and_b32 s16, s16, exec_lo
	s_or_saveexec_b32 s63, s63
	v_mov_b32_e32 v86, 0x7f800001
	s_xor_b32 exec_lo, exec_lo, s63
	s_cbranch_execnz .LBB6_2990
.LBB6_2595:                             ;   in Loop: Header=BB6_2291 Depth=4
	s_or_b32 exec_lo, exec_lo, s63
	s_and_saveexec_b32 s63, s16
	s_cbranch_execz .LBB6_2597
.LBB6_2596:                             ;   in Loop: Header=BB6_2291 Depth=4
	v_and_b32_e32 v86, 3, v107
	v_lshrrev_b16 v98, 2, v107
	v_lshlrev_b32_e32 v46, 24, v107
	v_ffbh_u32_e32 v87, v86
	v_and_b32_e32 v98, 31, v98
	v_min_u32_e32 v87, 32, v87
	v_cmp_eq_u32_e32 vcc_lo, 0, v98
	v_subrev_nc_u32_e32 v99, 29, v87
	v_sub_nc_u32_e32 v87, 30, v87
	v_lshlrev_b32_e32 v99, v99, v107
	v_cndmask_b32_e32 v87, v98, v87, vcc_lo
	v_and_b32_e32 v98, 0x80000000, v46
	v_and_b32_e32 v99, 3, v99
	v_lshl_add_u32 v87, v87, 23, 0x37800000
	v_cndmask_b32_e32 v86, v86, v99, vcc_lo
	v_lshlrev_b32_e32 v86, 21, v86
	v_or3_b32 v86, v98, v87, v86
.LBB6_2597:                             ;   in Loop: Header=BB6_2291 Depth=4
	s_or_b32 exec_lo, exec_lo, s63
	s_waitcnt vmcnt(16) lgkmcnt(16)
	v_cmp_gt_i16_sdwa s63, v110, v59 src0_sel:BYTE_0 src1_sel:DWORD
	s_mov_b32 s16, 0
	s_and_saveexec_b32 s72, s63
	s_xor_b32 s63, exec_lo, s72
	s_cbranch_execz .LBB6_2991
; %bb.2598:                             ;   in Loop: Header=BB6_2291 Depth=4
	v_cmp_eq_u16_sdwa s73, v110, v60 src0_sel:BYTE_0 src1_sel:DWORD
	s_mov_b32 s16, -1
	s_and_saveexec_b32 s72, s73
; %bb.2599:                             ;   in Loop: Header=BB6_2291 Depth=4
	s_xor_b32 s16, exec_lo, -1
; %bb.2600:                             ;   in Loop: Header=BB6_2291 Depth=4
	s_or_b32 exec_lo, exec_lo, s72
	s_and_b32 s16, s16, exec_lo
	s_or_saveexec_b32 s63, s63
	v_mov_b32_e32 v87, 0x7f800001
	s_xor_b32 exec_lo, exec_lo, s63
	s_cbranch_execnz .LBB6_2992
.LBB6_2601:                             ;   in Loop: Header=BB6_2291 Depth=4
	s_or_b32 exec_lo, exec_lo, s63
	s_and_saveexec_b32 s63, s16
	s_cbranch_execz .LBB6_2603
.LBB6_2602:                             ;   in Loop: Header=BB6_2291 Depth=4
	v_and_b32_e32 v87, 3, v110
	v_lshrrev_b16 v99, 2, v110
	v_lshlrev_b32_e32 v58, 24, v110
	v_ffbh_u32_e32 v98, v87
	v_and_b32_e32 v99, 31, v99
	v_min_u32_e32 v98, 32, v98
	v_cmp_eq_u32_e32 vcc_lo, 0, v99
	v_subrev_nc_u32_e32 v46, 29, v98
	v_sub_nc_u32_e32 v98, 30, v98
	v_lshlrev_b32_e32 v46, v46, v110
	v_cndmask_b32_e32 v98, v99, v98, vcc_lo
	v_and_b32_e32 v99, 0x80000000, v58
	v_and_b32_e32 v46, 3, v46
	v_lshl_add_u32 v98, v98, 23, 0x37800000
	v_cndmask_b32_e32 v87, v87, v46, vcc_lo
	v_lshlrev_b32_e32 v87, 21, v87
	v_or3_b32 v87, v99, v98, v87
.LBB6_2603:                             ;   in Loop: Header=BB6_2291 Depth=4
	s_or_b32 exec_lo, exec_lo, s63
	v_mul_f32_e32 v86, v86, v87
	v_mov_b32_e32 v107, 0x80
	s_mov_b32 s63, exec_lo
	v_and_b32_e32 v87, 0x7f800000, v86
	v_cmpx_ne_u32_e32 0x7f800000, v87
	s_cbranch_execz .LBB6_2611
; %bb.2604:                             ;   in Loop: Header=BB6_2291 Depth=4
	v_mov_b32_e32 v107, 0
	s_mov_b32 s72, exec_lo
	v_cmpx_ne_u32_e32 0, v86
	s_cbranch_execz .LBB6_2610
; %bb.2605:                             ;   in Loop: Header=BB6_2291 Depth=4
	v_bfe_u32 v98, v86, 23, 8
	v_and_b32_e32 v87, 0x7fffff, v86
	v_cmp_gt_u32_e64 s16, 0x71, v98
	v_sub_nc_u32_e32 v99, 0x70, v98
	v_cmp_eq_u32_e32 vcc_lo, 0, v98
	v_or_b32_e32 v46, 0x800000, v87
	v_cndmask_b32_e64 v99, 0, v99, s16
	v_cndmask_b32_e32 v87, v46, v87, vcc_lo
	v_cndmask_b32_e64 v99, v99, 0x6f, vcc_lo
	v_lshl_add_u32 v46, 0x200000, v99, -1
	v_lshlrev_b32_e64 v58, v99, 0x100000
	v_and_b32_e32 v46, v46, v87
	v_cmp_eq_u32_e64 s16, v46, v58
	v_lshrrev_b32_e32 v46, v99, v87
	v_add_nc_u32_e32 v87, 0xffffff91, v98
	v_lshrrev_b32_e32 v98, 23, v46
	v_cndmask_b32_e64 v87, v87, 0xffffff92, vcc_lo
	v_xor_b32_e32 v98, 1, v98
	v_add_nc_u32_e32 v87, v99, v87
	v_bfe_u32 v99, v46, 21, 1
	v_add_nc_u32_e32 v99, -1, v99
	v_cndmask_b32_e64 v99, 0, v99, s16
	s_mov_b32 s16, exec_lo
	v_add_nc_u32_e32 v99, v99, v46
	v_and_b32_e32 v99, 0x1fffff, v99
	v_add_nc_u32_e32 v99, v99, v46
                                        ; implicit-def: $vgpr46
	v_cmpx_ne_u32_e64 v87, v98
	s_xor_b32 s16, exec_lo, s16
; %bb.2606:                             ;   in Loop: Header=BB6_2291 Depth=4
	v_cmp_lt_u32_e32 vcc_lo, 0xffffff, v99
	v_sub_nc_u32_e32 v87, v87, v98
	v_cndmask_b32_e64 v98, 0, 1, vcc_lo
	v_add_co_ci_u32_e64 v46, null, 0, v87, vcc_lo
	v_lshrrev_b32_e32 v99, v98, v99
; %bb.2607:                             ;   in Loop: Header=BB6_2291 Depth=4
	s_andn2_saveexec_b32 s16, s16
; %bb.2608:                             ;   in Loop: Header=BB6_2291 Depth=4
	v_bfe_u32 v46, v99, 23, 1
; %bb.2609:                             ;   in Loop: Header=BB6_2291 Depth=4
	s_or_b32 exec_lo, exec_lo, s16
	v_lshrrev_b32_e32 v87, 21, v99
	v_cmp_gt_i32_e32 vcc_lo, 32, v46
	v_min_i32_e32 v98, 31, v46
	v_and_b32_sdwa v86, v86, v60 dst_sel:DWORD dst_unused:UNUSED_PAD src0_sel:BYTE_3 src1_sel:DWORD
	v_cndmask_b32_e32 v87, 3, v87, vcc_lo
	v_lshlrev_b32_e32 v98, 2, v98
	v_or_b32_e32 v99, v46, v87
	v_and_b32_e32 v87, 3, v87
	v_cmp_ne_u32_e32 vcc_lo, 0, v99
	v_or3_b32 v86, v98, v86, v87
	v_cndmask_b32_e32 v107, 0, v86, vcc_lo
.LBB6_2610:                             ;   in Loop: Header=BB6_2291 Depth=4
	s_or_b32 exec_lo, exec_lo, s72
.LBB6_2611:                             ;   in Loop: Header=BB6_2291 Depth=4
	s_or_b32 exec_lo, exec_lo, s63
	v_cmp_gt_i16_sdwa s63, v41, v59 src0_sel:BYTE_0 src1_sel:DWORD
	s_mov_b32 s16, 0
	s_and_saveexec_b32 s72, s63
	s_xor_b32 s63, exec_lo, s72
	s_cbranch_execz .LBB6_2993
; %bb.2612:                             ;   in Loop: Header=BB6_2291 Depth=4
	v_cmp_eq_u16_sdwa s73, v41, v60 src0_sel:BYTE_0 src1_sel:DWORD
	s_mov_b32 s16, -1
	s_and_saveexec_b32 s72, s73
; %bb.2613:                             ;   in Loop: Header=BB6_2291 Depth=4
	s_xor_b32 s16, exec_lo, -1
; %bb.2614:                             ;   in Loop: Header=BB6_2291 Depth=4
	s_or_b32 exec_lo, exec_lo, s72
	s_and_b32 s16, s16, exec_lo
	s_or_saveexec_b32 s63, s63
	v_mov_b32_e32 v86, 0x7f800001
	s_xor_b32 exec_lo, exec_lo, s63
	s_cbranch_execnz .LBB6_2994
.LBB6_2615:                             ;   in Loop: Header=BB6_2291 Depth=4
	s_or_b32 exec_lo, exec_lo, s63
	s_and_saveexec_b32 s63, s16
	s_cbranch_execz .LBB6_2617
.LBB6_2616:                             ;   in Loop: Header=BB6_2291 Depth=4
	v_and_b32_e32 v86, 3, v41
	v_lshrrev_b16 v98, 2, v41
	v_ffbh_u32_e32 v87, v86
	v_and_b32_e32 v98, 31, v98
	v_min_u32_e32 v87, 32, v87
	v_cmp_eq_u32_e32 vcc_lo, 0, v98
	v_subrev_nc_u32_e32 v99, 29, v87
	v_sub_nc_u32_e32 v87, 30, v87
	v_lshlrev_b32_e32 v99, v99, v41
	v_lshlrev_b32_e32 v41, 24, v41
	v_cndmask_b32_e32 v87, v98, v87, vcc_lo
	v_and_b32_e32 v99, 3, v99
	v_and_b32_e32 v98, 0x80000000, v41
	v_lshl_add_u32 v87, v87, 23, 0x37800000
	v_cndmask_b32_e32 v86, v86, v99, vcc_lo
	v_lshlrev_b32_e32 v86, 21, v86
	v_or3_b32 v86, v98, v87, v86
.LBB6_2617:                             ;   in Loop: Header=BB6_2291 Depth=4
	s_or_b32 exec_lo, exec_lo, s63
	s_waitcnt vmcnt(15) lgkmcnt(15)
	v_cmp_gt_i16_sdwa s63, v91, v59 src0_sel:BYTE_0 src1_sel:DWORD
	s_mov_b32 s16, 0
	s_and_saveexec_b32 s72, s63
	s_xor_b32 s63, exec_lo, s72
	s_cbranch_execz .LBB6_2995
; %bb.2618:                             ;   in Loop: Header=BB6_2291 Depth=4
	v_cmp_eq_u16_sdwa s73, v91, v60 src0_sel:BYTE_0 src1_sel:DWORD
	s_mov_b32 s16, -1
	s_and_saveexec_b32 s72, s73
; %bb.2619:                             ;   in Loop: Header=BB6_2291 Depth=4
	s_xor_b32 s16, exec_lo, -1
; %bb.2620:                             ;   in Loop: Header=BB6_2291 Depth=4
	s_or_b32 exec_lo, exec_lo, s72
	s_and_b32 s16, s16, exec_lo
	s_or_saveexec_b32 s63, s63
	v_mov_b32_e32 v87, 0x7f800001
	s_xor_b32 exec_lo, exec_lo, s63
	s_cbranch_execnz .LBB6_2996
.LBB6_2621:                             ;   in Loop: Header=BB6_2291 Depth=4
	s_or_b32 exec_lo, exec_lo, s63
	s_and_saveexec_b32 s63, s16
	s_cbranch_execz .LBB6_2623
.LBB6_2622:                             ;   in Loop: Header=BB6_2291 Depth=4
	v_and_b32_e32 v87, 3, v91
	v_lshrrev_b16 v99, 2, v91
	v_lshlrev_b32_e32 v46, 24, v91
	v_ffbh_u32_e32 v98, v87
	v_and_b32_e32 v99, 31, v99
	v_min_u32_e32 v98, 32, v98
	v_cmp_eq_u32_e32 vcc_lo, 0, v99
	v_subrev_nc_u32_e32 v41, 29, v98
	v_sub_nc_u32_e32 v98, 30, v98
	v_lshlrev_b32_e32 v41, v41, v91
	v_cndmask_b32_e32 v98, v99, v98, vcc_lo
	v_and_b32_e32 v99, 0x80000000, v46
	v_and_b32_e32 v41, 3, v41
	v_lshl_add_u32 v98, v98, 23, 0x37800000
	v_cndmask_b32_e32 v87, v87, v41, vcc_lo
	v_lshlrev_b32_e32 v87, 21, v87
	v_or3_b32 v87, v99, v98, v87
.LBB6_2623:                             ;   in Loop: Header=BB6_2291 Depth=4
	s_or_b32 exec_lo, exec_lo, s63
	v_mul_f32_e32 v86, v86, v87
	v_mov_b32_e32 v98, 0x80
	s_mov_b32 s63, exec_lo
	v_and_b32_e32 v87, 0x7f800000, v86
	v_cmpx_ne_u32_e32 0x7f800000, v87
	s_cbranch_execz .LBB6_2631
; %bb.2624:                             ;   in Loop: Header=BB6_2291 Depth=4
	v_mov_b32_e32 v98, 0
	s_mov_b32 s72, exec_lo
	v_cmpx_ne_u32_e32 0, v86
	s_cbranch_execz .LBB6_2630
; %bb.2625:                             ;   in Loop: Header=BB6_2291 Depth=4
	v_bfe_u32 v98, v86, 23, 8
	v_and_b32_e32 v87, 0x7fffff, v86
	v_cmp_gt_u32_e64 s16, 0x71, v98
	v_sub_nc_u32_e32 v99, 0x70, v98
	v_cmp_eq_u32_e32 vcc_lo, 0, v98
	v_or_b32_e32 v41, 0x800000, v87
	v_cndmask_b32_e64 v99, 0, v99, s16
	v_cndmask_b32_e32 v87, v41, v87, vcc_lo
	v_cndmask_b32_e64 v99, v99, 0x6f, vcc_lo
	v_lshl_add_u32 v41, 0x200000, v99, -1
	v_lshlrev_b32_e64 v46, v99, 0x100000
	v_and_b32_e32 v41, v41, v87
	v_cmp_eq_u32_e64 s16, v41, v46
	v_lshrrev_b32_e32 v41, v99, v87
	v_add_nc_u32_e32 v87, 0xffffff91, v98
	v_lshrrev_b32_e32 v98, 23, v41
	v_cndmask_b32_e64 v87, v87, 0xffffff92, vcc_lo
	v_xor_b32_e32 v98, 1, v98
	v_add_nc_u32_e32 v87, v99, v87
	v_bfe_u32 v99, v41, 21, 1
	v_add_nc_u32_e32 v99, -1, v99
	v_cndmask_b32_e64 v99, 0, v99, s16
	s_mov_b32 s16, exec_lo
	v_add_nc_u32_e32 v99, v99, v41
	v_and_b32_e32 v99, 0x1fffff, v99
	v_add_nc_u32_e32 v99, v99, v41
                                        ; implicit-def: $vgpr41
	v_cmpx_ne_u32_e64 v87, v98
	s_xor_b32 s16, exec_lo, s16
; %bb.2626:                             ;   in Loop: Header=BB6_2291 Depth=4
	v_cmp_lt_u32_e32 vcc_lo, 0xffffff, v99
	v_sub_nc_u32_e32 v87, v87, v98
	v_cndmask_b32_e64 v98, 0, 1, vcc_lo
	v_add_co_ci_u32_e64 v41, null, 0, v87, vcc_lo
	v_lshrrev_b32_e32 v99, v98, v99
; %bb.2627:                             ;   in Loop: Header=BB6_2291 Depth=4
	s_andn2_saveexec_b32 s16, s16
; %bb.2628:                             ;   in Loop: Header=BB6_2291 Depth=4
	v_bfe_u32 v41, v99, 23, 1
; %bb.2629:                             ;   in Loop: Header=BB6_2291 Depth=4
	s_or_b32 exec_lo, exec_lo, s16
	v_lshrrev_b32_e32 v87, 21, v99
	v_cmp_gt_i32_e32 vcc_lo, 32, v41
	v_min_i32_e32 v98, 31, v41
	v_and_b32_sdwa v86, v86, v60 dst_sel:DWORD dst_unused:UNUSED_PAD src0_sel:BYTE_3 src1_sel:DWORD
	v_cndmask_b32_e32 v87, 3, v87, vcc_lo
	v_lshlrev_b32_e32 v98, 2, v98
	v_or_b32_e32 v99, v41, v87
	v_and_b32_e32 v87, 3, v87
	v_cmp_ne_u32_e32 vcc_lo, 0, v99
	v_or3_b32 v86, v98, v86, v87
	v_cndmask_b32_e32 v98, 0, v86, vcc_lo
.LBB6_2630:                             ;   in Loop: Header=BB6_2291 Depth=4
	s_or_b32 exec_lo, exec_lo, s72
.LBB6_2631:                             ;   in Loop: Header=BB6_2291 Depth=4
	s_or_b32 exec_lo, exec_lo, s63
	v_cmp_gt_i16_sdwa s63, v118, v59 src0_sel:BYTE_0 src1_sel:DWORD
	s_mov_b32 s16, 0
	s_and_saveexec_b32 s72, s63
	s_xor_b32 s63, exec_lo, s72
	s_cbranch_execz .LBB6_2997
; %bb.2632:                             ;   in Loop: Header=BB6_2291 Depth=4
	v_cmp_eq_u16_sdwa s73, v118, v60 src0_sel:BYTE_0 src1_sel:DWORD
	s_mov_b32 s16, -1
	s_and_saveexec_b32 s72, s73
; %bb.2633:                             ;   in Loop: Header=BB6_2291 Depth=4
	s_xor_b32 s16, exec_lo, -1
; %bb.2634:                             ;   in Loop: Header=BB6_2291 Depth=4
	s_or_b32 exec_lo, exec_lo, s72
	s_and_b32 s16, s16, exec_lo
	s_or_saveexec_b32 s63, s63
	v_mov_b32_e32 v86, 0x7f800001
	s_xor_b32 exec_lo, exec_lo, s63
	s_cbranch_execnz .LBB6_2998
.LBB6_2635:                             ;   in Loop: Header=BB6_2291 Depth=4
	s_or_b32 exec_lo, exec_lo, s63
	s_and_saveexec_b32 s63, s16
	s_cbranch_execz .LBB6_2637
.LBB6_2636:                             ;   in Loop: Header=BB6_2291 Depth=4
	v_and_b32_e32 v86, 3, v118
	v_lshrrev_b16 v99, 2, v118
	v_ffbh_u32_e32 v87, v86
	v_and_b32_e32 v99, 31, v99
	v_min_u32_e32 v87, 32, v87
	v_cmp_eq_u32_e32 vcc_lo, 0, v99
	v_subrev_nc_u32_e32 v41, 29, v87
	v_sub_nc_u32_e32 v87, 30, v87
	v_lshlrev_b32_e32 v41, v41, v118
	v_lshlrev_b32_e32 v118, 24, v118
	v_cndmask_b32_e32 v87, v99, v87, vcc_lo
	v_and_b32_e32 v41, 3, v41
	v_and_b32_e32 v99, 0x80000000, v118
	v_lshl_add_u32 v87, v87, 23, 0x37800000
	v_cndmask_b32_e32 v86, v86, v41, vcc_lo
	v_lshlrev_b32_e32 v86, 21, v86
	v_or3_b32 v86, v99, v87, v86
.LBB6_2637:                             ;   in Loop: Header=BB6_2291 Depth=4
	s_or_b32 exec_lo, exec_lo, s63
	s_waitcnt vmcnt(14) lgkmcnt(14)
	v_cmp_gt_i16_sdwa s63, v119, v59 src0_sel:BYTE_0 src1_sel:DWORD
	s_mov_b32 s16, 0
	s_and_saveexec_b32 s72, s63
	s_xor_b32 s63, exec_lo, s72
	s_cbranch_execz .LBB6_2999
; %bb.2638:                             ;   in Loop: Header=BB6_2291 Depth=4
	v_cmp_eq_u16_sdwa s73, v119, v60 src0_sel:BYTE_0 src1_sel:DWORD
	s_mov_b32 s16, -1
	s_and_saveexec_b32 s72, s73
; %bb.2639:                             ;   in Loop: Header=BB6_2291 Depth=4
	s_xor_b32 s16, exec_lo, -1
; %bb.2640:                             ;   in Loop: Header=BB6_2291 Depth=4
	s_or_b32 exec_lo, exec_lo, s72
	s_and_b32 s16, s16, exec_lo
	s_or_saveexec_b32 s63, s63
	v_mov_b32_e32 v87, 0x7f800001
	s_xor_b32 exec_lo, exec_lo, s63
	s_cbranch_execnz .LBB6_3000
.LBB6_2641:                             ;   in Loop: Header=BB6_2291 Depth=4
	s_or_b32 exec_lo, exec_lo, s63
	s_and_saveexec_b32 s63, s16
	s_cbranch_execz .LBB6_2643
.LBB6_2642:                             ;   in Loop: Header=BB6_2291 Depth=4
	v_and_b32_e32 v87, 3, v119
	v_lshrrev_b16 v118, 2, v119
	v_ffbh_u32_e32 v99, v87
	v_and_b32_e32 v118, 31, v118
	v_min_u32_e32 v99, 32, v99
	v_cmp_eq_u32_e32 vcc_lo, 0, v118
	v_subrev_nc_u32_e32 v41, 29, v99
	v_sub_nc_u32_e32 v99, 30, v99
	v_lshlrev_b32_e32 v41, v41, v119
	v_lshlrev_b32_e32 v119, 24, v119
	v_cndmask_b32_e32 v99, v118, v99, vcc_lo
	v_and_b32_e32 v41, 3, v41
	v_and_b32_e32 v118, 0x80000000, v119
	v_lshl_add_u32 v99, v99, 23, 0x37800000
	v_cndmask_b32_e32 v87, v87, v41, vcc_lo
	v_lshlrev_b32_e32 v87, 21, v87
	v_or3_b32 v87, v118, v99, v87
.LBB6_2643:                             ;   in Loop: Header=BB6_2291 Depth=4
	s_or_b32 exec_lo, exec_lo, s63
	v_mul_f32_e32 v86, v86, v87
	v_mov_b32_e32 v99, 0x80
	s_mov_b32 s63, exec_lo
	v_and_b32_e32 v87, 0x7f800000, v86
	v_cmpx_ne_u32_e32 0x7f800000, v87
	s_cbranch_execz .LBB6_2651
; %bb.2644:                             ;   in Loop: Header=BB6_2291 Depth=4
	v_mov_b32_e32 v99, 0
	s_mov_b32 s72, exec_lo
	v_cmpx_ne_u32_e32 0, v86
	s_cbranch_execz .LBB6_2650
; %bb.2645:                             ;   in Loop: Header=BB6_2291 Depth=4
	v_bfe_u32 v99, v86, 23, 8
	v_and_b32_e32 v87, 0x7fffff, v86
	v_cmp_gt_u32_e64 s16, 0x71, v99
	v_sub_nc_u32_e32 v118, 0x70, v99
	v_cmp_eq_u32_e32 vcc_lo, 0, v99
	v_or_b32_e32 v119, 0x800000, v87
	v_cndmask_b32_e64 v118, 0, v118, s16
	v_cndmask_b32_e32 v87, v119, v87, vcc_lo
	v_cndmask_b32_e64 v118, v118, 0x6f, vcc_lo
	v_lshl_add_u32 v119, 0x200000, v118, -1
	v_lshlrev_b32_e64 v41, v118, 0x100000
	v_and_b32_e32 v119, v119, v87
	v_cmp_eq_u32_e64 s16, v119, v41
	v_lshrrev_b32_e32 v119, v118, v87
	v_add_nc_u32_e32 v87, 0xffffff91, v99
	v_lshrrev_b32_e32 v99, 23, v119
	v_cndmask_b32_e64 v87, v87, 0xffffff92, vcc_lo
	v_xor_b32_e32 v99, 1, v99
	v_add_nc_u32_e32 v87, v118, v87
	v_bfe_u32 v118, v119, 21, 1
	v_add_nc_u32_e32 v118, -1, v118
	v_cndmask_b32_e64 v118, 0, v118, s16
	s_mov_b32 s16, exec_lo
	v_add_nc_u32_e32 v118, v118, v119
	v_and_b32_e32 v118, 0x1fffff, v118
	v_add_nc_u32_e32 v118, v118, v119
                                        ; implicit-def: $vgpr119
	v_cmpx_ne_u32_e64 v87, v99
	s_xor_b32 s16, exec_lo, s16
; %bb.2646:                             ;   in Loop: Header=BB6_2291 Depth=4
	v_cmp_lt_u32_e32 vcc_lo, 0xffffff, v118
	v_sub_nc_u32_e32 v87, v87, v99
	v_cndmask_b32_e64 v99, 0, 1, vcc_lo
	v_add_co_ci_u32_e64 v119, null, 0, v87, vcc_lo
	v_lshrrev_b32_e32 v118, v99, v118
; %bb.2647:                             ;   in Loop: Header=BB6_2291 Depth=4
	s_andn2_saveexec_b32 s16, s16
; %bb.2648:                             ;   in Loop: Header=BB6_2291 Depth=4
	v_bfe_u32 v119, v118, 23, 1
; %bb.2649:                             ;   in Loop: Header=BB6_2291 Depth=4
	s_or_b32 exec_lo, exec_lo, s16
	v_lshrrev_b32_e32 v87, 21, v118
	v_cmp_gt_i32_e32 vcc_lo, 32, v119
	v_min_i32_e32 v99, 31, v119
	v_and_b32_sdwa v86, v86, v60 dst_sel:DWORD dst_unused:UNUSED_PAD src0_sel:BYTE_3 src1_sel:DWORD
	v_cndmask_b32_e32 v87, 3, v87, vcc_lo
	v_lshlrev_b32_e32 v99, 2, v99
	v_or_b32_e32 v118, v119, v87
	v_and_b32_e32 v87, 3, v87
	v_cmp_ne_u32_e32 vcc_lo, 0, v118
	v_or3_b32 v86, v99, v86, v87
	v_cndmask_b32_e32 v99, 0, v86, vcc_lo
.LBB6_2650:                             ;   in Loop: Header=BB6_2291 Depth=4
	s_or_b32 exec_lo, exec_lo, s72
.LBB6_2651:                             ;   in Loop: Header=BB6_2291 Depth=4
	s_or_b32 exec_lo, exec_lo, s63
	v_cmp_gt_i16_sdwa s63, v115, v59 src0_sel:BYTE_0 src1_sel:DWORD
	s_mov_b32 s16, 0
	s_and_saveexec_b32 s72, s63
	s_xor_b32 s63, exec_lo, s72
	s_cbranch_execz .LBB6_3001
; %bb.2652:                             ;   in Loop: Header=BB6_2291 Depth=4
	v_cmp_eq_u16_sdwa s73, v115, v60 src0_sel:BYTE_0 src1_sel:DWORD
	s_mov_b32 s16, -1
	s_and_saveexec_b32 s72, s73
; %bb.2653:                             ;   in Loop: Header=BB6_2291 Depth=4
	s_xor_b32 s16, exec_lo, -1
; %bb.2654:                             ;   in Loop: Header=BB6_2291 Depth=4
	s_or_b32 exec_lo, exec_lo, s72
	s_and_b32 s16, s16, exec_lo
	s_or_saveexec_b32 s63, s63
	v_mov_b32_e32 v86, 0x7f800001
	s_xor_b32 exec_lo, exec_lo, s63
	s_cbranch_execnz .LBB6_3002
.LBB6_2655:                             ;   in Loop: Header=BB6_2291 Depth=4
	s_or_b32 exec_lo, exec_lo, s63
	s_and_saveexec_b32 s63, s16
	s_cbranch_execz .LBB6_2657
.LBB6_2656:                             ;   in Loop: Header=BB6_2291 Depth=4
	v_and_b32_e32 v86, 3, v115
	v_lshrrev_b16 v118, 2, v115
	v_ffbh_u32_e32 v87, v86
	v_and_b32_e32 v118, 31, v118
	v_min_u32_e32 v87, 32, v87
	v_cmp_eq_u32_e32 vcc_lo, 0, v118
	v_subrev_nc_u32_e32 v119, 29, v87
	v_sub_nc_u32_e32 v87, 30, v87
	v_lshlrev_b32_e32 v119, v119, v115
	v_lshlrev_b32_e32 v115, 24, v115
	v_cndmask_b32_e32 v87, v118, v87, vcc_lo
	v_and_b32_e32 v119, 3, v119
	v_and_b32_e32 v115, 0x80000000, v115
	v_lshl_add_u32 v87, v87, 23, 0x37800000
	v_cndmask_b32_e32 v86, v86, v119, vcc_lo
	v_lshlrev_b32_e32 v86, 21, v86
	v_or3_b32 v86, v115, v87, v86
.LBB6_2657:                             ;   in Loop: Header=BB6_2291 Depth=4
	s_or_b32 exec_lo, exec_lo, s63
	s_waitcnt vmcnt(13) lgkmcnt(13)
	v_cmp_gt_i16_sdwa s63, v116, v59 src0_sel:BYTE_0 src1_sel:DWORD
	s_mov_b32 s16, 0
	s_and_saveexec_b32 s72, s63
	s_xor_b32 s63, exec_lo, s72
	s_cbranch_execz .LBB6_3003
; %bb.2658:                             ;   in Loop: Header=BB6_2291 Depth=4
	v_cmp_eq_u16_sdwa s73, v116, v60 src0_sel:BYTE_0 src1_sel:DWORD
	s_mov_b32 s16, -1
	s_and_saveexec_b32 s72, s73
; %bb.2659:                             ;   in Loop: Header=BB6_2291 Depth=4
	s_xor_b32 s16, exec_lo, -1
; %bb.2660:                             ;   in Loop: Header=BB6_2291 Depth=4
	s_or_b32 exec_lo, exec_lo, s72
	s_and_b32 s16, s16, exec_lo
	s_or_saveexec_b32 s63, s63
	v_mov_b32_e32 v87, 0x7f800001
	s_xor_b32 exec_lo, exec_lo, s63
	s_cbranch_execnz .LBB6_3004
.LBB6_2661:                             ;   in Loop: Header=BB6_2291 Depth=4
	s_or_b32 exec_lo, exec_lo, s63
	s_and_saveexec_b32 s63, s16
	s_cbranch_execz .LBB6_2663
.LBB6_2662:                             ;   in Loop: Header=BB6_2291 Depth=4
	v_and_b32_e32 v87, 3, v116
	v_lshrrev_b16 v118, 2, v116
	v_ffbh_u32_e32 v115, v87
	v_and_b32_e32 v118, 31, v118
	v_min_u32_e32 v115, 32, v115
	v_cmp_eq_u32_e32 vcc_lo, 0, v118
	v_subrev_nc_u32_e32 v119, 29, v115
	v_sub_nc_u32_e32 v115, 30, v115
	v_lshlrev_b32_e32 v119, v119, v116
	v_lshlrev_b32_e32 v116, 24, v116
	v_cndmask_b32_e32 v115, v118, v115, vcc_lo
	v_and_b32_e32 v119, 3, v119
	v_and_b32_e32 v116, 0x80000000, v116
	v_lshl_add_u32 v115, v115, 23, 0x37800000
	v_cndmask_b32_e32 v87, v87, v119, vcc_lo
	v_lshlrev_b32_e32 v87, 21, v87
	v_or3_b32 v87, v116, v115, v87
.LBB6_2663:                             ;   in Loop: Header=BB6_2291 Depth=4
	s_or_b32 exec_lo, exec_lo, s63
	v_mul_f32_e32 v86, v86, v87
	v_mov_b32_e32 v115, 0x80
	s_mov_b32 s63, exec_lo
	v_and_b32_e32 v87, 0x7f800000, v86
	v_cmpx_ne_u32_e32 0x7f800000, v87
	s_cbranch_execz .LBB6_2671
; %bb.2664:                             ;   in Loop: Header=BB6_2291 Depth=4
	v_mov_b32_e32 v115, 0
	s_mov_b32 s72, exec_lo
	v_cmpx_ne_u32_e32 0, v86
	s_cbranch_execz .LBB6_2670
; %bb.2665:                             ;   in Loop: Header=BB6_2291 Depth=4
	v_bfe_u32 v115, v86, 23, 8
	v_and_b32_e32 v87, 0x7fffff, v86
	v_cmp_gt_u32_e64 s16, 0x71, v115
	v_sub_nc_u32_e32 v116, 0x70, v115
	v_cmp_eq_u32_e32 vcc_lo, 0, v115
	v_or_b32_e32 v118, 0x800000, v87
	v_cndmask_b32_e64 v116, 0, v116, s16
	v_cndmask_b32_e32 v87, v118, v87, vcc_lo
	v_cndmask_b32_e64 v116, v116, 0x6f, vcc_lo
	v_lshl_add_u32 v118, 0x200000, v116, -1
	v_lshlrev_b32_e64 v119, v116, 0x100000
	v_and_b32_e32 v118, v118, v87
	v_cmp_eq_u32_e64 s16, v118, v119
	v_lshrrev_b32_e32 v118, v116, v87
	v_add_nc_u32_e32 v87, 0xffffff91, v115
	v_lshrrev_b32_e32 v115, 23, v118
	v_cndmask_b32_e64 v87, v87, 0xffffff92, vcc_lo
	v_xor_b32_e32 v115, 1, v115
	v_add_nc_u32_e32 v87, v116, v87
	v_bfe_u32 v116, v118, 21, 1
	v_add_nc_u32_e32 v116, -1, v116
	v_cndmask_b32_e64 v116, 0, v116, s16
	s_mov_b32 s16, exec_lo
	v_add_nc_u32_e32 v116, v116, v118
	v_and_b32_e32 v116, 0x1fffff, v116
	v_add_nc_u32_e32 v116, v116, v118
                                        ; implicit-def: $vgpr118
	v_cmpx_ne_u32_e64 v87, v115
	s_xor_b32 s16, exec_lo, s16
; %bb.2666:                             ;   in Loop: Header=BB6_2291 Depth=4
	v_cmp_lt_u32_e32 vcc_lo, 0xffffff, v116
	v_sub_nc_u32_e32 v87, v87, v115
	v_cndmask_b32_e64 v115, 0, 1, vcc_lo
	v_add_co_ci_u32_e64 v118, null, 0, v87, vcc_lo
	v_lshrrev_b32_e32 v116, v115, v116
; %bb.2667:                             ;   in Loop: Header=BB6_2291 Depth=4
	s_andn2_saveexec_b32 s16, s16
; %bb.2668:                             ;   in Loop: Header=BB6_2291 Depth=4
	v_bfe_u32 v118, v116, 23, 1
; %bb.2669:                             ;   in Loop: Header=BB6_2291 Depth=4
	s_or_b32 exec_lo, exec_lo, s16
	v_lshrrev_b32_e32 v87, 21, v116
	v_cmp_gt_i32_e32 vcc_lo, 32, v118
	v_min_i32_e32 v115, 31, v118
	v_and_b32_sdwa v86, v86, v60 dst_sel:DWORD dst_unused:UNUSED_PAD src0_sel:BYTE_3 src1_sel:DWORD
	v_cndmask_b32_e32 v87, 3, v87, vcc_lo
	v_lshlrev_b32_e32 v115, 2, v115
	v_or_b32_e32 v116, v118, v87
	v_and_b32_e32 v87, 3, v87
	v_cmp_ne_u32_e32 vcc_lo, 0, v116
	v_or3_b32 v86, v115, v86, v87
	v_cndmask_b32_e32 v115, 0, v86, vcc_lo
.LBB6_2670:                             ;   in Loop: Header=BB6_2291 Depth=4
	s_or_b32 exec_lo, exec_lo, s72
.LBB6_2671:                             ;   in Loop: Header=BB6_2291 Depth=4
	s_or_b32 exec_lo, exec_lo, s63
	v_cmp_gt_i16_sdwa s63, v112, v59 src0_sel:BYTE_0 src1_sel:DWORD
	s_mov_b32 s16, 0
	s_and_saveexec_b32 s72, s63
	s_xor_b32 s63, exec_lo, s72
	s_cbranch_execz .LBB6_3005
; %bb.2672:                             ;   in Loop: Header=BB6_2291 Depth=4
	v_cmp_eq_u16_sdwa s73, v112, v60 src0_sel:BYTE_0 src1_sel:DWORD
	s_mov_b32 s16, -1
	s_and_saveexec_b32 s72, s73
; %bb.2673:                             ;   in Loop: Header=BB6_2291 Depth=4
	s_xor_b32 s16, exec_lo, -1
; %bb.2674:                             ;   in Loop: Header=BB6_2291 Depth=4
	s_or_b32 exec_lo, exec_lo, s72
	s_and_b32 s16, s16, exec_lo
	s_or_saveexec_b32 s63, s63
	v_mov_b32_e32 v86, 0x7f800001
	s_xor_b32 exec_lo, exec_lo, s63
	s_cbranch_execnz .LBB6_3006
.LBB6_2675:                             ;   in Loop: Header=BB6_2291 Depth=4
	s_or_b32 exec_lo, exec_lo, s63
	s_and_saveexec_b32 s63, s16
	s_cbranch_execz .LBB6_2677
.LBB6_2676:                             ;   in Loop: Header=BB6_2291 Depth=4
	v_and_b32_e32 v86, 3, v112
	v_lshrrev_b16 v116, 2, v112
	v_ffbh_u32_e32 v87, v86
	v_and_b32_e32 v116, 31, v116
	v_min_u32_e32 v87, 32, v87
	v_cmp_eq_u32_e32 vcc_lo, 0, v116
	v_subrev_nc_u32_e32 v118, 29, v87
	v_sub_nc_u32_e32 v87, 30, v87
	v_lshlrev_b32_e32 v118, v118, v112
	v_lshlrev_b32_e32 v112, 24, v112
	v_cndmask_b32_e32 v87, v116, v87, vcc_lo
	v_and_b32_e32 v118, 3, v118
	v_and_b32_e32 v112, 0x80000000, v112
	v_lshl_add_u32 v87, v87, 23, 0x37800000
	v_cndmask_b32_e32 v86, v86, v118, vcc_lo
	v_lshlrev_b32_e32 v86, 21, v86
	v_or3_b32 v86, v112, v87, v86
.LBB6_2677:                             ;   in Loop: Header=BB6_2291 Depth=4
	s_or_b32 exec_lo, exec_lo, s63
	s_waitcnt vmcnt(12) lgkmcnt(12)
	v_cmp_gt_i16_sdwa s63, v113, v59 src0_sel:BYTE_0 src1_sel:DWORD
	s_mov_b32 s16, 0
	s_and_saveexec_b32 s72, s63
	s_xor_b32 s63, exec_lo, s72
	s_cbranch_execz .LBB6_3007
; %bb.2678:                             ;   in Loop: Header=BB6_2291 Depth=4
	v_cmp_eq_u16_sdwa s73, v113, v60 src0_sel:BYTE_0 src1_sel:DWORD
	s_mov_b32 s16, -1
	s_and_saveexec_b32 s72, s73
; %bb.2679:                             ;   in Loop: Header=BB6_2291 Depth=4
	s_xor_b32 s16, exec_lo, -1
; %bb.2680:                             ;   in Loop: Header=BB6_2291 Depth=4
	s_or_b32 exec_lo, exec_lo, s72
	s_and_b32 s16, s16, exec_lo
	s_or_saveexec_b32 s63, s63
	v_mov_b32_e32 v87, 0x7f800001
	s_xor_b32 exec_lo, exec_lo, s63
	s_cbranch_execnz .LBB6_3008
.LBB6_2681:                             ;   in Loop: Header=BB6_2291 Depth=4
	s_or_b32 exec_lo, exec_lo, s63
	s_and_saveexec_b32 s63, s16
	s_cbranch_execz .LBB6_2683
.LBB6_2682:                             ;   in Loop: Header=BB6_2291 Depth=4
	v_and_b32_e32 v87, 3, v113
	v_lshrrev_b16 v116, 2, v113
	v_ffbh_u32_e32 v112, v87
	v_and_b32_e32 v116, 31, v116
	v_min_u32_e32 v112, 32, v112
	v_cmp_eq_u32_e32 vcc_lo, 0, v116
	v_subrev_nc_u32_e32 v118, 29, v112
	v_sub_nc_u32_e32 v112, 30, v112
	v_lshlrev_b32_e32 v118, v118, v113
	v_lshlrev_b32_e32 v113, 24, v113
	v_cndmask_b32_e32 v112, v116, v112, vcc_lo
	v_and_b32_e32 v118, 3, v118
	v_and_b32_e32 v113, 0x80000000, v113
	v_lshl_add_u32 v112, v112, 23, 0x37800000
	v_cndmask_b32_e32 v87, v87, v118, vcc_lo
	v_lshlrev_b32_e32 v87, 21, v87
	v_or3_b32 v87, v113, v112, v87
.LBB6_2683:                             ;   in Loop: Header=BB6_2291 Depth=4
	s_or_b32 exec_lo, exec_lo, s63
	v_mul_f32_e32 v86, v86, v87
	v_mov_b32_e32 v112, 0x80
	s_mov_b32 s63, exec_lo
	v_and_b32_e32 v87, 0x7f800000, v86
	v_cmpx_ne_u32_e32 0x7f800000, v87
	s_cbranch_execz .LBB6_2691
; %bb.2684:                             ;   in Loop: Header=BB6_2291 Depth=4
	v_mov_b32_e32 v112, 0
	s_mov_b32 s72, exec_lo
	v_cmpx_ne_u32_e32 0, v86
	s_cbranch_execz .LBB6_2690
; %bb.2685:                             ;   in Loop: Header=BB6_2291 Depth=4
	v_bfe_u32 v112, v86, 23, 8
	v_and_b32_e32 v87, 0x7fffff, v86
	v_cmp_gt_u32_e64 s16, 0x71, v112
	v_sub_nc_u32_e32 v113, 0x70, v112
	v_cmp_eq_u32_e32 vcc_lo, 0, v112
	v_or_b32_e32 v116, 0x800000, v87
	v_cndmask_b32_e64 v113, 0, v113, s16
	v_cndmask_b32_e32 v87, v116, v87, vcc_lo
	v_cndmask_b32_e64 v113, v113, 0x6f, vcc_lo
	v_lshl_add_u32 v116, 0x200000, v113, -1
	v_lshlrev_b32_e64 v118, v113, 0x100000
	v_and_b32_e32 v116, v116, v87
	v_cmp_eq_u32_e64 s16, v116, v118
	v_lshrrev_b32_e32 v116, v113, v87
	v_add_nc_u32_e32 v87, 0xffffff91, v112
	v_lshrrev_b32_e32 v112, 23, v116
	v_cndmask_b32_e64 v87, v87, 0xffffff92, vcc_lo
	v_xor_b32_e32 v112, 1, v112
	v_add_nc_u32_e32 v87, v113, v87
	v_bfe_u32 v113, v116, 21, 1
	v_add_nc_u32_e32 v113, -1, v113
	v_cndmask_b32_e64 v113, 0, v113, s16
	s_mov_b32 s16, exec_lo
	v_add_nc_u32_e32 v113, v113, v116
	v_and_b32_e32 v113, 0x1fffff, v113
	v_add_nc_u32_e32 v113, v113, v116
                                        ; implicit-def: $vgpr116
	v_cmpx_ne_u32_e64 v87, v112
	s_xor_b32 s16, exec_lo, s16
; %bb.2686:                             ;   in Loop: Header=BB6_2291 Depth=4
	v_cmp_lt_u32_e32 vcc_lo, 0xffffff, v113
	v_sub_nc_u32_e32 v87, v87, v112
	v_cndmask_b32_e64 v112, 0, 1, vcc_lo
	v_add_co_ci_u32_e64 v116, null, 0, v87, vcc_lo
	v_lshrrev_b32_e32 v113, v112, v113
; %bb.2687:                             ;   in Loop: Header=BB6_2291 Depth=4
	s_andn2_saveexec_b32 s16, s16
; %bb.2688:                             ;   in Loop: Header=BB6_2291 Depth=4
	v_bfe_u32 v116, v113, 23, 1
; %bb.2689:                             ;   in Loop: Header=BB6_2291 Depth=4
	s_or_b32 exec_lo, exec_lo, s16
	v_lshrrev_b32_e32 v87, 21, v113
	v_cmp_gt_i32_e32 vcc_lo, 32, v116
	v_min_i32_e32 v112, 31, v116
	v_and_b32_sdwa v86, v86, v60 dst_sel:DWORD dst_unused:UNUSED_PAD src0_sel:BYTE_3 src1_sel:DWORD
	v_cndmask_b32_e32 v87, 3, v87, vcc_lo
	v_lshlrev_b32_e32 v112, 2, v112
	v_or_b32_e32 v113, v116, v87
	v_and_b32_e32 v87, 3, v87
	v_cmp_ne_u32_e32 vcc_lo, 0, v113
	v_or3_b32 v86, v112, v86, v87
	v_cndmask_b32_e32 v112, 0, v86, vcc_lo
.LBB6_2690:                             ;   in Loop: Header=BB6_2291 Depth=4
	s_or_b32 exec_lo, exec_lo, s72
.LBB6_2691:                             ;   in Loop: Header=BB6_2291 Depth=4
	s_or_b32 exec_lo, exec_lo, s63
	v_cmp_gt_i16_sdwa s63, v84, v59 src0_sel:BYTE_0 src1_sel:DWORD
	s_mov_b32 s16, 0
	s_and_saveexec_b32 s72, s63
	s_xor_b32 s63, exec_lo, s72
	s_cbranch_execz .LBB6_3009
; %bb.2692:                             ;   in Loop: Header=BB6_2291 Depth=4
	v_cmp_eq_u16_sdwa s73, v84, v60 src0_sel:BYTE_0 src1_sel:DWORD
	s_mov_b32 s16, -1
	s_and_saveexec_b32 s72, s73
; %bb.2693:                             ;   in Loop: Header=BB6_2291 Depth=4
	s_xor_b32 s16, exec_lo, -1
; %bb.2694:                             ;   in Loop: Header=BB6_2291 Depth=4
	s_or_b32 exec_lo, exec_lo, s72
	s_and_b32 s16, s16, exec_lo
	s_or_saveexec_b32 s63, s63
	v_mov_b32_e32 v86, 0x7f800001
	s_xor_b32 exec_lo, exec_lo, s63
	s_cbranch_execnz .LBB6_3010
.LBB6_2695:                             ;   in Loop: Header=BB6_2291 Depth=4
	s_or_b32 exec_lo, exec_lo, s63
	s_and_saveexec_b32 s63, s16
	s_cbranch_execz .LBB6_2697
.LBB6_2696:                             ;   in Loop: Header=BB6_2291 Depth=4
	v_and_b32_e32 v86, 3, v84
	v_lshrrev_b16 v113, 2, v84
	v_ffbh_u32_e32 v87, v86
	v_and_b32_e32 v113, 31, v113
	v_min_u32_e32 v87, 32, v87
	v_cmp_eq_u32_e32 vcc_lo, 0, v113
	v_subrev_nc_u32_e32 v116, 29, v87
	v_sub_nc_u32_e32 v87, 30, v87
	v_lshlrev_b32_e32 v116, v116, v84
	v_lshlrev_b32_e32 v84, 24, v84
	v_cndmask_b32_e32 v87, v113, v87, vcc_lo
	v_and_b32_e32 v116, 3, v116
	v_and_b32_e32 v84, 0x80000000, v84
	v_lshl_add_u32 v87, v87, 23, 0x37800000
	v_cndmask_b32_e32 v86, v86, v116, vcc_lo
	v_lshlrev_b32_e32 v86, 21, v86
	v_or3_b32 v86, v84, v87, v86
.LBB6_2697:                             ;   in Loop: Header=BB6_2291 Depth=4
	s_or_b32 exec_lo, exec_lo, s63
	s_waitcnt vmcnt(11) lgkmcnt(11)
	v_cmp_gt_i16_sdwa s63, v85, v59 src0_sel:BYTE_0 src1_sel:DWORD
	s_mov_b32 s16, 0
	s_and_saveexec_b32 s72, s63
	s_xor_b32 s63, exec_lo, s72
	s_cbranch_execz .LBB6_3011
; %bb.2698:                             ;   in Loop: Header=BB6_2291 Depth=4
	v_cmp_eq_u16_sdwa s73, v85, v60 src0_sel:BYTE_0 src1_sel:DWORD
	s_mov_b32 s16, -1
	s_and_saveexec_b32 s72, s73
; %bb.2699:                             ;   in Loop: Header=BB6_2291 Depth=4
	s_xor_b32 s16, exec_lo, -1
; %bb.2700:                             ;   in Loop: Header=BB6_2291 Depth=4
	s_or_b32 exec_lo, exec_lo, s72
	s_and_b32 s16, s16, exec_lo
	s_or_saveexec_b32 s63, s63
	v_mov_b32_e32 v84, 0x7f800001
	s_xor_b32 exec_lo, exec_lo, s63
	s_cbranch_execnz .LBB6_3012
.LBB6_2701:                             ;   in Loop: Header=BB6_2291 Depth=4
	s_or_b32 exec_lo, exec_lo, s63
	s_and_saveexec_b32 s63, s16
	s_cbranch_execz .LBB6_2703
.LBB6_2702:                             ;   in Loop: Header=BB6_2291 Depth=4
	v_and_b32_e32 v84, 3, v85
	v_lshrrev_b16 v113, 2, v85
	v_ffbh_u32_e32 v87, v84
	v_and_b32_e32 v113, 31, v113
	v_min_u32_e32 v87, 32, v87
	v_cmp_eq_u32_e32 vcc_lo, 0, v113
	v_subrev_nc_u32_e32 v116, 29, v87
	v_sub_nc_u32_e32 v87, 30, v87
	v_lshlrev_b32_e32 v116, v116, v85
	v_lshlrev_b32_e32 v85, 24, v85
	v_cndmask_b32_e32 v87, v113, v87, vcc_lo
	v_and_b32_e32 v116, 3, v116
	v_and_b32_e32 v85, 0x80000000, v85
	v_lshl_add_u32 v87, v87, 23, 0x37800000
	v_cndmask_b32_e32 v84, v84, v116, vcc_lo
	v_lshlrev_b32_e32 v84, 21, v84
	v_or3_b32 v84, v85, v87, v84
.LBB6_2703:                             ;   in Loop: Header=BB6_2291 Depth=4
	s_or_b32 exec_lo, exec_lo, s63
	v_mul_f32_e32 v85, v86, v84
	v_and_b32_e32 v84, 0x7f800000, v85
	v_cmp_ne_u32_e32 vcc_lo, 0x7f800000, v84
	v_mov_b32_e32 v84, 0x80
	s_and_saveexec_b32 s63, vcc_lo
	s_cbranch_execz .LBB6_2711
; %bb.2704:                             ;   in Loop: Header=BB6_2291 Depth=4
	v_mov_b32_e32 v84, 0
	s_mov_b32 s72, exec_lo
	v_cmpx_ne_u32_e32 0, v85
	s_cbranch_execz .LBB6_2710
; %bb.2705:                             ;   in Loop: Header=BB6_2291 Depth=4
	v_bfe_u32 v86, v85, 23, 8
	v_and_b32_e32 v84, 0x7fffff, v85
	v_cmp_gt_u32_e64 s16, 0x71, v86
	v_sub_nc_u32_e32 v87, 0x70, v86
	v_cmp_eq_u32_e32 vcc_lo, 0, v86
	v_or_b32_e32 v113, 0x800000, v84
	v_cndmask_b32_e64 v87, 0, v87, s16
	v_cndmask_b32_e32 v84, v113, v84, vcc_lo
	v_cndmask_b32_e64 v87, v87, 0x6f, vcc_lo
	v_lshl_add_u32 v113, 0x200000, v87, -1
	v_lshlrev_b32_e64 v116, v87, 0x100000
	v_and_b32_e32 v113, v113, v84
	v_cmp_eq_u32_e64 s16, v113, v116
	v_lshrrev_b32_e32 v113, v87, v84
	v_add_nc_u32_e32 v84, 0xffffff91, v86
	v_lshrrev_b32_e32 v86, 23, v113
	v_cndmask_b32_e64 v84, v84, 0xffffff92, vcc_lo
	v_xor_b32_e32 v86, 1, v86
	v_add_nc_u32_e32 v84, v87, v84
	v_bfe_u32 v87, v113, 21, 1
	v_add_nc_u32_e32 v87, -1, v87
	v_cndmask_b32_e64 v87, 0, v87, s16
	s_mov_b32 s16, exec_lo
	v_add_nc_u32_e32 v87, v87, v113
	v_and_b32_e32 v87, 0x1fffff, v87
	v_add_nc_u32_e32 v87, v87, v113
                                        ; implicit-def: $vgpr113
	v_cmpx_ne_u32_e64 v84, v86
	s_xor_b32 s16, exec_lo, s16
; %bb.2706:                             ;   in Loop: Header=BB6_2291 Depth=4
	v_cmp_lt_u32_e32 vcc_lo, 0xffffff, v87
	v_sub_nc_u32_e32 v84, v84, v86
	v_cndmask_b32_e64 v86, 0, 1, vcc_lo
	v_add_co_ci_u32_e64 v113, null, 0, v84, vcc_lo
	v_lshrrev_b32_e32 v87, v86, v87
; %bb.2707:                             ;   in Loop: Header=BB6_2291 Depth=4
	s_andn2_saveexec_b32 s16, s16
; %bb.2708:                             ;   in Loop: Header=BB6_2291 Depth=4
	v_bfe_u32 v113, v87, 23, 1
; %bb.2709:                             ;   in Loop: Header=BB6_2291 Depth=4
	s_or_b32 exec_lo, exec_lo, s16
	v_and_b32_sdwa v84, v85, v60 dst_sel:DWORD dst_unused:UNUSED_PAD src0_sel:BYTE_3 src1_sel:DWORD
	v_lshrrev_b32_e32 v85, 21, v87
	v_cmp_gt_i32_e32 vcc_lo, 32, v113
	v_min_i32_e32 v86, 31, v113
	v_cndmask_b32_e32 v85, 3, v85, vcc_lo
	v_lshlrev_b32_e32 v86, 2, v86
	v_or_b32_e32 v87, v113, v85
	v_and_b32_e32 v85, 3, v85
	v_cmp_ne_u32_e32 vcc_lo, 0, v87
	v_or3_b32 v84, v86, v84, v85
	v_cndmask_b32_e32 v84, 0, v84, vcc_lo
.LBB6_2710:                             ;   in Loop: Header=BB6_2291 Depth=4
	s_or_b32 exec_lo, exec_lo, s72
.LBB6_2711:                             ;   in Loop: Header=BB6_2291 Depth=4
	s_or_b32 exec_lo, exec_lo, s63
	v_cmp_gt_i16_sdwa s63, v55, v59 src0_sel:BYTE_0 src1_sel:DWORD
	s_mov_b32 s16, 0
	s_and_saveexec_b32 s72, s63
	s_xor_b32 s63, exec_lo, s72
	s_cbranch_execz .LBB6_3013
; %bb.2712:                             ;   in Loop: Header=BB6_2291 Depth=4
	v_cmp_eq_u16_sdwa s73, v55, v60 src0_sel:BYTE_0 src1_sel:DWORD
	s_mov_b32 s16, -1
	s_and_saveexec_b32 s72, s73
; %bb.2713:                             ;   in Loop: Header=BB6_2291 Depth=4
	s_xor_b32 s16, exec_lo, -1
; %bb.2714:                             ;   in Loop: Header=BB6_2291 Depth=4
	s_or_b32 exec_lo, exec_lo, s72
	s_and_b32 s16, s16, exec_lo
	s_or_saveexec_b32 s63, s63
	v_mov_b32_e32 v85, 0x7f800001
	s_xor_b32 exec_lo, exec_lo, s63
	s_cbranch_execnz .LBB6_3014
.LBB6_2715:                             ;   in Loop: Header=BB6_2291 Depth=4
	s_or_b32 exec_lo, exec_lo, s63
	s_and_saveexec_b32 s63, s16
	s_cbranch_execz .LBB6_2717
.LBB6_2716:                             ;   in Loop: Header=BB6_2291 Depth=4
	v_and_b32_e32 v85, 3, v55
	v_lshrrev_b16 v87, 2, v55
	v_ffbh_u32_e32 v86, v85
	v_and_b32_e32 v87, 31, v87
	v_min_u32_e32 v86, 32, v86
	v_cmp_eq_u32_e32 vcc_lo, 0, v87
	v_subrev_nc_u32_e32 v113, 29, v86
	v_sub_nc_u32_e32 v86, 30, v86
	v_lshlrev_b32_e32 v113, v113, v55
	v_lshlrev_b32_e32 v55, 24, v55
	v_cndmask_b32_e32 v86, v87, v86, vcc_lo
	v_and_b32_e32 v113, 3, v113
	v_and_b32_e32 v55, 0x80000000, v55
	v_lshl_add_u32 v86, v86, 23, 0x37800000
	v_cndmask_b32_e32 v85, v85, v113, vcc_lo
	v_lshlrev_b32_e32 v85, 21, v85
	v_or3_b32 v85, v55, v86, v85
.LBB6_2717:                             ;   in Loop: Header=BB6_2291 Depth=4
	s_or_b32 exec_lo, exec_lo, s63
	s_waitcnt vmcnt(10) lgkmcnt(10)
	v_cmp_gt_i16_sdwa s63, v82, v59 src0_sel:BYTE_0 src1_sel:DWORD
	s_mov_b32 s16, 0
	s_and_saveexec_b32 s72, s63
	s_xor_b32 s63, exec_lo, s72
	s_cbranch_execz .LBB6_3015
; %bb.2718:                             ;   in Loop: Header=BB6_2291 Depth=4
	v_cmp_eq_u16_sdwa s73, v82, v60 src0_sel:BYTE_0 src1_sel:DWORD
	s_mov_b32 s16, -1
	s_and_saveexec_b32 s72, s73
; %bb.2719:                             ;   in Loop: Header=BB6_2291 Depth=4
	s_xor_b32 s16, exec_lo, -1
; %bb.2720:                             ;   in Loop: Header=BB6_2291 Depth=4
	s_or_b32 exec_lo, exec_lo, s72
	s_and_b32 s16, s16, exec_lo
	s_or_saveexec_b32 s63, s63
	v_mov_b32_e32 v55, 0x7f800001
	s_xor_b32 exec_lo, exec_lo, s63
	s_cbranch_execnz .LBB6_3016
.LBB6_2721:                             ;   in Loop: Header=BB6_2291 Depth=4
	s_or_b32 exec_lo, exec_lo, s63
	s_and_saveexec_b32 s63, s16
	s_cbranch_execz .LBB6_2723
.LBB6_2722:                             ;   in Loop: Header=BB6_2291 Depth=4
	v_and_b32_e32 v55, 3, v82
	v_lshrrev_b16 v87, 2, v82
	v_ffbh_u32_e32 v86, v55
	v_and_b32_e32 v87, 31, v87
	v_min_u32_e32 v86, 32, v86
	v_cmp_eq_u32_e32 vcc_lo, 0, v87
	v_subrev_nc_u32_e32 v113, 29, v86
	v_sub_nc_u32_e32 v86, 30, v86
	v_lshlrev_b32_e32 v113, v113, v82
	v_lshlrev_b32_e32 v82, 24, v82
	v_cndmask_b32_e32 v86, v87, v86, vcc_lo
	v_and_b32_e32 v113, 3, v113
	v_and_b32_e32 v82, 0x80000000, v82
	v_lshl_add_u32 v86, v86, 23, 0x37800000
	v_cndmask_b32_e32 v55, v55, v113, vcc_lo
	v_lshlrev_b32_e32 v55, 21, v55
	v_or3_b32 v55, v82, v86, v55
.LBB6_2723:                             ;   in Loop: Header=BB6_2291 Depth=4
	s_or_b32 exec_lo, exec_lo, s63
	v_mul_f32_e32 v82, v85, v55
	v_and_b32_e32 v55, 0x7f800000, v82
	v_cmp_ne_u32_e32 vcc_lo, 0x7f800000, v55
	v_mov_b32_e32 v55, 0x80
	s_and_saveexec_b32 s63, vcc_lo
	s_cbranch_execz .LBB6_2731
; %bb.2724:                             ;   in Loop: Header=BB6_2291 Depth=4
	v_mov_b32_e32 v55, 0
	s_mov_b32 s72, exec_lo
	v_cmpx_ne_u32_e32 0, v82
	s_cbranch_execz .LBB6_2730
; %bb.2725:                             ;   in Loop: Header=BB6_2291 Depth=4
	v_bfe_u32 v85, v82, 23, 8
	v_and_b32_e32 v55, 0x7fffff, v82
	v_cmp_gt_u32_e64 s16, 0x71, v85
	v_sub_nc_u32_e32 v86, 0x70, v85
	v_cmp_eq_u32_e32 vcc_lo, 0, v85
	v_or_b32_e32 v87, 0x800000, v55
	v_cndmask_b32_e64 v86, 0, v86, s16
	v_cndmask_b32_e32 v55, v87, v55, vcc_lo
	v_cndmask_b32_e64 v86, v86, 0x6f, vcc_lo
	v_lshl_add_u32 v87, 0x200000, v86, -1
	v_lshlrev_b32_e64 v113, v86, 0x100000
	v_and_b32_e32 v87, v87, v55
	v_cmp_eq_u32_e64 s16, v87, v113
	v_lshrrev_b32_e32 v87, v86, v55
	v_add_nc_u32_e32 v55, 0xffffff91, v85
	v_lshrrev_b32_e32 v85, 23, v87
	v_cndmask_b32_e64 v55, v55, 0xffffff92, vcc_lo
	v_xor_b32_e32 v85, 1, v85
	v_add_nc_u32_e32 v55, v86, v55
	v_bfe_u32 v86, v87, 21, 1
	v_add_nc_u32_e32 v86, -1, v86
	v_cndmask_b32_e64 v86, 0, v86, s16
	s_mov_b32 s16, exec_lo
	v_add_nc_u32_e32 v86, v86, v87
	v_and_b32_e32 v86, 0x1fffff, v86
	v_add_nc_u32_e32 v86, v86, v87
                                        ; implicit-def: $vgpr87
	v_cmpx_ne_u32_e64 v55, v85
	s_xor_b32 s16, exec_lo, s16
; %bb.2726:                             ;   in Loop: Header=BB6_2291 Depth=4
	v_cmp_lt_u32_e32 vcc_lo, 0xffffff, v86
	v_sub_nc_u32_e32 v55, v55, v85
	v_cndmask_b32_e64 v85, 0, 1, vcc_lo
	v_add_co_ci_u32_e64 v87, null, 0, v55, vcc_lo
	v_lshrrev_b32_e32 v86, v85, v86
; %bb.2727:                             ;   in Loop: Header=BB6_2291 Depth=4
	s_andn2_saveexec_b32 s16, s16
; %bb.2728:                             ;   in Loop: Header=BB6_2291 Depth=4
	v_bfe_u32 v87, v86, 23, 1
; %bb.2729:                             ;   in Loop: Header=BB6_2291 Depth=4
	s_or_b32 exec_lo, exec_lo, s16
	v_and_b32_sdwa v55, v82, v60 dst_sel:DWORD dst_unused:UNUSED_PAD src0_sel:BYTE_3 src1_sel:DWORD
	v_lshrrev_b32_e32 v82, 21, v86
	v_cmp_gt_i32_e32 vcc_lo, 32, v87
	v_min_i32_e32 v85, 31, v87
	v_cndmask_b32_e32 v82, 3, v82, vcc_lo
	v_lshlrev_b32_e32 v85, 2, v85
	v_or_b32_e32 v86, v87, v82
	v_and_b32_e32 v82, 3, v82
	v_cmp_ne_u32_e32 vcc_lo, 0, v86
	v_or3_b32 v55, v85, v55, v82
	v_cndmask_b32_e32 v55, 0, v55, vcc_lo
.LBB6_2730:                             ;   in Loop: Header=BB6_2291 Depth=4
	s_or_b32 exec_lo, exec_lo, s72
.LBB6_2731:                             ;   in Loop: Header=BB6_2291 Depth=4
	s_or_b32 exec_lo, exec_lo, s63
	v_cmp_gt_i16_sdwa s63, v52, v59 src0_sel:BYTE_0 src1_sel:DWORD
	s_mov_b32 s16, 0
	s_and_saveexec_b32 s72, s63
	s_xor_b32 s63, exec_lo, s72
	s_cbranch_execz .LBB6_3017
; %bb.2732:                             ;   in Loop: Header=BB6_2291 Depth=4
	v_cmp_eq_u16_sdwa s73, v52, v60 src0_sel:BYTE_0 src1_sel:DWORD
	s_mov_b32 s16, -1
	s_and_saveexec_b32 s72, s73
; %bb.2733:                             ;   in Loop: Header=BB6_2291 Depth=4
	s_xor_b32 s16, exec_lo, -1
; %bb.2734:                             ;   in Loop: Header=BB6_2291 Depth=4
	s_or_b32 exec_lo, exec_lo, s72
	s_and_b32 s16, s16, exec_lo
	s_or_saveexec_b32 s63, s63
	v_mov_b32_e32 v82, 0x7f800001
	s_xor_b32 exec_lo, exec_lo, s63
	s_cbranch_execnz .LBB6_3018
.LBB6_2735:                             ;   in Loop: Header=BB6_2291 Depth=4
	s_or_b32 exec_lo, exec_lo, s63
	s_and_saveexec_b32 s63, s16
	s_cbranch_execz .LBB6_2737
.LBB6_2736:                             ;   in Loop: Header=BB6_2291 Depth=4
	v_and_b32_e32 v82, 3, v52
	v_lshrrev_b16 v86, 2, v52
	v_ffbh_u32_e32 v85, v82
	v_and_b32_e32 v86, 31, v86
	v_min_u32_e32 v85, 32, v85
	v_cmp_eq_u32_e32 vcc_lo, 0, v86
	v_subrev_nc_u32_e32 v87, 29, v85
	v_sub_nc_u32_e32 v85, 30, v85
	v_lshlrev_b32_e32 v87, v87, v52
	v_lshlrev_b32_e32 v52, 24, v52
	v_cndmask_b32_e32 v85, v86, v85, vcc_lo
	v_and_b32_e32 v87, 3, v87
	v_and_b32_e32 v52, 0x80000000, v52
	v_lshl_add_u32 v85, v85, 23, 0x37800000
	v_cndmask_b32_e32 v82, v82, v87, vcc_lo
	v_lshlrev_b32_e32 v82, 21, v82
	v_or3_b32 v82, v52, v85, v82
.LBB6_2737:                             ;   in Loop: Header=BB6_2291 Depth=4
	s_or_b32 exec_lo, exec_lo, s63
	s_waitcnt vmcnt(9) lgkmcnt(9)
	v_cmp_gt_i16_sdwa s63, v53, v59 src0_sel:BYTE_0 src1_sel:DWORD
	s_mov_b32 s16, 0
	s_and_saveexec_b32 s72, s63
	s_xor_b32 s63, exec_lo, s72
	s_cbranch_execz .LBB6_3019
; %bb.2738:                             ;   in Loop: Header=BB6_2291 Depth=4
	v_cmp_eq_u16_sdwa s73, v53, v60 src0_sel:BYTE_0 src1_sel:DWORD
	s_mov_b32 s16, -1
	s_and_saveexec_b32 s72, s73
; %bb.2739:                             ;   in Loop: Header=BB6_2291 Depth=4
	s_xor_b32 s16, exec_lo, -1
; %bb.2740:                             ;   in Loop: Header=BB6_2291 Depth=4
	s_or_b32 exec_lo, exec_lo, s72
	s_and_b32 s16, s16, exec_lo
	s_or_saveexec_b32 s63, s63
	v_mov_b32_e32 v52, 0x7f800001
	s_xor_b32 exec_lo, exec_lo, s63
	s_cbranch_execnz .LBB6_3020
.LBB6_2741:                             ;   in Loop: Header=BB6_2291 Depth=4
	s_or_b32 exec_lo, exec_lo, s63
	s_and_saveexec_b32 s63, s16
	s_cbranch_execz .LBB6_2743
.LBB6_2742:                             ;   in Loop: Header=BB6_2291 Depth=4
	v_and_b32_e32 v52, 3, v53
	v_lshrrev_b16 v86, 2, v53
	v_ffbh_u32_e32 v85, v52
	v_and_b32_e32 v86, 31, v86
	v_min_u32_e32 v85, 32, v85
	v_cmp_eq_u32_e32 vcc_lo, 0, v86
	v_subrev_nc_u32_e32 v87, 29, v85
	v_sub_nc_u32_e32 v85, 30, v85
	v_lshlrev_b32_e32 v87, v87, v53
	v_lshlrev_b32_e32 v53, 24, v53
	v_cndmask_b32_e32 v85, v86, v85, vcc_lo
	v_and_b32_e32 v87, 3, v87
	v_and_b32_e32 v53, 0x80000000, v53
	v_lshl_add_u32 v85, v85, 23, 0x37800000
	v_cndmask_b32_e32 v52, v52, v87, vcc_lo
	v_lshlrev_b32_e32 v52, 21, v52
	v_or3_b32 v52, v53, v85, v52
.LBB6_2743:                             ;   in Loop: Header=BB6_2291 Depth=4
	s_or_b32 exec_lo, exec_lo, s63
	v_mul_f32_e32 v53, v82, v52
	v_and_b32_e32 v52, 0x7f800000, v53
	v_cmp_ne_u32_e32 vcc_lo, 0x7f800000, v52
	v_mov_b32_e32 v52, 0x80
	s_and_saveexec_b32 s63, vcc_lo
	s_cbranch_execz .LBB6_2751
; %bb.2744:                             ;   in Loop: Header=BB6_2291 Depth=4
	v_mov_b32_e32 v52, 0
	s_mov_b32 s72, exec_lo
	v_cmpx_ne_u32_e32 0, v53
	s_cbranch_execz .LBB6_2750
; %bb.2745:                             ;   in Loop: Header=BB6_2291 Depth=4
	v_bfe_u32 v82, v53, 23, 8
	v_and_b32_e32 v52, 0x7fffff, v53
	v_cmp_gt_u32_e64 s16, 0x71, v82
	v_sub_nc_u32_e32 v85, 0x70, v82
	v_cmp_eq_u32_e32 vcc_lo, 0, v82
	v_or_b32_e32 v86, 0x800000, v52
	v_cndmask_b32_e64 v85, 0, v85, s16
	v_cndmask_b32_e32 v52, v86, v52, vcc_lo
	v_cndmask_b32_e64 v85, v85, 0x6f, vcc_lo
	v_lshl_add_u32 v86, 0x200000, v85, -1
	v_lshlrev_b32_e64 v87, v85, 0x100000
	v_and_b32_e32 v86, v86, v52
	v_cmp_eq_u32_e64 s16, v86, v87
	v_lshrrev_b32_e32 v86, v85, v52
	v_add_nc_u32_e32 v52, 0xffffff91, v82
	v_lshrrev_b32_e32 v82, 23, v86
	v_cndmask_b32_e64 v52, v52, 0xffffff92, vcc_lo
	v_xor_b32_e32 v82, 1, v82
	v_add_nc_u32_e32 v52, v85, v52
	v_bfe_u32 v85, v86, 21, 1
	v_add_nc_u32_e32 v85, -1, v85
	v_cndmask_b32_e64 v85, 0, v85, s16
	s_mov_b32 s16, exec_lo
	v_add_nc_u32_e32 v85, v85, v86
	v_and_b32_e32 v85, 0x1fffff, v85
	v_add_nc_u32_e32 v85, v85, v86
                                        ; implicit-def: $vgpr86
	v_cmpx_ne_u32_e64 v52, v82
	s_xor_b32 s16, exec_lo, s16
; %bb.2746:                             ;   in Loop: Header=BB6_2291 Depth=4
	v_cmp_lt_u32_e32 vcc_lo, 0xffffff, v85
	v_sub_nc_u32_e32 v52, v52, v82
	v_cndmask_b32_e64 v82, 0, 1, vcc_lo
	v_add_co_ci_u32_e64 v86, null, 0, v52, vcc_lo
	v_lshrrev_b32_e32 v85, v82, v85
; %bb.2747:                             ;   in Loop: Header=BB6_2291 Depth=4
	s_andn2_saveexec_b32 s16, s16
; %bb.2748:                             ;   in Loop: Header=BB6_2291 Depth=4
	v_bfe_u32 v86, v85, 23, 1
; %bb.2749:                             ;   in Loop: Header=BB6_2291 Depth=4
	s_or_b32 exec_lo, exec_lo, s16
	v_and_b32_sdwa v52, v53, v60 dst_sel:DWORD dst_unused:UNUSED_PAD src0_sel:BYTE_3 src1_sel:DWORD
	v_lshrrev_b32_e32 v53, 21, v85
	v_cmp_gt_i32_e32 vcc_lo, 32, v86
	v_min_i32_e32 v82, 31, v86
	v_cndmask_b32_e32 v53, 3, v53, vcc_lo
	v_lshlrev_b32_e32 v82, 2, v82
	v_or_b32_e32 v85, v86, v53
	v_and_b32_e32 v53, 3, v53
	v_cmp_ne_u32_e32 vcc_lo, 0, v85
	v_or3_b32 v52, v82, v52, v53
	v_cndmask_b32_e32 v52, 0, v52, vcc_lo
.LBB6_2750:                             ;   in Loop: Header=BB6_2291 Depth=4
	s_or_b32 exec_lo, exec_lo, s72
.LBB6_2751:                             ;   in Loop: Header=BB6_2291 Depth=4
	s_or_b32 exec_lo, exec_lo, s63
	v_cmp_gt_i16_sdwa s63, v49, v59 src0_sel:BYTE_0 src1_sel:DWORD
	s_mov_b32 s16, 0
	s_and_saveexec_b32 s72, s63
	s_xor_b32 s63, exec_lo, s72
	s_cbranch_execz .LBB6_3021
; %bb.2752:                             ;   in Loop: Header=BB6_2291 Depth=4
	v_cmp_eq_u16_sdwa s73, v49, v60 src0_sel:BYTE_0 src1_sel:DWORD
	s_mov_b32 s16, -1
	s_and_saveexec_b32 s72, s73
; %bb.2753:                             ;   in Loop: Header=BB6_2291 Depth=4
	s_xor_b32 s16, exec_lo, -1
; %bb.2754:                             ;   in Loop: Header=BB6_2291 Depth=4
	s_or_b32 exec_lo, exec_lo, s72
	s_and_b32 s16, s16, exec_lo
	s_or_saveexec_b32 s63, s63
	v_mov_b32_e32 v53, 0x7f800001
	s_xor_b32 exec_lo, exec_lo, s63
	s_cbranch_execnz .LBB6_3022
.LBB6_2755:                             ;   in Loop: Header=BB6_2291 Depth=4
	s_or_b32 exec_lo, exec_lo, s63
	s_and_saveexec_b32 s63, s16
	s_cbranch_execz .LBB6_2757
.LBB6_2756:                             ;   in Loop: Header=BB6_2291 Depth=4
	v_and_b32_e32 v53, 3, v49
	v_lshrrev_b16 v85, 2, v49
	v_ffbh_u32_e32 v82, v53
	v_and_b32_e32 v85, 31, v85
	v_min_u32_e32 v82, 32, v82
	v_cmp_eq_u32_e32 vcc_lo, 0, v85
	v_subrev_nc_u32_e32 v86, 29, v82
	v_sub_nc_u32_e32 v82, 30, v82
	v_lshlrev_b32_e32 v86, v86, v49
	v_lshlrev_b32_e32 v49, 24, v49
	v_cndmask_b32_e32 v82, v85, v82, vcc_lo
	v_and_b32_e32 v86, 3, v86
	v_and_b32_e32 v49, 0x80000000, v49
	v_lshl_add_u32 v82, v82, 23, 0x37800000
	v_cndmask_b32_e32 v53, v53, v86, vcc_lo
	v_lshlrev_b32_e32 v53, 21, v53
	v_or3_b32 v53, v49, v82, v53
.LBB6_2757:                             ;   in Loop: Header=BB6_2291 Depth=4
	s_or_b32 exec_lo, exec_lo, s63
	s_waitcnt vmcnt(8) lgkmcnt(8)
	v_cmp_gt_i16_sdwa s63, v50, v59 src0_sel:BYTE_0 src1_sel:DWORD
	s_mov_b32 s16, 0
	s_and_saveexec_b32 s72, s63
	s_xor_b32 s63, exec_lo, s72
	s_cbranch_execz .LBB6_3023
; %bb.2758:                             ;   in Loop: Header=BB6_2291 Depth=4
	v_cmp_eq_u16_sdwa s73, v50, v60 src0_sel:BYTE_0 src1_sel:DWORD
	s_mov_b32 s16, -1
	s_and_saveexec_b32 s72, s73
; %bb.2759:                             ;   in Loop: Header=BB6_2291 Depth=4
	s_xor_b32 s16, exec_lo, -1
; %bb.2760:                             ;   in Loop: Header=BB6_2291 Depth=4
	s_or_b32 exec_lo, exec_lo, s72
	s_and_b32 s16, s16, exec_lo
	s_or_saveexec_b32 s63, s63
	v_mov_b32_e32 v49, 0x7f800001
	s_xor_b32 exec_lo, exec_lo, s63
	s_cbranch_execnz .LBB6_3024
.LBB6_2761:                             ;   in Loop: Header=BB6_2291 Depth=4
	s_or_b32 exec_lo, exec_lo, s63
	s_and_saveexec_b32 s63, s16
	s_cbranch_execz .LBB6_2763
.LBB6_2762:                             ;   in Loop: Header=BB6_2291 Depth=4
	v_and_b32_e32 v49, 3, v50
	v_lshrrev_b16 v85, 2, v50
	v_ffbh_u32_e32 v82, v49
	v_and_b32_e32 v85, 31, v85
	v_min_u32_e32 v82, 32, v82
	v_cmp_eq_u32_e32 vcc_lo, 0, v85
	v_subrev_nc_u32_e32 v86, 29, v82
	v_sub_nc_u32_e32 v82, 30, v82
	v_lshlrev_b32_e32 v86, v86, v50
	v_lshlrev_b32_e32 v50, 24, v50
	v_cndmask_b32_e32 v82, v85, v82, vcc_lo
	v_and_b32_e32 v86, 3, v86
	v_and_b32_e32 v50, 0x80000000, v50
	v_lshl_add_u32 v82, v82, 23, 0x37800000
	v_cndmask_b32_e32 v49, v49, v86, vcc_lo
	v_lshlrev_b32_e32 v49, 21, v49
	v_or3_b32 v49, v50, v82, v49
.LBB6_2763:                             ;   in Loop: Header=BB6_2291 Depth=4
	s_or_b32 exec_lo, exec_lo, s63
	v_mul_f32_e32 v50, v53, v49
	v_and_b32_e32 v49, 0x7f800000, v50
	v_cmp_ne_u32_e32 vcc_lo, 0x7f800000, v49
	v_mov_b32_e32 v49, 0x80
	s_and_saveexec_b32 s63, vcc_lo
	s_cbranch_execz .LBB6_2771
; %bb.2764:                             ;   in Loop: Header=BB6_2291 Depth=4
	v_mov_b32_e32 v49, 0
	s_mov_b32 s72, exec_lo
	v_cmpx_ne_u32_e32 0, v50
	s_cbranch_execz .LBB6_2770
; %bb.2765:                             ;   in Loop: Header=BB6_2291 Depth=4
	v_bfe_u32 v53, v50, 23, 8
	v_and_b32_e32 v49, 0x7fffff, v50
	v_cmp_gt_u32_e64 s16, 0x71, v53
	v_sub_nc_u32_e32 v82, 0x70, v53
	v_cmp_eq_u32_e32 vcc_lo, 0, v53
	v_or_b32_e32 v85, 0x800000, v49
	v_cndmask_b32_e64 v82, 0, v82, s16
	v_cndmask_b32_e32 v49, v85, v49, vcc_lo
	v_cndmask_b32_e64 v82, v82, 0x6f, vcc_lo
	v_lshl_add_u32 v85, 0x200000, v82, -1
	v_lshlrev_b32_e64 v86, v82, 0x100000
	v_and_b32_e32 v85, v85, v49
	v_cmp_eq_u32_e64 s16, v85, v86
	v_lshrrev_b32_e32 v85, v82, v49
	v_add_nc_u32_e32 v49, 0xffffff91, v53
	v_lshrrev_b32_e32 v53, 23, v85
	v_cndmask_b32_e64 v49, v49, 0xffffff92, vcc_lo
	v_xor_b32_e32 v53, 1, v53
	v_add_nc_u32_e32 v49, v82, v49
	v_bfe_u32 v82, v85, 21, 1
	v_add_nc_u32_e32 v82, -1, v82
	v_cndmask_b32_e64 v82, 0, v82, s16
	s_mov_b32 s16, exec_lo
	v_add_nc_u32_e32 v82, v82, v85
	v_and_b32_e32 v82, 0x1fffff, v82
	v_add_nc_u32_e32 v82, v82, v85
                                        ; implicit-def: $vgpr85
	v_cmpx_ne_u32_e64 v49, v53
	s_xor_b32 s16, exec_lo, s16
; %bb.2766:                             ;   in Loop: Header=BB6_2291 Depth=4
	v_cmp_lt_u32_e32 vcc_lo, 0xffffff, v82
	v_sub_nc_u32_e32 v49, v49, v53
	v_cndmask_b32_e64 v53, 0, 1, vcc_lo
	v_add_co_ci_u32_e64 v85, null, 0, v49, vcc_lo
	v_lshrrev_b32_e32 v82, v53, v82
; %bb.2767:                             ;   in Loop: Header=BB6_2291 Depth=4
	s_andn2_saveexec_b32 s16, s16
; %bb.2768:                             ;   in Loop: Header=BB6_2291 Depth=4
	v_bfe_u32 v85, v82, 23, 1
; %bb.2769:                             ;   in Loop: Header=BB6_2291 Depth=4
	s_or_b32 exec_lo, exec_lo, s16
	v_and_b32_sdwa v49, v50, v60 dst_sel:DWORD dst_unused:UNUSED_PAD src0_sel:BYTE_3 src1_sel:DWORD
	v_lshrrev_b32_e32 v50, 21, v82
	v_cmp_gt_i32_e32 vcc_lo, 32, v85
	v_min_i32_e32 v53, 31, v85
	v_cndmask_b32_e32 v50, 3, v50, vcc_lo
	v_lshlrev_b32_e32 v53, 2, v53
	v_or_b32_e32 v82, v85, v50
	v_and_b32_e32 v50, 3, v50
	v_cmp_ne_u32_e32 vcc_lo, 0, v82
	v_or3_b32 v49, v53, v49, v50
	v_cndmask_b32_e32 v49, 0, v49, vcc_lo
.LBB6_2770:                             ;   in Loop: Header=BB6_2291 Depth=4
	s_or_b32 exec_lo, exec_lo, s72
.LBB6_2771:                             ;   in Loop: Header=BB6_2291 Depth=4
	s_or_b32 exec_lo, exec_lo, s63
	v_cmp_gt_i16_sdwa s63, v38, v59 src0_sel:BYTE_0 src1_sel:DWORD
	s_mov_b32 s16, 0
	s_and_saveexec_b32 s72, s63
	s_xor_b32 s63, exec_lo, s72
	s_cbranch_execz .LBB6_3025
; %bb.2772:                             ;   in Loop: Header=BB6_2291 Depth=4
	v_cmp_eq_u16_sdwa s73, v38, v60 src0_sel:BYTE_0 src1_sel:DWORD
	s_mov_b32 s16, -1
	s_and_saveexec_b32 s72, s73
; %bb.2773:                             ;   in Loop: Header=BB6_2291 Depth=4
	s_xor_b32 s16, exec_lo, -1
; %bb.2774:                             ;   in Loop: Header=BB6_2291 Depth=4
	s_or_b32 exec_lo, exec_lo, s72
	s_and_b32 s16, s16, exec_lo
	s_or_saveexec_b32 s63, s63
	v_mov_b32_e32 v50, 0x7f800001
	s_xor_b32 exec_lo, exec_lo, s63
	s_cbranch_execnz .LBB6_3026
.LBB6_2775:                             ;   in Loop: Header=BB6_2291 Depth=4
	s_or_b32 exec_lo, exec_lo, s63
	s_and_saveexec_b32 s63, s16
	s_cbranch_execz .LBB6_2777
.LBB6_2776:                             ;   in Loop: Header=BB6_2291 Depth=4
	v_and_b32_e32 v50, 3, v38
	v_lshrrev_b16 v82, 2, v38
	v_ffbh_u32_e32 v53, v50
	v_and_b32_e32 v82, 31, v82
	v_min_u32_e32 v53, 32, v53
	v_cmp_eq_u32_e32 vcc_lo, 0, v82
	v_subrev_nc_u32_e32 v85, 29, v53
	v_sub_nc_u32_e32 v53, 30, v53
	v_lshlrev_b32_e32 v85, v85, v38
	v_lshlrev_b32_e32 v38, 24, v38
	v_cndmask_b32_e32 v53, v82, v53, vcc_lo
	v_and_b32_e32 v85, 3, v85
	v_and_b32_e32 v38, 0x80000000, v38
	v_lshl_add_u32 v53, v53, 23, 0x37800000
	v_cndmask_b32_e32 v50, v50, v85, vcc_lo
	v_lshlrev_b32_e32 v50, 21, v50
	v_or3_b32 v50, v38, v53, v50
.LBB6_2777:                             ;   in Loop: Header=BB6_2291 Depth=4
	s_or_b32 exec_lo, exec_lo, s63
	s_waitcnt vmcnt(7) lgkmcnt(7)
	v_cmp_gt_i16_sdwa s63, v39, v59 src0_sel:BYTE_0 src1_sel:DWORD
	s_mov_b32 s16, 0
	s_and_saveexec_b32 s72, s63
	s_xor_b32 s63, exec_lo, s72
	s_cbranch_execz .LBB6_3027
; %bb.2778:                             ;   in Loop: Header=BB6_2291 Depth=4
	v_cmp_eq_u16_sdwa s73, v39, v60 src0_sel:BYTE_0 src1_sel:DWORD
	s_mov_b32 s16, -1
	s_and_saveexec_b32 s72, s73
; %bb.2779:                             ;   in Loop: Header=BB6_2291 Depth=4
	s_xor_b32 s16, exec_lo, -1
; %bb.2780:                             ;   in Loop: Header=BB6_2291 Depth=4
	s_or_b32 exec_lo, exec_lo, s72
	s_and_b32 s16, s16, exec_lo
	s_or_saveexec_b32 s63, s63
	v_mov_b32_e32 v38, 0x7f800001
	s_xor_b32 exec_lo, exec_lo, s63
	s_cbranch_execnz .LBB6_3028
.LBB6_2781:                             ;   in Loop: Header=BB6_2291 Depth=4
	s_or_b32 exec_lo, exec_lo, s63
	s_and_saveexec_b32 s63, s16
	s_cbranch_execz .LBB6_2783
.LBB6_2782:                             ;   in Loop: Header=BB6_2291 Depth=4
	v_and_b32_e32 v38, 3, v39
	v_lshrrev_b16 v82, 2, v39
	v_ffbh_u32_e32 v53, v38
	v_and_b32_e32 v82, 31, v82
	v_min_u32_e32 v53, 32, v53
	v_cmp_eq_u32_e32 vcc_lo, 0, v82
	v_subrev_nc_u32_e32 v85, 29, v53
	v_sub_nc_u32_e32 v53, 30, v53
	v_lshlrev_b32_e32 v85, v85, v39
	v_lshlrev_b32_e32 v39, 24, v39
	v_cndmask_b32_e32 v53, v82, v53, vcc_lo
	v_and_b32_e32 v85, 3, v85
	v_and_b32_e32 v39, 0x80000000, v39
	v_lshl_add_u32 v53, v53, 23, 0x37800000
	v_cndmask_b32_e32 v38, v38, v85, vcc_lo
	v_lshlrev_b32_e32 v38, 21, v38
	v_or3_b32 v38, v39, v53, v38
.LBB6_2783:                             ;   in Loop: Header=BB6_2291 Depth=4
	s_or_b32 exec_lo, exec_lo, s63
	v_mul_f32_e32 v39, v50, v38
	v_and_b32_e32 v38, 0x7f800000, v39
	v_cmp_ne_u32_e32 vcc_lo, 0x7f800000, v38
	v_mov_b32_e32 v38, 0x80
	s_and_saveexec_b32 s63, vcc_lo
	s_cbranch_execz .LBB6_2791
; %bb.2784:                             ;   in Loop: Header=BB6_2291 Depth=4
	v_mov_b32_e32 v38, 0
	s_mov_b32 s72, exec_lo
	v_cmpx_ne_u32_e32 0, v39
	s_cbranch_execz .LBB6_2790
; %bb.2785:                             ;   in Loop: Header=BB6_2291 Depth=4
	v_bfe_u32 v50, v39, 23, 8
	v_and_b32_e32 v38, 0x7fffff, v39
	v_cmp_gt_u32_e64 s16, 0x71, v50
	v_sub_nc_u32_e32 v53, 0x70, v50
	v_cmp_eq_u32_e32 vcc_lo, 0, v50
	v_or_b32_e32 v82, 0x800000, v38
	v_cndmask_b32_e64 v53, 0, v53, s16
	v_cndmask_b32_e32 v38, v82, v38, vcc_lo
	v_cndmask_b32_e64 v53, v53, 0x6f, vcc_lo
	v_lshl_add_u32 v82, 0x200000, v53, -1
	v_lshlrev_b32_e64 v85, v53, 0x100000
	v_and_b32_e32 v82, v82, v38
	v_cmp_eq_u32_e64 s16, v82, v85
	v_lshrrev_b32_e32 v82, v53, v38
	v_add_nc_u32_e32 v38, 0xffffff91, v50
	v_lshrrev_b32_e32 v50, 23, v82
	v_cndmask_b32_e64 v38, v38, 0xffffff92, vcc_lo
	v_xor_b32_e32 v50, 1, v50
	v_add_nc_u32_e32 v38, v53, v38
	v_bfe_u32 v53, v82, 21, 1
	v_add_nc_u32_e32 v53, -1, v53
	v_cndmask_b32_e64 v53, 0, v53, s16
	s_mov_b32 s16, exec_lo
	v_add_nc_u32_e32 v53, v53, v82
	v_and_b32_e32 v53, 0x1fffff, v53
	v_add_nc_u32_e32 v53, v53, v82
                                        ; implicit-def: $vgpr82
	v_cmpx_ne_u32_e64 v38, v50
	s_xor_b32 s16, exec_lo, s16
; %bb.2786:                             ;   in Loop: Header=BB6_2291 Depth=4
	v_cmp_lt_u32_e32 vcc_lo, 0xffffff, v53
	v_sub_nc_u32_e32 v38, v38, v50
	v_cndmask_b32_e64 v50, 0, 1, vcc_lo
	v_add_co_ci_u32_e64 v82, null, 0, v38, vcc_lo
	v_lshrrev_b32_e32 v53, v50, v53
; %bb.2787:                             ;   in Loop: Header=BB6_2291 Depth=4
	s_andn2_saveexec_b32 s16, s16
; %bb.2788:                             ;   in Loop: Header=BB6_2291 Depth=4
	v_bfe_u32 v82, v53, 23, 1
; %bb.2789:                             ;   in Loop: Header=BB6_2291 Depth=4
	s_or_b32 exec_lo, exec_lo, s16
	v_and_b32_sdwa v38, v39, v60 dst_sel:DWORD dst_unused:UNUSED_PAD src0_sel:BYTE_3 src1_sel:DWORD
	v_lshrrev_b32_e32 v39, 21, v53
	v_cmp_gt_i32_e32 vcc_lo, 32, v82
	v_min_i32_e32 v50, 31, v82
	v_cndmask_b32_e32 v39, 3, v39, vcc_lo
	v_lshlrev_b32_e32 v50, 2, v50
	v_or_b32_e32 v53, v82, v39
	v_and_b32_e32 v39, 3, v39
	v_cmp_ne_u32_e32 vcc_lo, 0, v53
	v_or3_b32 v38, v50, v38, v39
	v_cndmask_b32_e32 v38, 0, v38, vcc_lo
.LBB6_2790:                             ;   in Loop: Header=BB6_2291 Depth=4
	s_or_b32 exec_lo, exec_lo, s72
.LBB6_2791:                             ;   in Loop: Header=BB6_2291 Depth=4
	s_or_b32 exec_lo, exec_lo, s63
	v_cmp_gt_i16_sdwa s63, v35, v59 src0_sel:BYTE_0 src1_sel:DWORD
	s_mov_b32 s16, 0
	s_and_saveexec_b32 s72, s63
	s_xor_b32 s63, exec_lo, s72
	s_cbranch_execz .LBB6_3029
; %bb.2792:                             ;   in Loop: Header=BB6_2291 Depth=4
	v_cmp_eq_u16_sdwa s73, v35, v60 src0_sel:BYTE_0 src1_sel:DWORD
	s_mov_b32 s16, -1
	s_and_saveexec_b32 s72, s73
; %bb.2793:                             ;   in Loop: Header=BB6_2291 Depth=4
	s_xor_b32 s16, exec_lo, -1
; %bb.2794:                             ;   in Loop: Header=BB6_2291 Depth=4
	s_or_b32 exec_lo, exec_lo, s72
	s_and_b32 s16, s16, exec_lo
	s_or_saveexec_b32 s63, s63
	v_mov_b32_e32 v39, 0x7f800001
	s_xor_b32 exec_lo, exec_lo, s63
	s_cbranch_execnz .LBB6_3030
.LBB6_2795:                             ;   in Loop: Header=BB6_2291 Depth=4
	s_or_b32 exec_lo, exec_lo, s63
	s_and_saveexec_b32 s63, s16
	s_cbranch_execz .LBB6_2797
.LBB6_2796:                             ;   in Loop: Header=BB6_2291 Depth=4
	v_and_b32_e32 v39, 3, v35
	v_lshrrev_b16 v53, 2, v35
	v_ffbh_u32_e32 v50, v39
	v_and_b32_e32 v53, 31, v53
	v_min_u32_e32 v50, 32, v50
	v_cmp_eq_u32_e32 vcc_lo, 0, v53
	v_subrev_nc_u32_e32 v82, 29, v50
	v_sub_nc_u32_e32 v50, 30, v50
	v_lshlrev_b32_e32 v82, v82, v35
	v_lshlrev_b32_e32 v35, 24, v35
	v_cndmask_b32_e32 v50, v53, v50, vcc_lo
	v_and_b32_e32 v82, 3, v82
	v_and_b32_e32 v35, 0x80000000, v35
	v_lshl_add_u32 v50, v50, 23, 0x37800000
	v_cndmask_b32_e32 v39, v39, v82, vcc_lo
	v_lshlrev_b32_e32 v39, 21, v39
	v_or3_b32 v39, v35, v50, v39
.LBB6_2797:                             ;   in Loop: Header=BB6_2291 Depth=4
	s_or_b32 exec_lo, exec_lo, s63
	s_waitcnt vmcnt(6) lgkmcnt(6)
	v_cmp_gt_i16_sdwa s63, v36, v59 src0_sel:BYTE_0 src1_sel:DWORD
	s_mov_b32 s16, 0
	s_and_saveexec_b32 s72, s63
	s_xor_b32 s63, exec_lo, s72
	s_cbranch_execz .LBB6_3031
; %bb.2798:                             ;   in Loop: Header=BB6_2291 Depth=4
	v_cmp_eq_u16_sdwa s73, v36, v60 src0_sel:BYTE_0 src1_sel:DWORD
	s_mov_b32 s16, -1
	s_and_saveexec_b32 s72, s73
; %bb.2799:                             ;   in Loop: Header=BB6_2291 Depth=4
	s_xor_b32 s16, exec_lo, -1
; %bb.2800:                             ;   in Loop: Header=BB6_2291 Depth=4
	s_or_b32 exec_lo, exec_lo, s72
	s_and_b32 s16, s16, exec_lo
	s_or_saveexec_b32 s63, s63
	v_mov_b32_e32 v35, 0x7f800001
	s_xor_b32 exec_lo, exec_lo, s63
	s_cbranch_execnz .LBB6_3032
.LBB6_2801:                             ;   in Loop: Header=BB6_2291 Depth=4
	s_or_b32 exec_lo, exec_lo, s63
	s_and_saveexec_b32 s63, s16
	s_cbranch_execz .LBB6_2803
.LBB6_2802:                             ;   in Loop: Header=BB6_2291 Depth=4
	v_and_b32_e32 v35, 3, v36
	v_lshrrev_b16 v53, 2, v36
	v_ffbh_u32_e32 v50, v35
	v_and_b32_e32 v53, 31, v53
	v_min_u32_e32 v50, 32, v50
	v_cmp_eq_u32_e32 vcc_lo, 0, v53
	v_subrev_nc_u32_e32 v82, 29, v50
	v_sub_nc_u32_e32 v50, 30, v50
	v_lshlrev_b32_e32 v82, v82, v36
	v_lshlrev_b32_e32 v36, 24, v36
	v_cndmask_b32_e32 v50, v53, v50, vcc_lo
	v_and_b32_e32 v82, 3, v82
	v_and_b32_e32 v36, 0x80000000, v36
	v_lshl_add_u32 v50, v50, 23, 0x37800000
	v_cndmask_b32_e32 v35, v35, v82, vcc_lo
	v_lshlrev_b32_e32 v35, 21, v35
	v_or3_b32 v35, v36, v50, v35
.LBB6_2803:                             ;   in Loop: Header=BB6_2291 Depth=4
	s_or_b32 exec_lo, exec_lo, s63
	v_mul_f32_e32 v36, v39, v35
	v_and_b32_e32 v35, 0x7f800000, v36
	v_cmp_ne_u32_e32 vcc_lo, 0x7f800000, v35
	v_mov_b32_e32 v35, 0x80
	s_and_saveexec_b32 s63, vcc_lo
	s_cbranch_execz .LBB6_2811
; %bb.2804:                             ;   in Loop: Header=BB6_2291 Depth=4
	v_mov_b32_e32 v35, 0
	s_mov_b32 s72, exec_lo
	v_cmpx_ne_u32_e32 0, v36
	s_cbranch_execz .LBB6_2810
; %bb.2805:                             ;   in Loop: Header=BB6_2291 Depth=4
	v_bfe_u32 v39, v36, 23, 8
	v_and_b32_e32 v35, 0x7fffff, v36
	v_cmp_gt_u32_e64 s16, 0x71, v39
	v_sub_nc_u32_e32 v50, 0x70, v39
	v_cmp_eq_u32_e32 vcc_lo, 0, v39
	v_or_b32_e32 v53, 0x800000, v35
	v_cndmask_b32_e64 v50, 0, v50, s16
	v_cndmask_b32_e32 v35, v53, v35, vcc_lo
	v_cndmask_b32_e64 v50, v50, 0x6f, vcc_lo
	v_lshl_add_u32 v53, 0x200000, v50, -1
	v_lshlrev_b32_e64 v82, v50, 0x100000
	v_and_b32_e32 v53, v53, v35
	v_cmp_eq_u32_e64 s16, v53, v82
	v_lshrrev_b32_e32 v53, v50, v35
	v_add_nc_u32_e32 v35, 0xffffff91, v39
	v_lshrrev_b32_e32 v39, 23, v53
	v_cndmask_b32_e64 v35, v35, 0xffffff92, vcc_lo
	v_xor_b32_e32 v39, 1, v39
	v_add_nc_u32_e32 v35, v50, v35
	v_bfe_u32 v50, v53, 21, 1
	v_add_nc_u32_e32 v50, -1, v50
	v_cndmask_b32_e64 v50, 0, v50, s16
	s_mov_b32 s16, exec_lo
	v_add_nc_u32_e32 v50, v50, v53
	v_and_b32_e32 v50, 0x1fffff, v50
	v_add_nc_u32_e32 v50, v50, v53
                                        ; implicit-def: $vgpr53
	v_cmpx_ne_u32_e64 v35, v39
	s_xor_b32 s16, exec_lo, s16
; %bb.2806:                             ;   in Loop: Header=BB6_2291 Depth=4
	v_cmp_lt_u32_e32 vcc_lo, 0xffffff, v50
	v_sub_nc_u32_e32 v35, v35, v39
	v_cndmask_b32_e64 v39, 0, 1, vcc_lo
	v_add_co_ci_u32_e64 v53, null, 0, v35, vcc_lo
	v_lshrrev_b32_e32 v50, v39, v50
; %bb.2807:                             ;   in Loop: Header=BB6_2291 Depth=4
	s_andn2_saveexec_b32 s16, s16
; %bb.2808:                             ;   in Loop: Header=BB6_2291 Depth=4
	v_bfe_u32 v53, v50, 23, 1
; %bb.2809:                             ;   in Loop: Header=BB6_2291 Depth=4
	s_or_b32 exec_lo, exec_lo, s16
	v_and_b32_sdwa v35, v36, v60 dst_sel:DWORD dst_unused:UNUSED_PAD src0_sel:BYTE_3 src1_sel:DWORD
	v_lshrrev_b32_e32 v36, 21, v50
	v_cmp_gt_i32_e32 vcc_lo, 32, v53
	v_min_i32_e32 v39, 31, v53
	v_cndmask_b32_e32 v36, 3, v36, vcc_lo
	v_lshlrev_b32_e32 v39, 2, v39
	v_or_b32_e32 v50, v53, v36
	v_and_b32_e32 v36, 3, v36
	v_cmp_ne_u32_e32 vcc_lo, 0, v50
	v_or3_b32 v35, v39, v35, v36
	v_cndmask_b32_e32 v35, 0, v35, vcc_lo
.LBB6_2810:                             ;   in Loop: Header=BB6_2291 Depth=4
	s_or_b32 exec_lo, exec_lo, s72
.LBB6_2811:                             ;   in Loop: Header=BB6_2291 Depth=4
	s_or_b32 exec_lo, exec_lo, s63
	v_cmp_gt_i16_sdwa s63, v32, v59 src0_sel:BYTE_0 src1_sel:DWORD
	s_mov_b32 s16, 0
	s_and_saveexec_b32 s72, s63
	s_xor_b32 s63, exec_lo, s72
	s_cbranch_execz .LBB6_3033
; %bb.2812:                             ;   in Loop: Header=BB6_2291 Depth=4
	v_cmp_eq_u16_sdwa s73, v32, v60 src0_sel:BYTE_0 src1_sel:DWORD
	s_mov_b32 s16, -1
	s_and_saveexec_b32 s72, s73
; %bb.2813:                             ;   in Loop: Header=BB6_2291 Depth=4
	s_xor_b32 s16, exec_lo, -1
; %bb.2814:                             ;   in Loop: Header=BB6_2291 Depth=4
	s_or_b32 exec_lo, exec_lo, s72
	s_and_b32 s16, s16, exec_lo
	s_or_saveexec_b32 s63, s63
	v_mov_b32_e32 v36, 0x7f800001
	s_xor_b32 exec_lo, exec_lo, s63
	s_cbranch_execnz .LBB6_3034
.LBB6_2815:                             ;   in Loop: Header=BB6_2291 Depth=4
	s_or_b32 exec_lo, exec_lo, s63
	s_and_saveexec_b32 s63, s16
	s_cbranch_execz .LBB6_2817
.LBB6_2816:                             ;   in Loop: Header=BB6_2291 Depth=4
	v_and_b32_e32 v36, 3, v32
	v_lshrrev_b16 v50, 2, v32
	v_ffbh_u32_e32 v39, v36
	v_and_b32_e32 v50, 31, v50
	v_min_u32_e32 v39, 32, v39
	v_cmp_eq_u32_e32 vcc_lo, 0, v50
	v_subrev_nc_u32_e32 v53, 29, v39
	v_sub_nc_u32_e32 v39, 30, v39
	v_lshlrev_b32_e32 v53, v53, v32
	v_lshlrev_b32_e32 v32, 24, v32
	v_cndmask_b32_e32 v39, v50, v39, vcc_lo
	v_and_b32_e32 v53, 3, v53
	v_and_b32_e32 v32, 0x80000000, v32
	v_lshl_add_u32 v39, v39, 23, 0x37800000
	v_cndmask_b32_e32 v36, v36, v53, vcc_lo
	v_lshlrev_b32_e32 v36, 21, v36
	v_or3_b32 v36, v32, v39, v36
.LBB6_2817:                             ;   in Loop: Header=BB6_2291 Depth=4
	s_or_b32 exec_lo, exec_lo, s63
	s_waitcnt vmcnt(5) lgkmcnt(5)
	v_cmp_gt_i16_sdwa s63, v33, v59 src0_sel:BYTE_0 src1_sel:DWORD
	s_mov_b32 s16, 0
	s_and_saveexec_b32 s72, s63
	s_xor_b32 s63, exec_lo, s72
	s_cbranch_execz .LBB6_3035
; %bb.2818:                             ;   in Loop: Header=BB6_2291 Depth=4
	v_cmp_eq_u16_sdwa s73, v33, v60 src0_sel:BYTE_0 src1_sel:DWORD
	s_mov_b32 s16, -1
	s_and_saveexec_b32 s72, s73
; %bb.2819:                             ;   in Loop: Header=BB6_2291 Depth=4
	s_xor_b32 s16, exec_lo, -1
; %bb.2820:                             ;   in Loop: Header=BB6_2291 Depth=4
	s_or_b32 exec_lo, exec_lo, s72
	s_and_b32 s16, s16, exec_lo
	s_or_saveexec_b32 s63, s63
	v_mov_b32_e32 v32, 0x7f800001
	s_xor_b32 exec_lo, exec_lo, s63
	s_cbranch_execnz .LBB6_3036
.LBB6_2821:                             ;   in Loop: Header=BB6_2291 Depth=4
	s_or_b32 exec_lo, exec_lo, s63
	s_and_saveexec_b32 s63, s16
	s_cbranch_execz .LBB6_2823
.LBB6_2822:                             ;   in Loop: Header=BB6_2291 Depth=4
	v_and_b32_e32 v32, 3, v33
	v_lshrrev_b16 v50, 2, v33
	v_ffbh_u32_e32 v39, v32
	v_and_b32_e32 v50, 31, v50
	v_min_u32_e32 v39, 32, v39
	v_cmp_eq_u32_e32 vcc_lo, 0, v50
	v_subrev_nc_u32_e32 v53, 29, v39
	v_sub_nc_u32_e32 v39, 30, v39
	v_lshlrev_b32_e32 v53, v53, v33
	v_lshlrev_b32_e32 v33, 24, v33
	v_cndmask_b32_e32 v39, v50, v39, vcc_lo
	v_and_b32_e32 v53, 3, v53
	v_and_b32_e32 v33, 0x80000000, v33
	v_lshl_add_u32 v39, v39, 23, 0x37800000
	v_cndmask_b32_e32 v32, v32, v53, vcc_lo
	v_lshlrev_b32_e32 v32, 21, v32
	v_or3_b32 v32, v33, v39, v32
.LBB6_2823:                             ;   in Loop: Header=BB6_2291 Depth=4
	s_or_b32 exec_lo, exec_lo, s63
	v_mul_f32_e32 v33, v36, v32
	v_and_b32_e32 v32, 0x7f800000, v33
	v_cmp_ne_u32_e32 vcc_lo, 0x7f800000, v32
	v_mov_b32_e32 v32, 0x80
	s_and_saveexec_b32 s63, vcc_lo
	s_cbranch_execz .LBB6_2831
; %bb.2824:                             ;   in Loop: Header=BB6_2291 Depth=4
	v_mov_b32_e32 v32, 0
	s_mov_b32 s72, exec_lo
	v_cmpx_ne_u32_e32 0, v33
	s_cbranch_execz .LBB6_2830
; %bb.2825:                             ;   in Loop: Header=BB6_2291 Depth=4
	v_bfe_u32 v36, v33, 23, 8
	v_and_b32_e32 v32, 0x7fffff, v33
	v_cmp_gt_u32_e64 s16, 0x71, v36
	v_sub_nc_u32_e32 v39, 0x70, v36
	v_cmp_eq_u32_e32 vcc_lo, 0, v36
	v_or_b32_e32 v50, 0x800000, v32
	v_cndmask_b32_e64 v39, 0, v39, s16
	v_cndmask_b32_e32 v32, v50, v32, vcc_lo
	v_cndmask_b32_e64 v39, v39, 0x6f, vcc_lo
	v_lshl_add_u32 v50, 0x200000, v39, -1
	v_lshlrev_b32_e64 v53, v39, 0x100000
	v_and_b32_e32 v50, v50, v32
	v_cmp_eq_u32_e64 s16, v50, v53
	v_lshrrev_b32_e32 v50, v39, v32
	v_add_nc_u32_e32 v32, 0xffffff91, v36
	v_lshrrev_b32_e32 v36, 23, v50
	v_cndmask_b32_e64 v32, v32, 0xffffff92, vcc_lo
	v_xor_b32_e32 v36, 1, v36
	v_add_nc_u32_e32 v32, v39, v32
	v_bfe_u32 v39, v50, 21, 1
	v_add_nc_u32_e32 v39, -1, v39
	v_cndmask_b32_e64 v39, 0, v39, s16
	s_mov_b32 s16, exec_lo
	v_add_nc_u32_e32 v39, v39, v50
	v_and_b32_e32 v39, 0x1fffff, v39
	v_add_nc_u32_e32 v39, v39, v50
                                        ; implicit-def: $vgpr50
	v_cmpx_ne_u32_e64 v32, v36
	s_xor_b32 s16, exec_lo, s16
; %bb.2826:                             ;   in Loop: Header=BB6_2291 Depth=4
	v_cmp_lt_u32_e32 vcc_lo, 0xffffff, v39
	v_sub_nc_u32_e32 v32, v32, v36
	v_cndmask_b32_e64 v36, 0, 1, vcc_lo
	v_add_co_ci_u32_e64 v50, null, 0, v32, vcc_lo
	v_lshrrev_b32_e32 v39, v36, v39
; %bb.2827:                             ;   in Loop: Header=BB6_2291 Depth=4
	s_andn2_saveexec_b32 s16, s16
; %bb.2828:                             ;   in Loop: Header=BB6_2291 Depth=4
	v_bfe_u32 v50, v39, 23, 1
; %bb.2829:                             ;   in Loop: Header=BB6_2291 Depth=4
	s_or_b32 exec_lo, exec_lo, s16
	v_and_b32_sdwa v32, v33, v60 dst_sel:DWORD dst_unused:UNUSED_PAD src0_sel:BYTE_3 src1_sel:DWORD
	v_lshrrev_b32_e32 v33, 21, v39
	v_cmp_gt_i32_e32 vcc_lo, 32, v50
	v_min_i32_e32 v36, 31, v50
	v_cndmask_b32_e32 v33, 3, v33, vcc_lo
	v_lshlrev_b32_e32 v36, 2, v36
	v_or_b32_e32 v39, v50, v33
	v_and_b32_e32 v33, 3, v33
	v_cmp_ne_u32_e32 vcc_lo, 0, v39
	v_or3_b32 v32, v36, v32, v33
	v_cndmask_b32_e32 v32, 0, v32, vcc_lo
.LBB6_2830:                             ;   in Loop: Header=BB6_2291 Depth=4
	s_or_b32 exec_lo, exec_lo, s72
.LBB6_2831:                             ;   in Loop: Header=BB6_2291 Depth=4
	s_or_b32 exec_lo, exec_lo, s63
	v_cmp_gt_i16_sdwa s63, v29, v59 src0_sel:BYTE_0 src1_sel:DWORD
	s_mov_b32 s16, 0
	s_and_saveexec_b32 s72, s63
	s_xor_b32 s63, exec_lo, s72
	s_cbranch_execz .LBB6_3037
; %bb.2832:                             ;   in Loop: Header=BB6_2291 Depth=4
	v_cmp_eq_u16_sdwa s73, v29, v60 src0_sel:BYTE_0 src1_sel:DWORD
	s_mov_b32 s16, -1
	s_and_saveexec_b32 s72, s73
; %bb.2833:                             ;   in Loop: Header=BB6_2291 Depth=4
	s_xor_b32 s16, exec_lo, -1
; %bb.2834:                             ;   in Loop: Header=BB6_2291 Depth=4
	s_or_b32 exec_lo, exec_lo, s72
	s_and_b32 s16, s16, exec_lo
	s_or_saveexec_b32 s63, s63
	v_mov_b32_e32 v33, 0x7f800001
	s_xor_b32 exec_lo, exec_lo, s63
	s_cbranch_execnz .LBB6_3038
.LBB6_2835:                             ;   in Loop: Header=BB6_2291 Depth=4
	s_or_b32 exec_lo, exec_lo, s63
	s_and_saveexec_b32 s63, s16
	s_cbranch_execz .LBB6_2837
.LBB6_2836:                             ;   in Loop: Header=BB6_2291 Depth=4
	v_and_b32_e32 v33, 3, v29
	v_lshrrev_b16 v39, 2, v29
	v_ffbh_u32_e32 v36, v33
	v_and_b32_e32 v39, 31, v39
	v_min_u32_e32 v36, 32, v36
	v_cmp_eq_u32_e32 vcc_lo, 0, v39
	v_subrev_nc_u32_e32 v50, 29, v36
	v_sub_nc_u32_e32 v36, 30, v36
	v_lshlrev_b32_e32 v50, v50, v29
	v_lshlrev_b32_e32 v29, 24, v29
	v_cndmask_b32_e32 v36, v39, v36, vcc_lo
	v_and_b32_e32 v50, 3, v50
	v_and_b32_e32 v29, 0x80000000, v29
	v_lshl_add_u32 v36, v36, 23, 0x37800000
	v_cndmask_b32_e32 v33, v33, v50, vcc_lo
	v_lshlrev_b32_e32 v33, 21, v33
	v_or3_b32 v33, v29, v36, v33
.LBB6_2837:                             ;   in Loop: Header=BB6_2291 Depth=4
	s_or_b32 exec_lo, exec_lo, s63
	s_waitcnt vmcnt(4) lgkmcnt(4)
	v_cmp_gt_i16_sdwa s63, v30, v59 src0_sel:BYTE_0 src1_sel:DWORD
	s_mov_b32 s16, 0
	s_and_saveexec_b32 s72, s63
	s_xor_b32 s63, exec_lo, s72
	s_cbranch_execz .LBB6_3039
; %bb.2838:                             ;   in Loop: Header=BB6_2291 Depth=4
	v_cmp_eq_u16_sdwa s73, v30, v60 src0_sel:BYTE_0 src1_sel:DWORD
	s_mov_b32 s16, -1
	s_and_saveexec_b32 s72, s73
; %bb.2839:                             ;   in Loop: Header=BB6_2291 Depth=4
	s_xor_b32 s16, exec_lo, -1
; %bb.2840:                             ;   in Loop: Header=BB6_2291 Depth=4
	s_or_b32 exec_lo, exec_lo, s72
	s_and_b32 s16, s16, exec_lo
	s_or_saveexec_b32 s63, s63
	v_mov_b32_e32 v29, 0x7f800001
	s_xor_b32 exec_lo, exec_lo, s63
	s_cbranch_execnz .LBB6_3040
.LBB6_2841:                             ;   in Loop: Header=BB6_2291 Depth=4
	s_or_b32 exec_lo, exec_lo, s63
	s_and_saveexec_b32 s63, s16
	s_cbranch_execz .LBB6_2843
.LBB6_2842:                             ;   in Loop: Header=BB6_2291 Depth=4
	v_and_b32_e32 v29, 3, v30
	v_lshrrev_b16 v39, 2, v30
	v_ffbh_u32_e32 v36, v29
	v_and_b32_e32 v39, 31, v39
	v_min_u32_e32 v36, 32, v36
	v_cmp_eq_u32_e32 vcc_lo, 0, v39
	v_subrev_nc_u32_e32 v50, 29, v36
	v_sub_nc_u32_e32 v36, 30, v36
	v_lshlrev_b32_e32 v50, v50, v30
	v_lshlrev_b32_e32 v30, 24, v30
	v_cndmask_b32_e32 v36, v39, v36, vcc_lo
	v_and_b32_e32 v50, 3, v50
	v_and_b32_e32 v30, 0x80000000, v30
	v_lshl_add_u32 v36, v36, 23, 0x37800000
	v_cndmask_b32_e32 v29, v29, v50, vcc_lo
	v_lshlrev_b32_e32 v29, 21, v29
	v_or3_b32 v29, v30, v36, v29
.LBB6_2843:                             ;   in Loop: Header=BB6_2291 Depth=4
	s_or_b32 exec_lo, exec_lo, s63
	v_mul_f32_e32 v30, v33, v29
	v_and_b32_e32 v29, 0x7f800000, v30
	v_cmp_ne_u32_e32 vcc_lo, 0x7f800000, v29
	v_mov_b32_e32 v29, 0x80
	s_and_saveexec_b32 s63, vcc_lo
	s_cbranch_execz .LBB6_2851
; %bb.2844:                             ;   in Loop: Header=BB6_2291 Depth=4
	v_mov_b32_e32 v29, 0
	s_mov_b32 s72, exec_lo
	v_cmpx_ne_u32_e32 0, v30
	s_cbranch_execz .LBB6_2850
; %bb.2845:                             ;   in Loop: Header=BB6_2291 Depth=4
	v_bfe_u32 v33, v30, 23, 8
	v_and_b32_e32 v29, 0x7fffff, v30
	v_cmp_gt_u32_e64 s16, 0x71, v33
	v_sub_nc_u32_e32 v36, 0x70, v33
	v_cmp_eq_u32_e32 vcc_lo, 0, v33
	v_or_b32_e32 v39, 0x800000, v29
	v_cndmask_b32_e64 v36, 0, v36, s16
	v_cndmask_b32_e32 v29, v39, v29, vcc_lo
	v_cndmask_b32_e64 v36, v36, 0x6f, vcc_lo
	v_lshl_add_u32 v39, 0x200000, v36, -1
	v_lshlrev_b32_e64 v50, v36, 0x100000
	v_and_b32_e32 v39, v39, v29
	v_cmp_eq_u32_e64 s16, v39, v50
	v_lshrrev_b32_e32 v39, v36, v29
	v_add_nc_u32_e32 v29, 0xffffff91, v33
	v_lshrrev_b32_e32 v33, 23, v39
	v_cndmask_b32_e64 v29, v29, 0xffffff92, vcc_lo
	v_xor_b32_e32 v33, 1, v33
	v_add_nc_u32_e32 v29, v36, v29
	v_bfe_u32 v36, v39, 21, 1
	v_add_nc_u32_e32 v36, -1, v36
	v_cndmask_b32_e64 v36, 0, v36, s16
	s_mov_b32 s16, exec_lo
	v_add_nc_u32_e32 v36, v36, v39
	v_and_b32_e32 v36, 0x1fffff, v36
	v_add_nc_u32_e32 v36, v36, v39
                                        ; implicit-def: $vgpr39
	v_cmpx_ne_u32_e64 v29, v33
	s_xor_b32 s16, exec_lo, s16
; %bb.2846:                             ;   in Loop: Header=BB6_2291 Depth=4
	v_cmp_lt_u32_e32 vcc_lo, 0xffffff, v36
	v_sub_nc_u32_e32 v29, v29, v33
	v_cndmask_b32_e64 v33, 0, 1, vcc_lo
	v_add_co_ci_u32_e64 v39, null, 0, v29, vcc_lo
	v_lshrrev_b32_e32 v36, v33, v36
; %bb.2847:                             ;   in Loop: Header=BB6_2291 Depth=4
	s_andn2_saveexec_b32 s16, s16
; %bb.2848:                             ;   in Loop: Header=BB6_2291 Depth=4
	v_bfe_u32 v39, v36, 23, 1
; %bb.2849:                             ;   in Loop: Header=BB6_2291 Depth=4
	s_or_b32 exec_lo, exec_lo, s16
	v_and_b32_sdwa v29, v30, v60 dst_sel:DWORD dst_unused:UNUSED_PAD src0_sel:BYTE_3 src1_sel:DWORD
	v_lshrrev_b32_e32 v30, 21, v36
	v_cmp_gt_i32_e32 vcc_lo, 32, v39
	v_min_i32_e32 v33, 31, v39
	v_cndmask_b32_e32 v30, 3, v30, vcc_lo
	v_lshlrev_b32_e32 v33, 2, v33
	v_or_b32_e32 v36, v39, v30
	v_and_b32_e32 v30, 3, v30
	v_cmp_ne_u32_e32 vcc_lo, 0, v36
	v_or3_b32 v29, v33, v29, v30
	v_cndmask_b32_e32 v29, 0, v29, vcc_lo
.LBB6_2850:                             ;   in Loop: Header=BB6_2291 Depth=4
	s_or_b32 exec_lo, exec_lo, s72
.LBB6_2851:                             ;   in Loop: Header=BB6_2291 Depth=4
	s_or_b32 exec_lo, exec_lo, s63
	v_cmp_gt_i16_sdwa s63, v26, v59 src0_sel:BYTE_0 src1_sel:DWORD
	s_mov_b32 s16, 0
	s_and_saveexec_b32 s72, s63
	s_xor_b32 s63, exec_lo, s72
	s_cbranch_execz .LBB6_3041
; %bb.2852:                             ;   in Loop: Header=BB6_2291 Depth=4
	v_cmp_eq_u16_sdwa s73, v26, v60 src0_sel:BYTE_0 src1_sel:DWORD
	s_mov_b32 s16, -1
	s_and_saveexec_b32 s72, s73
; %bb.2853:                             ;   in Loop: Header=BB6_2291 Depth=4
	s_xor_b32 s16, exec_lo, -1
; %bb.2854:                             ;   in Loop: Header=BB6_2291 Depth=4
	s_or_b32 exec_lo, exec_lo, s72
	s_and_b32 s16, s16, exec_lo
	s_or_saveexec_b32 s63, s63
	v_mov_b32_e32 v30, 0x7f800001
	s_xor_b32 exec_lo, exec_lo, s63
	s_cbranch_execnz .LBB6_3042
.LBB6_2855:                             ;   in Loop: Header=BB6_2291 Depth=4
	s_or_b32 exec_lo, exec_lo, s63
	s_and_saveexec_b32 s63, s16
	s_cbranch_execz .LBB6_2857
.LBB6_2856:                             ;   in Loop: Header=BB6_2291 Depth=4
	v_and_b32_e32 v30, 3, v26
	v_lshrrev_b16 v36, 2, v26
	v_ffbh_u32_e32 v33, v30
	v_and_b32_e32 v36, 31, v36
	v_min_u32_e32 v33, 32, v33
	v_cmp_eq_u32_e32 vcc_lo, 0, v36
	v_subrev_nc_u32_e32 v39, 29, v33
	v_sub_nc_u32_e32 v33, 30, v33
	v_lshlrev_b32_e32 v39, v39, v26
	v_lshlrev_b32_e32 v26, 24, v26
	v_cndmask_b32_e32 v33, v36, v33, vcc_lo
	v_and_b32_e32 v39, 3, v39
	v_and_b32_e32 v26, 0x80000000, v26
	v_lshl_add_u32 v33, v33, 23, 0x37800000
	v_cndmask_b32_e32 v30, v30, v39, vcc_lo
	v_lshlrev_b32_e32 v30, 21, v30
	v_or3_b32 v30, v26, v33, v30
.LBB6_2857:                             ;   in Loop: Header=BB6_2291 Depth=4
	s_or_b32 exec_lo, exec_lo, s63
	s_waitcnt vmcnt(3) lgkmcnt(3)
	v_cmp_gt_i16_sdwa s63, v27, v59 src0_sel:BYTE_0 src1_sel:DWORD
	s_mov_b32 s16, 0
	s_and_saveexec_b32 s72, s63
	s_xor_b32 s63, exec_lo, s72
	s_cbranch_execz .LBB6_3043
; %bb.2858:                             ;   in Loop: Header=BB6_2291 Depth=4
	v_cmp_eq_u16_sdwa s73, v27, v60 src0_sel:BYTE_0 src1_sel:DWORD
	s_mov_b32 s16, -1
	s_and_saveexec_b32 s72, s73
; %bb.2859:                             ;   in Loop: Header=BB6_2291 Depth=4
	s_xor_b32 s16, exec_lo, -1
; %bb.2860:                             ;   in Loop: Header=BB6_2291 Depth=4
	s_or_b32 exec_lo, exec_lo, s72
	s_and_b32 s16, s16, exec_lo
	s_or_saveexec_b32 s63, s63
	v_mov_b32_e32 v26, 0x7f800001
	s_xor_b32 exec_lo, exec_lo, s63
	s_cbranch_execnz .LBB6_3044
.LBB6_2861:                             ;   in Loop: Header=BB6_2291 Depth=4
	s_or_b32 exec_lo, exec_lo, s63
	s_and_saveexec_b32 s63, s16
	s_cbranch_execz .LBB6_2863
.LBB6_2862:                             ;   in Loop: Header=BB6_2291 Depth=4
	v_and_b32_e32 v26, 3, v27
	v_lshrrev_b16 v36, 2, v27
	v_ffbh_u32_e32 v33, v26
	v_and_b32_e32 v36, 31, v36
	v_min_u32_e32 v33, 32, v33
	v_cmp_eq_u32_e32 vcc_lo, 0, v36
	v_subrev_nc_u32_e32 v39, 29, v33
	v_sub_nc_u32_e32 v33, 30, v33
	v_lshlrev_b32_e32 v39, v39, v27
	v_lshlrev_b32_e32 v27, 24, v27
	v_cndmask_b32_e32 v33, v36, v33, vcc_lo
	v_and_b32_e32 v39, 3, v39
	v_and_b32_e32 v27, 0x80000000, v27
	v_lshl_add_u32 v33, v33, 23, 0x37800000
	v_cndmask_b32_e32 v26, v26, v39, vcc_lo
	v_lshlrev_b32_e32 v26, 21, v26
	v_or3_b32 v26, v27, v33, v26
.LBB6_2863:                             ;   in Loop: Header=BB6_2291 Depth=4
	s_or_b32 exec_lo, exec_lo, s63
	v_mul_f32_e32 v27, v30, v26
	v_and_b32_e32 v26, 0x7f800000, v27
	v_cmp_ne_u32_e32 vcc_lo, 0x7f800000, v26
	v_mov_b32_e32 v26, 0x80
	s_and_saveexec_b32 s63, vcc_lo
	s_cbranch_execz .LBB6_2871
; %bb.2864:                             ;   in Loop: Header=BB6_2291 Depth=4
	v_mov_b32_e32 v26, 0
	s_mov_b32 s72, exec_lo
	v_cmpx_ne_u32_e32 0, v27
	s_cbranch_execz .LBB6_2870
; %bb.2865:                             ;   in Loop: Header=BB6_2291 Depth=4
	v_bfe_u32 v30, v27, 23, 8
	v_and_b32_e32 v26, 0x7fffff, v27
	v_cmp_gt_u32_e64 s16, 0x71, v30
	v_sub_nc_u32_e32 v33, 0x70, v30
	v_cmp_eq_u32_e32 vcc_lo, 0, v30
	v_or_b32_e32 v36, 0x800000, v26
	v_cndmask_b32_e64 v33, 0, v33, s16
	v_cndmask_b32_e32 v26, v36, v26, vcc_lo
	v_cndmask_b32_e64 v33, v33, 0x6f, vcc_lo
	v_lshl_add_u32 v36, 0x200000, v33, -1
	v_lshlrev_b32_e64 v39, v33, 0x100000
	v_and_b32_e32 v36, v36, v26
	v_cmp_eq_u32_e64 s16, v36, v39
	v_lshrrev_b32_e32 v36, v33, v26
	v_add_nc_u32_e32 v26, 0xffffff91, v30
	v_lshrrev_b32_e32 v30, 23, v36
	v_cndmask_b32_e64 v26, v26, 0xffffff92, vcc_lo
	v_xor_b32_e32 v30, 1, v30
	v_add_nc_u32_e32 v26, v33, v26
	v_bfe_u32 v33, v36, 21, 1
	v_add_nc_u32_e32 v33, -1, v33
	v_cndmask_b32_e64 v33, 0, v33, s16
	s_mov_b32 s16, exec_lo
	v_add_nc_u32_e32 v33, v33, v36
	v_and_b32_e32 v33, 0x1fffff, v33
	v_add_nc_u32_e32 v36, v33, v36
                                        ; implicit-def: $vgpr33
	v_cmpx_ne_u32_e64 v26, v30
	s_xor_b32 s16, exec_lo, s16
; %bb.2866:                             ;   in Loop: Header=BB6_2291 Depth=4
	v_cmp_lt_u32_e32 vcc_lo, 0xffffff, v36
	v_sub_nc_u32_e32 v26, v26, v30
	v_cndmask_b32_e64 v30, 0, 1, vcc_lo
	v_add_co_ci_u32_e64 v33, null, 0, v26, vcc_lo
	v_lshrrev_b32_e32 v36, v30, v36
; %bb.2867:                             ;   in Loop: Header=BB6_2291 Depth=4
	s_andn2_saveexec_b32 s16, s16
; %bb.2868:                             ;   in Loop: Header=BB6_2291 Depth=4
	v_bfe_u32 v33, v36, 23, 1
; %bb.2869:                             ;   in Loop: Header=BB6_2291 Depth=4
	s_or_b32 exec_lo, exec_lo, s16
	v_lshrrev_b32_e32 v26, 21, v36
	v_cmp_gt_i32_e32 vcc_lo, 32, v33
	v_min_i32_e32 v30, 31, v33
	v_and_b32_sdwa v27, v27, v60 dst_sel:DWORD dst_unused:UNUSED_PAD src0_sel:BYTE_3 src1_sel:DWORD
	v_cndmask_b32_e32 v26, 3, v26, vcc_lo
	v_lshlrev_b32_e32 v30, 2, v30
	v_and_b32_e32 v36, 3, v26
	v_or_b32_e32 v26, v33, v26
	v_or3_b32 v27, v30, v27, v36
	v_cmp_ne_u32_e32 vcc_lo, 0, v26
	v_cndmask_b32_e32 v26, 0, v27, vcc_lo
.LBB6_2870:                             ;   in Loop: Header=BB6_2291 Depth=4
	s_or_b32 exec_lo, exec_lo, s72
.LBB6_2871:                             ;   in Loop: Header=BB6_2291 Depth=4
	s_or_b32 exec_lo, exec_lo, s63
	v_cmp_gt_i16_sdwa s63, v23, v59 src0_sel:BYTE_0 src1_sel:DWORD
	s_mov_b32 s16, 0
	s_and_saveexec_b32 s72, s63
	s_xor_b32 s63, exec_lo, s72
	s_cbranch_execz .LBB6_3045
; %bb.2872:                             ;   in Loop: Header=BB6_2291 Depth=4
	v_cmp_eq_u16_sdwa s73, v23, v60 src0_sel:BYTE_0 src1_sel:DWORD
	s_mov_b32 s16, -1
	s_and_saveexec_b32 s72, s73
; %bb.2873:                             ;   in Loop: Header=BB6_2291 Depth=4
	s_xor_b32 s16, exec_lo, -1
; %bb.2874:                             ;   in Loop: Header=BB6_2291 Depth=4
	s_or_b32 exec_lo, exec_lo, s72
	s_and_b32 s16, s16, exec_lo
	s_or_saveexec_b32 s63, s63
	v_mov_b32_e32 v27, 0x7f800001
	s_xor_b32 exec_lo, exec_lo, s63
	s_cbranch_execnz .LBB6_3046
.LBB6_2875:                             ;   in Loop: Header=BB6_2291 Depth=4
	s_or_b32 exec_lo, exec_lo, s63
	s_and_saveexec_b32 s63, s16
	s_cbranch_execz .LBB6_2877
.LBB6_2876:                             ;   in Loop: Header=BB6_2291 Depth=4
	v_and_b32_e32 v27, 3, v23
	v_lshrrev_b16 v33, 2, v23
	v_ffbh_u32_e32 v30, v27
	v_and_b32_e32 v33, 31, v33
	v_min_u32_e32 v30, 32, v30
	v_cmp_eq_u32_e32 vcc_lo, 0, v33
	v_subrev_nc_u32_e32 v36, 29, v30
	v_sub_nc_u32_e32 v30, 30, v30
	v_lshlrev_b32_e32 v36, v36, v23
	v_lshlrev_b32_e32 v23, 24, v23
	v_cndmask_b32_e32 v30, v33, v30, vcc_lo
	v_and_b32_e32 v36, 3, v36
	v_and_b32_e32 v23, 0x80000000, v23
	v_lshl_add_u32 v30, v30, 23, 0x37800000
	v_cndmask_b32_e32 v27, v27, v36, vcc_lo
	v_lshlrev_b32_e32 v27, 21, v27
	v_or3_b32 v27, v23, v30, v27
.LBB6_2877:                             ;   in Loop: Header=BB6_2291 Depth=4
	s_or_b32 exec_lo, exec_lo, s63
	s_waitcnt vmcnt(2) lgkmcnt(2)
	v_cmp_gt_i16_sdwa s63, v24, v59 src0_sel:BYTE_0 src1_sel:DWORD
	s_mov_b32 s16, 0
	s_and_saveexec_b32 s72, s63
	s_xor_b32 s63, exec_lo, s72
	s_cbranch_execz .LBB6_3047
; %bb.2878:                             ;   in Loop: Header=BB6_2291 Depth=4
	v_cmp_eq_u16_sdwa s73, v24, v60 src0_sel:BYTE_0 src1_sel:DWORD
	s_mov_b32 s16, -1
	s_and_saveexec_b32 s72, s73
; %bb.2879:                             ;   in Loop: Header=BB6_2291 Depth=4
	s_xor_b32 s16, exec_lo, -1
; %bb.2880:                             ;   in Loop: Header=BB6_2291 Depth=4
	s_or_b32 exec_lo, exec_lo, s72
	s_and_b32 s16, s16, exec_lo
	s_or_saveexec_b32 s63, s63
	v_mov_b32_e32 v23, 0x7f800001
	s_xor_b32 exec_lo, exec_lo, s63
	s_cbranch_execnz .LBB6_3048
.LBB6_2881:                             ;   in Loop: Header=BB6_2291 Depth=4
	s_or_b32 exec_lo, exec_lo, s63
	s_and_saveexec_b32 s63, s16
	s_cbranch_execz .LBB6_2883
.LBB6_2882:                             ;   in Loop: Header=BB6_2291 Depth=4
	v_and_b32_e32 v23, 3, v24
	v_lshrrev_b16 v33, 2, v24
	v_ffbh_u32_e32 v30, v23
	v_and_b32_e32 v33, 31, v33
	v_min_u32_e32 v30, 32, v30
	v_cmp_eq_u32_e32 vcc_lo, 0, v33
	v_subrev_nc_u32_e32 v36, 29, v30
	v_sub_nc_u32_e32 v30, 30, v30
	v_lshlrev_b32_e32 v36, v36, v24
	v_lshlrev_b32_e32 v24, 24, v24
	v_cndmask_b32_e32 v30, v33, v30, vcc_lo
	v_and_b32_e32 v36, 3, v36
	v_and_b32_e32 v24, 0x80000000, v24
	v_lshl_add_u32 v30, v30, 23, 0x37800000
	v_cndmask_b32_e32 v23, v23, v36, vcc_lo
	v_lshlrev_b32_e32 v23, 21, v23
	v_or3_b32 v23, v24, v30, v23
.LBB6_2883:                             ;   in Loop: Header=BB6_2291 Depth=4
	s_or_b32 exec_lo, exec_lo, s63
	v_mul_f32_e32 v24, v27, v23
	v_and_b32_e32 v23, 0x7f800000, v24
	v_cmp_ne_u32_e32 vcc_lo, 0x7f800000, v23
	v_mov_b32_e32 v23, 0x80
	s_and_saveexec_b32 s63, vcc_lo
	s_cbranch_execz .LBB6_2891
; %bb.2884:                             ;   in Loop: Header=BB6_2291 Depth=4
	v_mov_b32_e32 v23, 0
	s_mov_b32 s72, exec_lo
	v_cmpx_ne_u32_e32 0, v24
	s_cbranch_execz .LBB6_2890
; %bb.2885:                             ;   in Loop: Header=BB6_2291 Depth=4
	v_bfe_u32 v27, v24, 23, 8
	v_and_b32_e32 v23, 0x7fffff, v24
	v_cmp_gt_u32_e64 s16, 0x71, v27
	v_sub_nc_u32_e32 v30, 0x70, v27
	v_cmp_eq_u32_e32 vcc_lo, 0, v27
	v_or_b32_e32 v33, 0x800000, v23
	v_cndmask_b32_e64 v30, 0, v30, s16
	v_cndmask_b32_e32 v23, v33, v23, vcc_lo
	v_cndmask_b32_e64 v30, v30, 0x6f, vcc_lo
	v_lshl_add_u32 v33, 0x200000, v30, -1
	v_lshlrev_b32_e64 v36, v30, 0x100000
	v_and_b32_e32 v33, v33, v23
	v_cmp_eq_u32_e64 s16, v33, v36
	v_lshrrev_b32_e32 v33, v30, v23
	v_add_nc_u32_e32 v23, 0xffffff91, v27
	v_lshrrev_b32_e32 v27, 23, v33
	v_cndmask_b32_e64 v23, v23, 0xffffff92, vcc_lo
	v_xor_b32_e32 v27, 1, v27
	v_add_nc_u32_e32 v23, v30, v23
	v_bfe_u32 v30, v33, 21, 1
	v_add_nc_u32_e32 v30, -1, v30
	v_cndmask_b32_e64 v30, 0, v30, s16
	s_mov_b32 s16, exec_lo
	v_add_nc_u32_e32 v30, v30, v33
	v_and_b32_e32 v30, 0x1fffff, v30
	v_add_nc_u32_e32 v33, v30, v33
                                        ; implicit-def: $vgpr30
	v_cmpx_ne_u32_e64 v23, v27
	s_xor_b32 s16, exec_lo, s16
; %bb.2886:                             ;   in Loop: Header=BB6_2291 Depth=4
	v_cmp_lt_u32_e32 vcc_lo, 0xffffff, v33
	v_sub_nc_u32_e32 v23, v23, v27
	v_cndmask_b32_e64 v27, 0, 1, vcc_lo
	v_add_co_ci_u32_e64 v30, null, 0, v23, vcc_lo
	v_lshrrev_b32_e32 v33, v27, v33
; %bb.2887:                             ;   in Loop: Header=BB6_2291 Depth=4
	s_andn2_saveexec_b32 s16, s16
; %bb.2888:                             ;   in Loop: Header=BB6_2291 Depth=4
	v_bfe_u32 v30, v33, 23, 1
; %bb.2889:                             ;   in Loop: Header=BB6_2291 Depth=4
	s_or_b32 exec_lo, exec_lo, s16
	v_lshrrev_b32_e32 v23, 21, v33
	v_cmp_gt_i32_e32 vcc_lo, 32, v30
	v_min_i32_e32 v27, 31, v30
	v_and_b32_sdwa v24, v24, v60 dst_sel:DWORD dst_unused:UNUSED_PAD src0_sel:BYTE_3 src1_sel:DWORD
	v_cndmask_b32_e32 v23, 3, v23, vcc_lo
	v_lshlrev_b32_e32 v27, 2, v27
	v_and_b32_e32 v33, 3, v23
	v_or_b32_e32 v23, v30, v23
	v_or3_b32 v24, v27, v24, v33
	v_cmp_ne_u32_e32 vcc_lo, 0, v23
	v_cndmask_b32_e32 v23, 0, v24, vcc_lo
.LBB6_2890:                             ;   in Loop: Header=BB6_2291 Depth=4
	s_or_b32 exec_lo, exec_lo, s72
.LBB6_2891:                             ;   in Loop: Header=BB6_2291 Depth=4
	s_or_b32 exec_lo, exec_lo, s63
	v_cmp_gt_i16_sdwa s63, v20, v59 src0_sel:BYTE_0 src1_sel:DWORD
	s_mov_b32 s16, 0
	s_and_saveexec_b32 s72, s63
	s_xor_b32 s63, exec_lo, s72
	s_cbranch_execz .LBB6_3049
; %bb.2892:                             ;   in Loop: Header=BB6_2291 Depth=4
	v_cmp_eq_u16_sdwa s73, v20, v60 src0_sel:BYTE_0 src1_sel:DWORD
	s_mov_b32 s16, -1
	s_and_saveexec_b32 s72, s73
; %bb.2893:                             ;   in Loop: Header=BB6_2291 Depth=4
	s_xor_b32 s16, exec_lo, -1
; %bb.2894:                             ;   in Loop: Header=BB6_2291 Depth=4
	s_or_b32 exec_lo, exec_lo, s72
	s_and_b32 s16, s16, exec_lo
	s_or_saveexec_b32 s63, s63
	v_mov_b32_e32 v24, 0x7f800001
	s_xor_b32 exec_lo, exec_lo, s63
	s_cbranch_execnz .LBB6_3050
.LBB6_2895:                             ;   in Loop: Header=BB6_2291 Depth=4
	s_or_b32 exec_lo, exec_lo, s63
	s_and_saveexec_b32 s63, s16
	s_cbranch_execz .LBB6_2897
.LBB6_2896:                             ;   in Loop: Header=BB6_2291 Depth=4
	v_and_b32_e32 v24, 3, v20
	v_lshrrev_b16 v30, 2, v20
	v_ffbh_u32_e32 v27, v24
	v_and_b32_e32 v30, 31, v30
	v_min_u32_e32 v27, 32, v27
	v_cmp_eq_u32_e32 vcc_lo, 0, v30
	v_subrev_nc_u32_e32 v33, 29, v27
	v_sub_nc_u32_e32 v27, 30, v27
	v_lshlrev_b32_e32 v33, v33, v20
	v_lshlrev_b32_e32 v20, 24, v20
	v_cndmask_b32_e32 v27, v30, v27, vcc_lo
	v_and_b32_e32 v33, 3, v33
	v_and_b32_e32 v20, 0x80000000, v20
	v_lshl_add_u32 v27, v27, 23, 0x37800000
	v_cndmask_b32_e32 v24, v24, v33, vcc_lo
	v_lshlrev_b32_e32 v24, 21, v24
	v_or3_b32 v24, v20, v27, v24
.LBB6_2897:                             ;   in Loop: Header=BB6_2291 Depth=4
	s_or_b32 exec_lo, exec_lo, s63
	s_waitcnt vmcnt(1) lgkmcnt(1)
	v_cmp_gt_i16_sdwa s63, v21, v59 src0_sel:BYTE_0 src1_sel:DWORD
	s_mov_b32 s16, 0
	s_and_saveexec_b32 s72, s63
	s_xor_b32 s63, exec_lo, s72
	s_cbranch_execz .LBB6_3051
; %bb.2898:                             ;   in Loop: Header=BB6_2291 Depth=4
	v_cmp_eq_u16_sdwa s73, v21, v60 src0_sel:BYTE_0 src1_sel:DWORD
	s_mov_b32 s16, -1
	s_and_saveexec_b32 s72, s73
; %bb.2899:                             ;   in Loop: Header=BB6_2291 Depth=4
	s_xor_b32 s16, exec_lo, -1
; %bb.2900:                             ;   in Loop: Header=BB6_2291 Depth=4
	s_or_b32 exec_lo, exec_lo, s72
	s_and_b32 s16, s16, exec_lo
	s_or_saveexec_b32 s63, s63
	v_mov_b32_e32 v20, 0x7f800001
	s_xor_b32 exec_lo, exec_lo, s63
	s_cbranch_execnz .LBB6_3052
.LBB6_2901:                             ;   in Loop: Header=BB6_2291 Depth=4
	s_or_b32 exec_lo, exec_lo, s63
	s_and_saveexec_b32 s63, s16
	s_cbranch_execz .LBB6_2903
.LBB6_2902:                             ;   in Loop: Header=BB6_2291 Depth=4
	v_and_b32_e32 v20, 3, v21
	v_lshrrev_b16 v30, 2, v21
	v_ffbh_u32_e32 v27, v20
	v_and_b32_e32 v30, 31, v30
	v_min_u32_e32 v27, 32, v27
	v_cmp_eq_u32_e32 vcc_lo, 0, v30
	v_subrev_nc_u32_e32 v33, 29, v27
	v_sub_nc_u32_e32 v27, 30, v27
	v_lshlrev_b32_e32 v33, v33, v21
	v_lshlrev_b32_e32 v21, 24, v21
	v_cndmask_b32_e32 v27, v30, v27, vcc_lo
	v_and_b32_e32 v33, 3, v33
	v_and_b32_e32 v21, 0x80000000, v21
	v_lshl_add_u32 v27, v27, 23, 0x37800000
	v_cndmask_b32_e32 v20, v20, v33, vcc_lo
	v_lshlrev_b32_e32 v20, 21, v20
	v_or3_b32 v20, v21, v27, v20
.LBB6_2903:                             ;   in Loop: Header=BB6_2291 Depth=4
	s_or_b32 exec_lo, exec_lo, s63
	v_mul_f32_e32 v21, v24, v20
	v_and_b32_e32 v20, 0x7f800000, v21
	v_cmp_ne_u32_e32 vcc_lo, 0x7f800000, v20
	v_mov_b32_e32 v20, 0x80
	s_and_saveexec_b32 s63, vcc_lo
	s_cbranch_execz .LBB6_2911
; %bb.2904:                             ;   in Loop: Header=BB6_2291 Depth=4
	v_mov_b32_e32 v20, 0
	s_mov_b32 s72, exec_lo
	v_cmpx_ne_u32_e32 0, v21
	s_cbranch_execz .LBB6_2910
; %bb.2905:                             ;   in Loop: Header=BB6_2291 Depth=4
	v_bfe_u32 v24, v21, 23, 8
	v_and_b32_e32 v20, 0x7fffff, v21
	v_cmp_gt_u32_e64 s16, 0x71, v24
	v_sub_nc_u32_e32 v27, 0x70, v24
	v_cmp_eq_u32_e32 vcc_lo, 0, v24
	v_or_b32_e32 v30, 0x800000, v20
	v_cndmask_b32_e64 v27, 0, v27, s16
	v_cndmask_b32_e32 v20, v30, v20, vcc_lo
	v_cndmask_b32_e64 v27, v27, 0x6f, vcc_lo
	v_lshl_add_u32 v30, 0x200000, v27, -1
	v_lshlrev_b32_e64 v33, v27, 0x100000
	v_and_b32_e32 v30, v30, v20
	v_cmp_eq_u32_e64 s16, v30, v33
	v_lshrrev_b32_e32 v30, v27, v20
	v_add_nc_u32_e32 v20, 0xffffff91, v24
	v_lshrrev_b32_e32 v24, 23, v30
	v_cndmask_b32_e64 v20, v20, 0xffffff92, vcc_lo
	v_xor_b32_e32 v24, 1, v24
	v_add_nc_u32_e32 v20, v27, v20
	v_bfe_u32 v27, v30, 21, 1
	v_add_nc_u32_e32 v27, -1, v27
	v_cndmask_b32_e64 v27, 0, v27, s16
	s_mov_b32 s16, exec_lo
	v_add_nc_u32_e32 v27, v27, v30
	v_and_b32_e32 v27, 0x1fffff, v27
	v_add_nc_u32_e32 v30, v27, v30
                                        ; implicit-def: $vgpr27
	v_cmpx_ne_u32_e64 v20, v24
	s_xor_b32 s16, exec_lo, s16
; %bb.2906:                             ;   in Loop: Header=BB6_2291 Depth=4
	v_cmp_lt_u32_e32 vcc_lo, 0xffffff, v30
	v_sub_nc_u32_e32 v20, v20, v24
	v_cndmask_b32_e64 v24, 0, 1, vcc_lo
	v_add_co_ci_u32_e64 v27, null, 0, v20, vcc_lo
	v_lshrrev_b32_e32 v30, v24, v30
; %bb.2907:                             ;   in Loop: Header=BB6_2291 Depth=4
	s_andn2_saveexec_b32 s16, s16
; %bb.2908:                             ;   in Loop: Header=BB6_2291 Depth=4
	v_bfe_u32 v27, v30, 23, 1
; %bb.2909:                             ;   in Loop: Header=BB6_2291 Depth=4
	s_or_b32 exec_lo, exec_lo, s16
	v_lshrrev_b32_e32 v20, 21, v30
	v_cmp_gt_i32_e32 vcc_lo, 32, v27
	v_min_i32_e32 v24, 31, v27
	v_and_b32_sdwa v21, v21, v60 dst_sel:DWORD dst_unused:UNUSED_PAD src0_sel:BYTE_3 src1_sel:DWORD
	v_cndmask_b32_e32 v20, 3, v20, vcc_lo
	v_lshlrev_b32_e32 v24, 2, v24
	v_and_b32_e32 v30, 3, v20
	v_or_b32_e32 v20, v27, v20
	v_or3_b32 v21, v24, v21, v30
	v_cmp_ne_u32_e32 vcc_lo, 0, v20
	v_cndmask_b32_e32 v20, 0, v21, vcc_lo
.LBB6_2910:                             ;   in Loop: Header=BB6_2291 Depth=4
	s_or_b32 exec_lo, exec_lo, s72
.LBB6_2911:                             ;   in Loop: Header=BB6_2291 Depth=4
	s_or_b32 exec_lo, exec_lo, s63
	v_cmp_gt_i16_sdwa s63, v18, v59 src0_sel:BYTE_0 src1_sel:DWORD
	s_mov_b32 s16, 0
	s_and_saveexec_b32 s72, s63
	s_xor_b32 s63, exec_lo, s72
	s_cbranch_execz .LBB6_3053
; %bb.2912:                             ;   in Loop: Header=BB6_2291 Depth=4
	v_cmp_eq_u16_sdwa s73, v18, v60 src0_sel:BYTE_0 src1_sel:DWORD
	s_mov_b32 s16, -1
	s_and_saveexec_b32 s72, s73
; %bb.2913:                             ;   in Loop: Header=BB6_2291 Depth=4
	s_xor_b32 s16, exec_lo, -1
; %bb.2914:                             ;   in Loop: Header=BB6_2291 Depth=4
	s_or_b32 exec_lo, exec_lo, s72
	s_and_b32 s16, s16, exec_lo
	s_or_saveexec_b32 s63, s63
	v_mov_b32_e32 v21, 0x7f800001
	s_xor_b32 exec_lo, exec_lo, s63
	s_cbranch_execnz .LBB6_3054
.LBB6_2915:                             ;   in Loop: Header=BB6_2291 Depth=4
	s_or_b32 exec_lo, exec_lo, s63
	s_and_saveexec_b32 s63, s16
	s_cbranch_execz .LBB6_2917
.LBB6_2916:                             ;   in Loop: Header=BB6_2291 Depth=4
	v_and_b32_e32 v21, 3, v18
	v_lshrrev_b16 v27, 2, v18
	v_ffbh_u32_e32 v24, v21
	v_and_b32_e32 v27, 31, v27
	v_min_u32_e32 v24, 32, v24
	v_cmp_eq_u32_e32 vcc_lo, 0, v27
	v_subrev_nc_u32_e32 v30, 29, v24
	v_sub_nc_u32_e32 v24, 30, v24
	v_lshlrev_b32_e32 v30, v30, v18
	v_lshlrev_b32_e32 v18, 24, v18
	v_cndmask_b32_e32 v24, v27, v24, vcc_lo
	v_and_b32_e32 v30, 3, v30
	v_and_b32_e32 v18, 0x80000000, v18
	v_lshl_add_u32 v24, v24, 23, 0x37800000
	v_cndmask_b32_e32 v21, v21, v30, vcc_lo
	v_lshlrev_b32_e32 v21, 21, v21
	v_or3_b32 v21, v18, v24, v21
.LBB6_2917:                             ;   in Loop: Header=BB6_2291 Depth=4
	s_or_b32 exec_lo, exec_lo, s63
	s_waitcnt vmcnt(0) lgkmcnt(0)
	v_cmp_gt_i16_sdwa s63, v19, v59 src0_sel:BYTE_0 src1_sel:DWORD
	s_mov_b32 s16, 0
	s_and_saveexec_b32 s72, s63
	s_xor_b32 s63, exec_lo, s72
	s_cbranch_execz .LBB6_3055
; %bb.2918:                             ;   in Loop: Header=BB6_2291 Depth=4
	v_cmp_eq_u16_sdwa s73, v19, v60 src0_sel:BYTE_0 src1_sel:DWORD
	s_mov_b32 s16, -1
	s_and_saveexec_b32 s72, s73
; %bb.2919:                             ;   in Loop: Header=BB6_2291 Depth=4
	s_xor_b32 s16, exec_lo, -1
; %bb.2920:                             ;   in Loop: Header=BB6_2291 Depth=4
	s_or_b32 exec_lo, exec_lo, s72
	s_and_b32 s16, s16, exec_lo
	s_or_saveexec_b32 s63, s63
	v_mov_b32_e32 v18, 0x7f800001
	s_xor_b32 exec_lo, exec_lo, s63
	s_cbranch_execnz .LBB6_3056
.LBB6_2921:                             ;   in Loop: Header=BB6_2291 Depth=4
	s_or_b32 exec_lo, exec_lo, s63
	s_and_saveexec_b32 s63, s16
	s_cbranch_execz .LBB6_2923
.LBB6_2922:                             ;   in Loop: Header=BB6_2291 Depth=4
	v_and_b32_e32 v18, 3, v19
	v_lshrrev_b16 v27, 2, v19
	v_ffbh_u32_e32 v24, v18
	v_and_b32_e32 v27, 31, v27
	v_min_u32_e32 v24, 32, v24
	v_cmp_eq_u32_e32 vcc_lo, 0, v27
	v_subrev_nc_u32_e32 v30, 29, v24
	v_sub_nc_u32_e32 v24, 30, v24
	v_lshlrev_b32_e32 v30, v30, v19
	v_lshlrev_b32_e32 v19, 24, v19
	v_cndmask_b32_e32 v24, v27, v24, vcc_lo
	v_and_b32_e32 v30, 3, v30
	v_and_b32_e32 v19, 0x80000000, v19
	v_lshl_add_u32 v24, v24, 23, 0x37800000
	v_cndmask_b32_e32 v18, v18, v30, vcc_lo
	v_lshlrev_b32_e32 v18, 21, v18
	v_or3_b32 v18, v19, v24, v18
.LBB6_2923:                             ;   in Loop: Header=BB6_2291 Depth=4
	s_or_b32 exec_lo, exec_lo, s63
	v_mul_f32_e32 v19, v21, v18
	v_and_b32_e32 v18, 0x7f800000, v19
	v_cmp_ne_u32_e32 vcc_lo, 0x7f800000, v18
	v_mov_b32_e32 v18, 0x80
	s_and_saveexec_b32 s63, vcc_lo
	s_cbranch_execz .LBB6_2290
; %bb.2924:                             ;   in Loop: Header=BB6_2291 Depth=4
	v_mov_b32_e32 v18, 0
	s_mov_b32 s72, exec_lo
	v_cmpx_ne_u32_e32 0, v19
	s_cbranch_execz .LBB6_2289
; %bb.2925:                             ;   in Loop: Header=BB6_2291 Depth=4
	v_bfe_u32 v18, v19, 23, 8
	v_and_b32_e32 v21, 0x7fffff, v19
	v_sub_nc_u32_e32 v24, 0x70, v18
	v_cmp_gt_u32_e32 vcc_lo, 0x71, v18
	v_or_b32_e32 v27, 0x800000, v21
	v_cndmask_b32_e32 v24, 0, v24, vcc_lo
	v_cmp_eq_u32_e32 vcc_lo, 0, v18
	v_add_nc_u32_e32 v18, 0xffffff91, v18
	v_cndmask_b32_e64 v24, v24, 0x6f, vcc_lo
	v_cndmask_b32_e32 v21, v27, v21, vcc_lo
	v_cndmask_b32_e64 v18, v18, 0xffffff92, vcc_lo
	v_lshl_add_u32 v27, 0x200000, v24, -1
	v_lshrrev_b32_e32 v30, v24, v21
	v_lshlrev_b32_e64 v36, v24, 0x100000
	v_add_nc_u32_e32 v24, v24, v18
	v_and_b32_e32 v21, v27, v21
	v_bfe_u32 v33, v30, 21, 1
	v_cmp_eq_u32_e64 s16, v21, v36
	v_add_nc_u32_e32 v27, -1, v33
	v_cndmask_b32_e64 v21, 0, v27, s16
	v_lshrrev_b32_e32 v27, 23, v30
	s_mov_b32 s16, exec_lo
	v_add_nc_u32_e32 v21, v21, v30
	v_xor_b32_e32 v27, 1, v27
	v_and_b32_e32 v18, 0x1fffff, v21
	v_add_nc_u32_e32 v21, v18, v30
                                        ; implicit-def: $vgpr18
	v_cmpx_ne_u32_e64 v24, v27
	s_xor_b32 s16, exec_lo, s16
; %bb.2926:                             ;   in Loop: Header=BB6_2291 Depth=4
	v_cmp_lt_u32_e32 vcc_lo, 0xffffff, v21
	v_sub_nc_u32_e32 v18, v24, v27
	v_cndmask_b32_e64 v24, 0, 1, vcc_lo
	v_add_co_ci_u32_e64 v18, null, 0, v18, vcc_lo
	v_lshrrev_b32_e32 v21, v24, v21
; %bb.2927:                             ;   in Loop: Header=BB6_2291 Depth=4
	s_andn2_saveexec_b32 s16, s16
	s_cbranch_execz .LBB6_2288
; %bb.2928:                             ;   in Loop: Header=BB6_2291 Depth=4
	v_bfe_u32 v18, v21, 23, 1
	s_branch .LBB6_2288
.LBB6_2929:                             ;   in Loop: Header=BB6_2291 Depth=4
	s_or_saveexec_b32 s63, s63
	v_mov_b32_e32 v86, 0x7f800001
	s_xor_b32 exec_lo, exec_lo, s63
	s_cbranch_execz .LBB6_2295
.LBB6_2930:                             ;   in Loop: Header=BB6_2291 Depth=4
	v_cmp_ne_u16_e32 vcc_lo, 0, v109
	v_mov_b32_e32 v86, 0
	s_andn2_b32 s16, s16, exec_lo
	s_and_b32 s72, vcc_lo, exec_lo
	s_or_b32 s16, s16, s72
	s_or_b32 exec_lo, exec_lo, s63
	s_and_saveexec_b32 s63, s16
	s_cbranch_execnz .LBB6_2296
	s_branch .LBB6_2297
.LBB6_2931:                             ;   in Loop: Header=BB6_2291 Depth=4
	s_or_saveexec_b32 s16, s16
	v_mov_b32_e32 v87, 0x7f800001
	s_xor_b32 exec_lo, exec_lo, s16
	s_cbranch_execz .LBB6_2301
.LBB6_2932:                             ;   in Loop: Header=BB6_2291 Depth=4
	v_cmp_ne_u16_sdwa s72, v1, v2 src0_sel:BYTE_0 src1_sel:DWORD
	v_mov_b32_e32 v87, 0
	s_andn2_b32 s63, s63, exec_lo
	s_and_b32 s72, s72, exec_lo
	s_or_b32 s63, s63, s72
	s_or_b32 exec_lo, exec_lo, s16
	s_and_saveexec_b32 s16, s63
	s_cbranch_execnz .LBB6_2302
	s_branch .LBB6_2303
.LBB6_2933:                             ;   in Loop: Header=BB6_2291 Depth=4
	s_or_saveexec_b32 s63, s63
	v_mov_b32_e32 v86, 0x7f800001
	s_xor_b32 exec_lo, exec_lo, s63
	s_cbranch_execz .LBB6_2315
.LBB6_2934:                             ;   in Loop: Header=BB6_2291 Depth=4
	v_cmp_ne_u16_sdwa s72, v108, v2 src0_sel:BYTE_0 src1_sel:DWORD
	v_mov_b32_e32 v86, 0
	s_andn2_b32 s16, s16, exec_lo
	s_and_b32 s72, s72, exec_lo
	s_or_b32 s16, s16, s72
	s_or_b32 exec_lo, exec_lo, s63
	s_and_saveexec_b32 s63, s16
	s_cbranch_execnz .LBB6_2316
	s_branch .LBB6_2317
.LBB6_2935:                             ;   in Loop: Header=BB6_2291 Depth=4
	s_or_saveexec_b32 s63, s63
	v_mov_b32_e32 v87, 0x7f800001
	s_xor_b32 exec_lo, exec_lo, s63
	s_cbranch_execz .LBB6_2321
.LBB6_2936:                             ;   in Loop: Header=BB6_2291 Depth=4
	v_cmp_ne_u16_sdwa s72, v22, v2 src0_sel:BYTE_0 src1_sel:DWORD
	v_mov_b32_e32 v87, 0
	s_andn2_b32 s16, s16, exec_lo
	s_and_b32 s72, s72, exec_lo
	s_or_b32 s16, s16, s72
	s_or_b32 exec_lo, exec_lo, s63
	s_and_saveexec_b32 s63, s16
	s_cbranch_execnz .LBB6_2322
	s_branch .LBB6_2323
.LBB6_2937:                             ;   in Loop: Header=BB6_2291 Depth=4
	s_or_saveexec_b32 s63, s63
	v_mov_b32_e32 v86, 0x7f800001
	s_xor_b32 exec_lo, exec_lo, s63
	s_cbranch_execz .LBB6_2335
.LBB6_2938:                             ;   in Loop: Header=BB6_2291 Depth=4
	v_cmp_ne_u16_sdwa s72, v125, v2 src0_sel:BYTE_0 src1_sel:DWORD
	v_mov_b32_e32 v86, 0
	s_andn2_b32 s16, s16, exec_lo
	s_and_b32 s72, s72, exec_lo
	s_or_b32 s16, s16, s72
	s_or_b32 exec_lo, exec_lo, s63
	s_and_saveexec_b32 s63, s16
	s_cbranch_execnz .LBB6_2336
	s_branch .LBB6_2337
.LBB6_2939:                             ;   in Loop: Header=BB6_2291 Depth=4
	s_or_saveexec_b32 s63, s63
	v_mov_b32_e32 v87, 0x7f800001
	s_xor_b32 exec_lo, exec_lo, s63
	s_cbranch_execz .LBB6_2341
.LBB6_2940:                             ;   in Loop: Header=BB6_2291 Depth=4
	v_cmp_ne_u16_sdwa s72, v25, v2 src0_sel:BYTE_0 src1_sel:DWORD
	v_mov_b32_e32 v87, 0
	s_andn2_b32 s16, s16, exec_lo
	s_and_b32 s72, s72, exec_lo
	s_or_b32 s16, s16, s72
	s_or_b32 exec_lo, exec_lo, s63
	s_and_saveexec_b32 s63, s16
	s_cbranch_execnz .LBB6_2342
	s_branch .LBB6_2343
.LBB6_2941:                             ;   in Loop: Header=BB6_2291 Depth=4
	s_or_saveexec_b32 s63, s63
	v_mov_b32_e32 v86, 0x7f800001
	s_xor_b32 exec_lo, exec_lo, s63
	s_cbranch_execz .LBB6_2355
.LBB6_2942:                             ;   in Loop: Header=BB6_2291 Depth=4
	v_cmp_ne_u16_sdwa s72, v124, v2 src0_sel:BYTE_0 src1_sel:DWORD
	v_mov_b32_e32 v86, 0
	s_andn2_b32 s16, s16, exec_lo
	s_and_b32 s72, s72, exec_lo
	s_or_b32 s16, s16, s72
	s_or_b32 exec_lo, exec_lo, s63
	s_and_saveexec_b32 s63, s16
	s_cbranch_execnz .LBB6_2356
	s_branch .LBB6_2357
.LBB6_2943:                             ;   in Loop: Header=BB6_2291 Depth=4
	s_or_saveexec_b32 s63, s63
	v_mov_b32_e32 v87, 0x7f800001
	s_xor_b32 exec_lo, exec_lo, s63
	s_cbranch_execz .LBB6_2361
.LBB6_2944:                             ;   in Loop: Header=BB6_2291 Depth=4
	v_cmp_ne_u16_sdwa s72, v28, v2 src0_sel:BYTE_0 src1_sel:DWORD
	v_mov_b32_e32 v87, 0
	s_andn2_b32 s16, s16, exec_lo
	s_and_b32 s72, s72, exec_lo
	s_or_b32 s16, s16, s72
	s_or_b32 exec_lo, exec_lo, s63
	s_and_saveexec_b32 s63, s16
	s_cbranch_execnz .LBB6_2362
	s_branch .LBB6_2363
.LBB6_2945:                             ;   in Loop: Header=BB6_2291 Depth=4
	s_or_saveexec_b32 s63, s63
	v_mov_b32_e32 v86, 0x7f800001
	s_xor_b32 exec_lo, exec_lo, s63
	s_cbranch_execz .LBB6_2375
.LBB6_2946:                             ;   in Loop: Header=BB6_2291 Depth=4
	v_cmp_ne_u16_sdwa s72, v58, v2 src0_sel:BYTE_0 src1_sel:DWORD
	v_mov_b32_e32 v86, 0
	s_andn2_b32 s16, s16, exec_lo
	s_and_b32 s72, s72, exec_lo
	s_or_b32 s16, s16, s72
	s_or_b32 exec_lo, exec_lo, s63
	s_and_saveexec_b32 s63, s16
	s_cbranch_execnz .LBB6_2376
	s_branch .LBB6_2377
.LBB6_2947:                             ;   in Loop: Header=BB6_2291 Depth=4
	s_or_saveexec_b32 s63, s63
	v_mov_b32_e32 v87, 0x7f800001
	s_xor_b32 exec_lo, exec_lo, s63
	s_cbranch_execz .LBB6_2381
.LBB6_2948:                             ;   in Loop: Header=BB6_2291 Depth=4
	v_cmp_ne_u16_sdwa s72, v31, v2 src0_sel:BYTE_0 src1_sel:DWORD
	v_mov_b32_e32 v87, 0
	s_andn2_b32 s16, s16, exec_lo
	s_and_b32 s72, s72, exec_lo
	s_or_b32 s16, s16, s72
	s_or_b32 exec_lo, exec_lo, s63
	s_and_saveexec_b32 s63, s16
	s_cbranch_execnz .LBB6_2382
	s_branch .LBB6_2383
.LBB6_2949:                             ;   in Loop: Header=BB6_2291 Depth=4
	s_or_saveexec_b32 s63, s63
	v_mov_b32_e32 v86, 0x7f800001
	s_xor_b32 exec_lo, exec_lo, s63
	s_cbranch_execz .LBB6_2395
.LBB6_2950:                             ;   in Loop: Header=BB6_2291 Depth=4
	v_cmp_ne_u16_sdwa s72, v123, v2 src0_sel:BYTE_0 src1_sel:DWORD
	v_mov_b32_e32 v86, 0
	s_andn2_b32 s16, s16, exec_lo
	s_and_b32 s72, s72, exec_lo
	s_or_b32 s16, s16, s72
	s_or_b32 exec_lo, exec_lo, s63
	s_and_saveexec_b32 s63, s16
	s_cbranch_execnz .LBB6_2396
	s_branch .LBB6_2397
.LBB6_2951:                             ;   in Loop: Header=BB6_2291 Depth=4
	s_or_saveexec_b32 s63, s63
	v_mov_b32_e32 v87, 0x7f800001
	s_xor_b32 exec_lo, exec_lo, s63
	s_cbranch_execz .LBB6_2401
.LBB6_2952:                             ;   in Loop: Header=BB6_2291 Depth=4
	v_cmp_ne_u16_sdwa s72, v34, v2 src0_sel:BYTE_0 src1_sel:DWORD
	v_mov_b32_e32 v87, 0
	s_andn2_b32 s16, s16, exec_lo
	s_and_b32 s72, s72, exec_lo
	s_or_b32 s16, s16, s72
	s_or_b32 exec_lo, exec_lo, s63
	s_and_saveexec_b32 s63, s16
	s_cbranch_execnz .LBB6_2402
	s_branch .LBB6_2403
.LBB6_2953:                             ;   in Loop: Header=BB6_2291 Depth=4
	s_or_saveexec_b32 s63, s63
	v_mov_b32_e32 v86, 0x7f800001
	s_xor_b32 exec_lo, exec_lo, s63
	s_cbranch_execz .LBB6_2415
.LBB6_2954:                             ;   in Loop: Header=BB6_2291 Depth=4
	v_cmp_ne_u16_sdwa s72, v46, v2 src0_sel:BYTE_0 src1_sel:DWORD
	v_mov_b32_e32 v86, 0
	s_andn2_b32 s16, s16, exec_lo
	s_and_b32 s72, s72, exec_lo
	s_or_b32 s16, s16, s72
	s_or_b32 exec_lo, exec_lo, s63
	s_and_saveexec_b32 s63, s16
	s_cbranch_execnz .LBB6_2416
	s_branch .LBB6_2417
.LBB6_2955:                             ;   in Loop: Header=BB6_2291 Depth=4
	s_or_saveexec_b32 s63, s63
	v_mov_b32_e32 v87, 0x7f800001
	s_xor_b32 exec_lo, exec_lo, s63
	s_cbranch_execz .LBB6_2421
.LBB6_2956:                             ;   in Loop: Header=BB6_2291 Depth=4
	v_cmp_ne_u16_sdwa s72, v37, v2 src0_sel:BYTE_0 src1_sel:DWORD
	v_mov_b32_e32 v87, 0
	s_andn2_b32 s16, s16, exec_lo
	s_and_b32 s72, s72, exec_lo
	s_or_b32 s16, s16, s72
	s_or_b32 exec_lo, exec_lo, s63
	s_and_saveexec_b32 s63, s16
	s_cbranch_execnz .LBB6_2422
	s_branch .LBB6_2423
.LBB6_2957:                             ;   in Loop: Header=BB6_2291 Depth=4
	s_or_saveexec_b32 s63, s63
	v_mov_b32_e32 v86, 0x7f800001
	s_xor_b32 exec_lo, exec_lo, s63
	s_cbranch_execz .LBB6_2435
.LBB6_2958:                             ;   in Loop: Header=BB6_2291 Depth=4
	v_cmp_ne_u16_sdwa s72, v122, v2 src0_sel:BYTE_0 src1_sel:DWORD
	v_mov_b32_e32 v86, 0
	s_andn2_b32 s16, s16, exec_lo
	s_and_b32 s72, s72, exec_lo
	s_or_b32 s16, s16, s72
	s_or_b32 exec_lo, exec_lo, s63
	s_and_saveexec_b32 s63, s16
	s_cbranch_execnz .LBB6_2436
	s_branch .LBB6_2437
.LBB6_2959:                             ;   in Loop: Header=BB6_2291 Depth=4
	s_or_saveexec_b32 s63, s63
	v_mov_b32_e32 v87, 0x7f800001
	s_xor_b32 exec_lo, exec_lo, s63
	s_cbranch_execz .LBB6_2441
.LBB6_2960:                             ;   in Loop: Header=BB6_2291 Depth=4
	v_cmp_ne_u16_sdwa s72, v48, v2 src0_sel:BYTE_0 src1_sel:DWORD
	v_mov_b32_e32 v87, 0
	s_andn2_b32 s16, s16, exec_lo
	s_and_b32 s72, s72, exec_lo
	s_or_b32 s16, s16, s72
	s_or_b32 exec_lo, exec_lo, s63
	s_and_saveexec_b32 s63, s16
	s_cbranch_execnz .LBB6_2442
	s_branch .LBB6_2443
.LBB6_2961:                             ;   in Loop: Header=BB6_2291 Depth=4
	s_or_saveexec_b32 s63, s63
	v_mov_b32_e32 v86, 0x7f800001
	s_xor_b32 exec_lo, exec_lo, s63
	s_cbranch_execz .LBB6_2455
.LBB6_2962:                             ;   in Loop: Header=BB6_2291 Depth=4
	v_cmp_ne_u16_sdwa s72, v51, v2 src0_sel:BYTE_0 src1_sel:DWORD
	v_mov_b32_e32 v86, 0
	s_andn2_b32 s16, s16, exec_lo
	s_and_b32 s72, s72, exec_lo
	s_or_b32 s16, s16, s72
	s_or_b32 exec_lo, exec_lo, s63
	s_and_saveexec_b32 s63, s16
	s_cbranch_execnz .LBB6_2456
	s_branch .LBB6_2457
.LBB6_2963:                             ;   in Loop: Header=BB6_2291 Depth=4
	s_or_saveexec_b32 s63, s63
	v_mov_b32_e32 v51, 0x7f800001
	s_xor_b32 exec_lo, exec_lo, s63
	s_cbranch_execz .LBB6_2461
.LBB6_2964:                             ;   in Loop: Header=BB6_2291 Depth=4
	v_cmp_ne_u16_sdwa s72, v121, v2 src0_sel:BYTE_0 src1_sel:DWORD
	v_mov_b32_e32 v51, 0
	s_andn2_b32 s16, s16, exec_lo
	s_and_b32 s72, s72, exec_lo
	s_or_b32 s16, s16, s72
	s_or_b32 exec_lo, exec_lo, s63
	s_and_saveexec_b32 s63, s16
	s_cbranch_execnz .LBB6_2462
	s_branch .LBB6_2463
.LBB6_2965:                             ;   in Loop: Header=BB6_2291 Depth=4
	s_or_saveexec_b32 s63, s63
	v_mov_b32_e32 v86, 0x7f800001
	s_xor_b32 exec_lo, exec_lo, s63
	s_cbranch_execz .LBB6_2475
.LBB6_2966:                             ;   in Loop: Header=BB6_2291 Depth=4
	v_cmp_ne_u16_sdwa s72, v54, v2 src0_sel:BYTE_0 src1_sel:DWORD
	v_mov_b32_e32 v86, 0
	s_andn2_b32 s16, s16, exec_lo
	s_and_b32 s72, s72, exec_lo
	s_or_b32 s16, s16, s72
	s_or_b32 exec_lo, exec_lo, s63
	s_and_saveexec_b32 s63, s16
	s_cbranch_execnz .LBB6_2476
	s_branch .LBB6_2477
.LBB6_2967:                             ;   in Loop: Header=BB6_2291 Depth=4
	s_or_saveexec_b32 s63, s63
	v_mov_b32_e32 v54, 0x7f800001
	s_xor_b32 exec_lo, exec_lo, s63
	s_cbranch_execz .LBB6_2481
.LBB6_2968:                             ;   in Loop: Header=BB6_2291 Depth=4
	v_cmp_ne_u16_sdwa s72, v73, v2 src0_sel:BYTE_0 src1_sel:DWORD
	v_mov_b32_e32 v54, 0
	s_andn2_b32 s16, s16, exec_lo
	s_and_b32 s72, s72, exec_lo
	s_or_b32 s16, s16, s72
	s_or_b32 exec_lo, exec_lo, s63
	s_and_saveexec_b32 s63, s16
	s_cbranch_execnz .LBB6_2482
	s_branch .LBB6_2483
.LBB6_2969:                             ;   in Loop: Header=BB6_2291 Depth=4
	s_or_saveexec_b32 s63, s63
	v_mov_b32_e32 v86, 0x7f800001
	s_xor_b32 exec_lo, exec_lo, s63
	s_cbranch_execz .LBB6_2495
.LBB6_2970:                             ;   in Loop: Header=BB6_2291 Depth=4
	v_cmp_ne_u16_sdwa s72, v83, v2 src0_sel:BYTE_0 src1_sel:DWORD
	v_mov_b32_e32 v86, 0
	s_andn2_b32 s16, s16, exec_lo
	s_and_b32 s72, s72, exec_lo
	s_or_b32 s16, s16, s72
	s_or_b32 exec_lo, exec_lo, s63
	s_and_saveexec_b32 s63, s16
	s_cbranch_execnz .LBB6_2496
	s_branch .LBB6_2497
.LBB6_2971:                             ;   in Loop: Header=BB6_2291 Depth=4
	s_or_saveexec_b32 s63, s63
	v_mov_b32_e32 v83, 0x7f800001
	s_xor_b32 exec_lo, exec_lo, s63
	s_cbranch_execz .LBB6_2501
.LBB6_2972:                             ;   in Loop: Header=BB6_2291 Depth=4
	v_cmp_ne_u16_sdwa s72, v105, v2 src0_sel:BYTE_0 src1_sel:DWORD
	v_mov_b32_e32 v83, 0
	s_andn2_b32 s16, s16, exec_lo
	s_and_b32 s72, s72, exec_lo
	s_or_b32 s16, s16, s72
	s_or_b32 exec_lo, exec_lo, s63
	s_and_saveexec_b32 s63, s16
	s_cbranch_execnz .LBB6_2502
	s_branch .LBB6_2503
.LBB6_2973:                             ;   in Loop: Header=BB6_2291 Depth=4
	s_or_saveexec_b32 s63, s63
	v_mov_b32_e32 v86, 0x7f800001
	s_xor_b32 exec_lo, exec_lo, s63
	s_cbranch_execz .LBB6_2515
.LBB6_2974:                             ;   in Loop: Header=BB6_2291 Depth=4
	v_cmp_ne_u16_sdwa s72, v101, v2 src0_sel:BYTE_0 src1_sel:DWORD
	v_mov_b32_e32 v86, 0
	s_andn2_b32 s16, s16, exec_lo
	s_and_b32 s72, s72, exec_lo
	s_or_b32 s16, s16, s72
	s_or_b32 exec_lo, exec_lo, s63
	s_and_saveexec_b32 s63, s16
	s_cbranch_execnz .LBB6_2516
	s_branch .LBB6_2517
.LBB6_2975:                             ;   in Loop: Header=BB6_2291 Depth=4
	s_or_saveexec_b32 s63, s63
	v_mov_b32_e32 v87, 0x7f800001
	s_xor_b32 exec_lo, exec_lo, s63
	s_cbranch_execz .LBB6_2521
.LBB6_2976:                             ;   in Loop: Header=BB6_2291 Depth=4
	v_cmp_ne_u16_sdwa s72, v120, v2 src0_sel:BYTE_0 src1_sel:DWORD
	v_mov_b32_e32 v87, 0
	s_andn2_b32 s16, s16, exec_lo
	s_and_b32 s72, s72, exec_lo
	s_or_b32 s16, s16, s72
	s_or_b32 exec_lo, exec_lo, s63
	s_and_saveexec_b32 s63, s16
	s_cbranch_execnz .LBB6_2522
	s_branch .LBB6_2523
.LBB6_2977:                             ;   in Loop: Header=BB6_2291 Depth=4
	s_or_saveexec_b32 s63, s63
	v_mov_b32_e32 v86, 0x7f800001
	s_xor_b32 exec_lo, exec_lo, s63
	s_cbranch_execz .LBB6_2535
.LBB6_2978:                             ;   in Loop: Header=BB6_2291 Depth=4
	v_cmp_ne_u16_sdwa s72, v114, v2 src0_sel:BYTE_0 src1_sel:DWORD
	v_mov_b32_e32 v86, 0
	s_andn2_b32 s16, s16, exec_lo
	s_and_b32 s72, s72, exec_lo
	s_or_b32 s16, s16, s72
	s_or_b32 exec_lo, exec_lo, s63
	s_and_saveexec_b32 s63, s16
	s_cbranch_execnz .LBB6_2536
	s_branch .LBB6_2537
.LBB6_2979:                             ;   in Loop: Header=BB6_2291 Depth=4
	s_or_saveexec_b32 s63, s63
	v_mov_b32_e32 v87, 0x7f800001
	s_xor_b32 exec_lo, exec_lo, s63
	s_cbranch_execz .LBB6_2541
.LBB6_2980:                             ;   in Loop: Header=BB6_2291 Depth=4
	v_cmp_ne_u16_sdwa s72, v111, v2 src0_sel:BYTE_0 src1_sel:DWORD
	v_mov_b32_e32 v87, 0
	s_andn2_b32 s16, s16, exec_lo
	s_and_b32 s72, s72, exec_lo
	s_or_b32 s16, s16, s72
	s_or_b32 exec_lo, exec_lo, s63
	s_and_saveexec_b32 s63, s16
	s_cbranch_execnz .LBB6_2542
	s_branch .LBB6_2543
.LBB6_2981:                             ;   in Loop: Header=BB6_2291 Depth=4
	s_or_saveexec_b32 s63, s63
	v_mov_b32_e32 v86, 0x7f800001
	s_xor_b32 exec_lo, exec_lo, s63
	s_cbranch_execz .LBB6_2555
.LBB6_2982:                             ;   in Loop: Header=BB6_2291 Depth=4
	v_cmp_ne_u16_sdwa s72, v117, v2 src0_sel:BYTE_0 src1_sel:DWORD
	v_mov_b32_e32 v86, 0
	s_andn2_b32 s16, s16, exec_lo
	s_and_b32 s72, s72, exec_lo
	s_or_b32 s16, s16, s72
	s_or_b32 exec_lo, exec_lo, s63
	s_and_saveexec_b32 s63, s16
	s_cbranch_execnz .LBB6_2556
	s_branch .LBB6_2557
.LBB6_2983:                             ;   in Loop: Header=BB6_2291 Depth=4
	s_or_saveexec_b32 s63, s63
	v_mov_b32_e32 v87, 0x7f800001
	s_xor_b32 exec_lo, exec_lo, s63
	s_cbranch_execz .LBB6_2561
.LBB6_2984:                             ;   in Loop: Header=BB6_2291 Depth=4
	v_cmp_ne_u16_sdwa s72, v40, v2 src0_sel:BYTE_0 src1_sel:DWORD
	v_mov_b32_e32 v87, 0
	s_andn2_b32 s16, s16, exec_lo
	s_and_b32 s72, s72, exec_lo
	s_or_b32 s16, s16, s72
	s_or_b32 exec_lo, exec_lo, s63
	s_and_saveexec_b32 s63, s16
	s_cbranch_execnz .LBB6_2562
	s_branch .LBB6_2563
.LBB6_2985:                             ;   in Loop: Header=BB6_2291 Depth=4
	s_or_saveexec_b32 s63, s63
	v_mov_b32_e32 v86, 0x7f800001
	s_xor_b32 exec_lo, exec_lo, s63
	s_cbranch_execz .LBB6_2575
.LBB6_2986:                             ;   in Loop: Header=BB6_2291 Depth=4
	v_cmp_ne_u16_sdwa s72, v98, v2 src0_sel:BYTE_0 src1_sel:DWORD
	v_mov_b32_e32 v86, 0
	s_andn2_b32 s16, s16, exec_lo
	s_and_b32 s72, s72, exec_lo
	s_or_b32 s16, s16, s72
	s_or_b32 exec_lo, exec_lo, s63
	s_and_saveexec_b32 s63, s16
	s_cbranch_execnz .LBB6_2576
	s_branch .LBB6_2577
.LBB6_2987:                             ;   in Loop: Header=BB6_2291 Depth=4
	s_or_saveexec_b32 s63, s63
	v_mov_b32_e32 v87, 0x7f800001
	s_xor_b32 exec_lo, exec_lo, s63
	s_cbranch_execz .LBB6_2581
.LBB6_2988:                             ;   in Loop: Header=BB6_2291 Depth=4
	v_cmp_ne_u16_sdwa s72, v99, v2 src0_sel:BYTE_0 src1_sel:DWORD
	v_mov_b32_e32 v87, 0
	s_andn2_b32 s16, s16, exec_lo
	s_and_b32 s72, s72, exec_lo
	s_or_b32 s16, s16, s72
	s_or_b32 exec_lo, exec_lo, s63
	s_and_saveexec_b32 s63, s16
	s_cbranch_execnz .LBB6_2582
	s_branch .LBB6_2583
.LBB6_2989:                             ;   in Loop: Header=BB6_2291 Depth=4
	s_or_saveexec_b32 s63, s63
	v_mov_b32_e32 v86, 0x7f800001
	s_xor_b32 exec_lo, exec_lo, s63
	s_cbranch_execz .LBB6_2595
.LBB6_2990:                             ;   in Loop: Header=BB6_2291 Depth=4
	v_cmp_ne_u16_sdwa s72, v107, v2 src0_sel:BYTE_0 src1_sel:DWORD
	v_mov_b32_e32 v86, 0
	s_andn2_b32 s16, s16, exec_lo
	s_and_b32 s72, s72, exec_lo
	s_or_b32 s16, s16, s72
	s_or_b32 exec_lo, exec_lo, s63
	s_and_saveexec_b32 s63, s16
	s_cbranch_execnz .LBB6_2596
	s_branch .LBB6_2597
.LBB6_2991:                             ;   in Loop: Header=BB6_2291 Depth=4
	s_or_saveexec_b32 s63, s63
	v_mov_b32_e32 v87, 0x7f800001
	s_xor_b32 exec_lo, exec_lo, s63
	s_cbranch_execz .LBB6_2601
.LBB6_2992:                             ;   in Loop: Header=BB6_2291 Depth=4
	v_cmp_ne_u16_sdwa s72, v110, v2 src0_sel:BYTE_0 src1_sel:DWORD
	v_mov_b32_e32 v87, 0
	s_andn2_b32 s16, s16, exec_lo
	s_and_b32 s72, s72, exec_lo
	s_or_b32 s16, s16, s72
	s_or_b32 exec_lo, exec_lo, s63
	s_and_saveexec_b32 s63, s16
	s_cbranch_execnz .LBB6_2602
	s_branch .LBB6_2603
.LBB6_2993:                             ;   in Loop: Header=BB6_2291 Depth=4
	s_or_saveexec_b32 s63, s63
	v_mov_b32_e32 v86, 0x7f800001
	s_xor_b32 exec_lo, exec_lo, s63
	s_cbranch_execz .LBB6_2615
.LBB6_2994:                             ;   in Loop: Header=BB6_2291 Depth=4
	v_cmp_ne_u16_sdwa s72, v41, v2 src0_sel:BYTE_0 src1_sel:DWORD
	v_mov_b32_e32 v86, 0
	s_andn2_b32 s16, s16, exec_lo
	s_and_b32 s72, s72, exec_lo
	s_or_b32 s16, s16, s72
	s_or_b32 exec_lo, exec_lo, s63
	s_and_saveexec_b32 s63, s16
	s_cbranch_execnz .LBB6_2616
	s_branch .LBB6_2617
.LBB6_2995:                             ;   in Loop: Header=BB6_2291 Depth=4
	s_or_saveexec_b32 s63, s63
	v_mov_b32_e32 v87, 0x7f800001
	s_xor_b32 exec_lo, exec_lo, s63
	s_cbranch_execz .LBB6_2621
.LBB6_2996:                             ;   in Loop: Header=BB6_2291 Depth=4
	v_cmp_ne_u16_sdwa s72, v91, v2 src0_sel:BYTE_0 src1_sel:DWORD
	v_mov_b32_e32 v87, 0
	s_andn2_b32 s16, s16, exec_lo
	s_and_b32 s72, s72, exec_lo
	s_or_b32 s16, s16, s72
	s_or_b32 exec_lo, exec_lo, s63
	s_and_saveexec_b32 s63, s16
	s_cbranch_execnz .LBB6_2622
	s_branch .LBB6_2623
.LBB6_2997:                             ;   in Loop: Header=BB6_2291 Depth=4
	s_or_saveexec_b32 s63, s63
	v_mov_b32_e32 v86, 0x7f800001
	s_xor_b32 exec_lo, exec_lo, s63
	s_cbranch_execz .LBB6_2635
.LBB6_2998:                             ;   in Loop: Header=BB6_2291 Depth=4
	v_cmp_ne_u16_sdwa s72, v118, v2 src0_sel:BYTE_0 src1_sel:DWORD
	v_mov_b32_e32 v86, 0
	s_andn2_b32 s16, s16, exec_lo
	s_and_b32 s72, s72, exec_lo
	s_or_b32 s16, s16, s72
	s_or_b32 exec_lo, exec_lo, s63
	s_and_saveexec_b32 s63, s16
	s_cbranch_execnz .LBB6_2636
	s_branch .LBB6_2637
.LBB6_2999:                             ;   in Loop: Header=BB6_2291 Depth=4
	s_or_saveexec_b32 s63, s63
	v_mov_b32_e32 v87, 0x7f800001
	s_xor_b32 exec_lo, exec_lo, s63
	s_cbranch_execz .LBB6_2641
.LBB6_3000:                             ;   in Loop: Header=BB6_2291 Depth=4
	v_cmp_ne_u16_sdwa s72, v119, v2 src0_sel:BYTE_0 src1_sel:DWORD
	v_mov_b32_e32 v87, 0
	s_andn2_b32 s16, s16, exec_lo
	s_and_b32 s72, s72, exec_lo
	s_or_b32 s16, s16, s72
	s_or_b32 exec_lo, exec_lo, s63
	s_and_saveexec_b32 s63, s16
	s_cbranch_execnz .LBB6_2642
	s_branch .LBB6_2643
.LBB6_3001:                             ;   in Loop: Header=BB6_2291 Depth=4
	s_or_saveexec_b32 s63, s63
	v_mov_b32_e32 v86, 0x7f800001
	s_xor_b32 exec_lo, exec_lo, s63
	s_cbranch_execz .LBB6_2655
.LBB6_3002:                             ;   in Loop: Header=BB6_2291 Depth=4
	v_cmp_ne_u16_sdwa s72, v115, v2 src0_sel:BYTE_0 src1_sel:DWORD
	v_mov_b32_e32 v86, 0
	s_andn2_b32 s16, s16, exec_lo
	s_and_b32 s72, s72, exec_lo
	s_or_b32 s16, s16, s72
	s_or_b32 exec_lo, exec_lo, s63
	s_and_saveexec_b32 s63, s16
	s_cbranch_execnz .LBB6_2656
	s_branch .LBB6_2657
.LBB6_3003:                             ;   in Loop: Header=BB6_2291 Depth=4
	s_or_saveexec_b32 s63, s63
	v_mov_b32_e32 v87, 0x7f800001
	s_xor_b32 exec_lo, exec_lo, s63
	s_cbranch_execz .LBB6_2661
.LBB6_3004:                             ;   in Loop: Header=BB6_2291 Depth=4
	v_cmp_ne_u16_sdwa s72, v116, v2 src0_sel:BYTE_0 src1_sel:DWORD
	v_mov_b32_e32 v87, 0
	s_andn2_b32 s16, s16, exec_lo
	s_and_b32 s72, s72, exec_lo
	s_or_b32 s16, s16, s72
	s_or_b32 exec_lo, exec_lo, s63
	s_and_saveexec_b32 s63, s16
	s_cbranch_execnz .LBB6_2662
	s_branch .LBB6_2663
.LBB6_3005:                             ;   in Loop: Header=BB6_2291 Depth=4
	s_or_saveexec_b32 s63, s63
	v_mov_b32_e32 v86, 0x7f800001
	s_xor_b32 exec_lo, exec_lo, s63
	s_cbranch_execz .LBB6_2675
.LBB6_3006:                             ;   in Loop: Header=BB6_2291 Depth=4
	v_cmp_ne_u16_sdwa s72, v112, v2 src0_sel:BYTE_0 src1_sel:DWORD
	v_mov_b32_e32 v86, 0
	s_andn2_b32 s16, s16, exec_lo
	s_and_b32 s72, s72, exec_lo
	s_or_b32 s16, s16, s72
	s_or_b32 exec_lo, exec_lo, s63
	s_and_saveexec_b32 s63, s16
	s_cbranch_execnz .LBB6_2676
	s_branch .LBB6_2677
.LBB6_3007:                             ;   in Loop: Header=BB6_2291 Depth=4
	s_or_saveexec_b32 s63, s63
	v_mov_b32_e32 v87, 0x7f800001
	s_xor_b32 exec_lo, exec_lo, s63
	s_cbranch_execz .LBB6_2681
.LBB6_3008:                             ;   in Loop: Header=BB6_2291 Depth=4
	v_cmp_ne_u16_sdwa s72, v113, v2 src0_sel:BYTE_0 src1_sel:DWORD
	v_mov_b32_e32 v87, 0
	s_andn2_b32 s16, s16, exec_lo
	s_and_b32 s72, s72, exec_lo
	s_or_b32 s16, s16, s72
	s_or_b32 exec_lo, exec_lo, s63
	s_and_saveexec_b32 s63, s16
	s_cbranch_execnz .LBB6_2682
	s_branch .LBB6_2683
.LBB6_3009:                             ;   in Loop: Header=BB6_2291 Depth=4
	s_or_saveexec_b32 s63, s63
	v_mov_b32_e32 v86, 0x7f800001
	s_xor_b32 exec_lo, exec_lo, s63
	s_cbranch_execz .LBB6_2695
.LBB6_3010:                             ;   in Loop: Header=BB6_2291 Depth=4
	v_cmp_ne_u16_sdwa s72, v84, v2 src0_sel:BYTE_0 src1_sel:DWORD
	v_mov_b32_e32 v86, 0
	s_andn2_b32 s16, s16, exec_lo
	s_and_b32 s72, s72, exec_lo
	s_or_b32 s16, s16, s72
	s_or_b32 exec_lo, exec_lo, s63
	s_and_saveexec_b32 s63, s16
	s_cbranch_execnz .LBB6_2696
	s_branch .LBB6_2697
.LBB6_3011:                             ;   in Loop: Header=BB6_2291 Depth=4
	s_or_saveexec_b32 s63, s63
	v_mov_b32_e32 v84, 0x7f800001
	s_xor_b32 exec_lo, exec_lo, s63
	s_cbranch_execz .LBB6_2701
.LBB6_3012:                             ;   in Loop: Header=BB6_2291 Depth=4
	v_cmp_ne_u16_sdwa s72, v85, v2 src0_sel:BYTE_0 src1_sel:DWORD
	v_mov_b32_e32 v84, 0
	s_andn2_b32 s16, s16, exec_lo
	s_and_b32 s72, s72, exec_lo
	s_or_b32 s16, s16, s72
	s_or_b32 exec_lo, exec_lo, s63
	s_and_saveexec_b32 s63, s16
	s_cbranch_execnz .LBB6_2702
	s_branch .LBB6_2703
.LBB6_3013:                             ;   in Loop: Header=BB6_2291 Depth=4
	s_or_saveexec_b32 s63, s63
	v_mov_b32_e32 v85, 0x7f800001
	s_xor_b32 exec_lo, exec_lo, s63
	s_cbranch_execz .LBB6_2715
.LBB6_3014:                             ;   in Loop: Header=BB6_2291 Depth=4
	v_cmp_ne_u16_sdwa s72, v55, v2 src0_sel:BYTE_0 src1_sel:DWORD
	v_mov_b32_e32 v85, 0
	s_andn2_b32 s16, s16, exec_lo
	s_and_b32 s72, s72, exec_lo
	s_or_b32 s16, s16, s72
	s_or_b32 exec_lo, exec_lo, s63
	s_and_saveexec_b32 s63, s16
	s_cbranch_execnz .LBB6_2716
	s_branch .LBB6_2717
.LBB6_3015:                             ;   in Loop: Header=BB6_2291 Depth=4
	s_or_saveexec_b32 s63, s63
	v_mov_b32_e32 v55, 0x7f800001
	s_xor_b32 exec_lo, exec_lo, s63
	s_cbranch_execz .LBB6_2721
.LBB6_3016:                             ;   in Loop: Header=BB6_2291 Depth=4
	v_cmp_ne_u16_sdwa s72, v82, v2 src0_sel:BYTE_0 src1_sel:DWORD
	v_mov_b32_e32 v55, 0
	s_andn2_b32 s16, s16, exec_lo
	s_and_b32 s72, s72, exec_lo
	s_or_b32 s16, s16, s72
	s_or_b32 exec_lo, exec_lo, s63
	s_and_saveexec_b32 s63, s16
	s_cbranch_execnz .LBB6_2722
	s_branch .LBB6_2723
.LBB6_3017:                             ;   in Loop: Header=BB6_2291 Depth=4
	s_or_saveexec_b32 s63, s63
	v_mov_b32_e32 v82, 0x7f800001
	s_xor_b32 exec_lo, exec_lo, s63
	s_cbranch_execz .LBB6_2735
.LBB6_3018:                             ;   in Loop: Header=BB6_2291 Depth=4
	v_cmp_ne_u16_sdwa s72, v52, v2 src0_sel:BYTE_0 src1_sel:DWORD
	v_mov_b32_e32 v82, 0
	s_andn2_b32 s16, s16, exec_lo
	s_and_b32 s72, s72, exec_lo
	s_or_b32 s16, s16, s72
	s_or_b32 exec_lo, exec_lo, s63
	s_and_saveexec_b32 s63, s16
	s_cbranch_execnz .LBB6_2736
	s_branch .LBB6_2737
.LBB6_3019:                             ;   in Loop: Header=BB6_2291 Depth=4
	s_or_saveexec_b32 s63, s63
	v_mov_b32_e32 v52, 0x7f800001
	s_xor_b32 exec_lo, exec_lo, s63
	s_cbranch_execz .LBB6_2741
.LBB6_3020:                             ;   in Loop: Header=BB6_2291 Depth=4
	v_cmp_ne_u16_sdwa s72, v53, v2 src0_sel:BYTE_0 src1_sel:DWORD
	v_mov_b32_e32 v52, 0
	s_andn2_b32 s16, s16, exec_lo
	s_and_b32 s72, s72, exec_lo
	s_or_b32 s16, s16, s72
	s_or_b32 exec_lo, exec_lo, s63
	s_and_saveexec_b32 s63, s16
	s_cbranch_execnz .LBB6_2742
	s_branch .LBB6_2743
.LBB6_3021:                             ;   in Loop: Header=BB6_2291 Depth=4
	s_or_saveexec_b32 s63, s63
	v_mov_b32_e32 v53, 0x7f800001
	s_xor_b32 exec_lo, exec_lo, s63
	s_cbranch_execz .LBB6_2755
.LBB6_3022:                             ;   in Loop: Header=BB6_2291 Depth=4
	v_cmp_ne_u16_sdwa s72, v49, v2 src0_sel:BYTE_0 src1_sel:DWORD
	v_mov_b32_e32 v53, 0
	s_andn2_b32 s16, s16, exec_lo
	s_and_b32 s72, s72, exec_lo
	s_or_b32 s16, s16, s72
	s_or_b32 exec_lo, exec_lo, s63
	s_and_saveexec_b32 s63, s16
	s_cbranch_execnz .LBB6_2756
	s_branch .LBB6_2757
.LBB6_3023:                             ;   in Loop: Header=BB6_2291 Depth=4
	s_or_saveexec_b32 s63, s63
	v_mov_b32_e32 v49, 0x7f800001
	s_xor_b32 exec_lo, exec_lo, s63
	s_cbranch_execz .LBB6_2761
.LBB6_3024:                             ;   in Loop: Header=BB6_2291 Depth=4
	v_cmp_ne_u16_sdwa s72, v50, v2 src0_sel:BYTE_0 src1_sel:DWORD
	v_mov_b32_e32 v49, 0
	s_andn2_b32 s16, s16, exec_lo
	s_and_b32 s72, s72, exec_lo
	s_or_b32 s16, s16, s72
	s_or_b32 exec_lo, exec_lo, s63
	s_and_saveexec_b32 s63, s16
	s_cbranch_execnz .LBB6_2762
	s_branch .LBB6_2763
.LBB6_3025:                             ;   in Loop: Header=BB6_2291 Depth=4
	s_or_saveexec_b32 s63, s63
	v_mov_b32_e32 v50, 0x7f800001
	s_xor_b32 exec_lo, exec_lo, s63
	s_cbranch_execz .LBB6_2775
.LBB6_3026:                             ;   in Loop: Header=BB6_2291 Depth=4
	v_cmp_ne_u16_sdwa s72, v38, v2 src0_sel:BYTE_0 src1_sel:DWORD
	v_mov_b32_e32 v50, 0
	s_andn2_b32 s16, s16, exec_lo
	s_and_b32 s72, s72, exec_lo
	s_or_b32 s16, s16, s72
	s_or_b32 exec_lo, exec_lo, s63
	s_and_saveexec_b32 s63, s16
	s_cbranch_execnz .LBB6_2776
	s_branch .LBB6_2777
.LBB6_3027:                             ;   in Loop: Header=BB6_2291 Depth=4
	s_or_saveexec_b32 s63, s63
	v_mov_b32_e32 v38, 0x7f800001
	s_xor_b32 exec_lo, exec_lo, s63
	s_cbranch_execz .LBB6_2781
.LBB6_3028:                             ;   in Loop: Header=BB6_2291 Depth=4
	v_cmp_ne_u16_sdwa s72, v39, v2 src0_sel:BYTE_0 src1_sel:DWORD
	v_mov_b32_e32 v38, 0
	s_andn2_b32 s16, s16, exec_lo
	s_and_b32 s72, s72, exec_lo
	s_or_b32 s16, s16, s72
	s_or_b32 exec_lo, exec_lo, s63
	s_and_saveexec_b32 s63, s16
	s_cbranch_execnz .LBB6_2782
	s_branch .LBB6_2783
.LBB6_3029:                             ;   in Loop: Header=BB6_2291 Depth=4
	s_or_saveexec_b32 s63, s63
	v_mov_b32_e32 v39, 0x7f800001
	s_xor_b32 exec_lo, exec_lo, s63
	s_cbranch_execz .LBB6_2795
.LBB6_3030:                             ;   in Loop: Header=BB6_2291 Depth=4
	v_cmp_ne_u16_sdwa s72, v35, v2 src0_sel:BYTE_0 src1_sel:DWORD
	v_mov_b32_e32 v39, 0
	s_andn2_b32 s16, s16, exec_lo
	s_and_b32 s72, s72, exec_lo
	s_or_b32 s16, s16, s72
	s_or_b32 exec_lo, exec_lo, s63
	s_and_saveexec_b32 s63, s16
	s_cbranch_execnz .LBB6_2796
	s_branch .LBB6_2797
.LBB6_3031:                             ;   in Loop: Header=BB6_2291 Depth=4
	s_or_saveexec_b32 s63, s63
	v_mov_b32_e32 v35, 0x7f800001
	s_xor_b32 exec_lo, exec_lo, s63
	s_cbranch_execz .LBB6_2801
.LBB6_3032:                             ;   in Loop: Header=BB6_2291 Depth=4
	v_cmp_ne_u16_sdwa s72, v36, v2 src0_sel:BYTE_0 src1_sel:DWORD
	v_mov_b32_e32 v35, 0
	s_andn2_b32 s16, s16, exec_lo
	s_and_b32 s72, s72, exec_lo
	s_or_b32 s16, s16, s72
	s_or_b32 exec_lo, exec_lo, s63
	s_and_saveexec_b32 s63, s16
	s_cbranch_execnz .LBB6_2802
	s_branch .LBB6_2803
.LBB6_3033:                             ;   in Loop: Header=BB6_2291 Depth=4
	s_or_saveexec_b32 s63, s63
	v_mov_b32_e32 v36, 0x7f800001
	s_xor_b32 exec_lo, exec_lo, s63
	s_cbranch_execz .LBB6_2815
.LBB6_3034:                             ;   in Loop: Header=BB6_2291 Depth=4
	v_cmp_ne_u16_sdwa s72, v32, v2 src0_sel:BYTE_0 src1_sel:DWORD
	v_mov_b32_e32 v36, 0
	s_andn2_b32 s16, s16, exec_lo
	s_and_b32 s72, s72, exec_lo
	s_or_b32 s16, s16, s72
	s_or_b32 exec_lo, exec_lo, s63
	s_and_saveexec_b32 s63, s16
	s_cbranch_execnz .LBB6_2816
	s_branch .LBB6_2817
.LBB6_3035:                             ;   in Loop: Header=BB6_2291 Depth=4
	s_or_saveexec_b32 s63, s63
	v_mov_b32_e32 v32, 0x7f800001
	s_xor_b32 exec_lo, exec_lo, s63
	s_cbranch_execz .LBB6_2821
.LBB6_3036:                             ;   in Loop: Header=BB6_2291 Depth=4
	v_cmp_ne_u16_sdwa s72, v33, v2 src0_sel:BYTE_0 src1_sel:DWORD
	v_mov_b32_e32 v32, 0
	s_andn2_b32 s16, s16, exec_lo
	s_and_b32 s72, s72, exec_lo
	s_or_b32 s16, s16, s72
	s_or_b32 exec_lo, exec_lo, s63
	s_and_saveexec_b32 s63, s16
	s_cbranch_execnz .LBB6_2822
	s_branch .LBB6_2823
.LBB6_3037:                             ;   in Loop: Header=BB6_2291 Depth=4
	s_or_saveexec_b32 s63, s63
	v_mov_b32_e32 v33, 0x7f800001
	s_xor_b32 exec_lo, exec_lo, s63
	s_cbranch_execz .LBB6_2835
.LBB6_3038:                             ;   in Loop: Header=BB6_2291 Depth=4
	v_cmp_ne_u16_sdwa s72, v29, v2 src0_sel:BYTE_0 src1_sel:DWORD
	v_mov_b32_e32 v33, 0
	s_andn2_b32 s16, s16, exec_lo
	s_and_b32 s72, s72, exec_lo
	s_or_b32 s16, s16, s72
	s_or_b32 exec_lo, exec_lo, s63
	s_and_saveexec_b32 s63, s16
	s_cbranch_execnz .LBB6_2836
	s_branch .LBB6_2837
.LBB6_3039:                             ;   in Loop: Header=BB6_2291 Depth=4
	s_or_saveexec_b32 s63, s63
	v_mov_b32_e32 v29, 0x7f800001
	s_xor_b32 exec_lo, exec_lo, s63
	s_cbranch_execz .LBB6_2841
.LBB6_3040:                             ;   in Loop: Header=BB6_2291 Depth=4
	v_cmp_ne_u16_sdwa s72, v30, v2 src0_sel:BYTE_0 src1_sel:DWORD
	v_mov_b32_e32 v29, 0
	s_andn2_b32 s16, s16, exec_lo
	s_and_b32 s72, s72, exec_lo
	s_or_b32 s16, s16, s72
	s_or_b32 exec_lo, exec_lo, s63
	s_and_saveexec_b32 s63, s16
	s_cbranch_execnz .LBB6_2842
	s_branch .LBB6_2843
.LBB6_3041:                             ;   in Loop: Header=BB6_2291 Depth=4
	s_or_saveexec_b32 s63, s63
	v_mov_b32_e32 v30, 0x7f800001
	s_xor_b32 exec_lo, exec_lo, s63
	s_cbranch_execz .LBB6_2855
.LBB6_3042:                             ;   in Loop: Header=BB6_2291 Depth=4
	v_cmp_ne_u16_sdwa s72, v26, v2 src0_sel:BYTE_0 src1_sel:DWORD
	v_mov_b32_e32 v30, 0
	s_andn2_b32 s16, s16, exec_lo
	s_and_b32 s72, s72, exec_lo
	s_or_b32 s16, s16, s72
	s_or_b32 exec_lo, exec_lo, s63
	s_and_saveexec_b32 s63, s16
	s_cbranch_execnz .LBB6_2856
	s_branch .LBB6_2857
.LBB6_3043:                             ;   in Loop: Header=BB6_2291 Depth=4
	s_or_saveexec_b32 s63, s63
	v_mov_b32_e32 v26, 0x7f800001
	s_xor_b32 exec_lo, exec_lo, s63
	s_cbranch_execz .LBB6_2861
.LBB6_3044:                             ;   in Loop: Header=BB6_2291 Depth=4
	v_cmp_ne_u16_sdwa s72, v27, v2 src0_sel:BYTE_0 src1_sel:DWORD
	v_mov_b32_e32 v26, 0
	s_andn2_b32 s16, s16, exec_lo
	s_and_b32 s72, s72, exec_lo
	s_or_b32 s16, s16, s72
	s_or_b32 exec_lo, exec_lo, s63
	s_and_saveexec_b32 s63, s16
	s_cbranch_execnz .LBB6_2862
	s_branch .LBB6_2863
.LBB6_3045:                             ;   in Loop: Header=BB6_2291 Depth=4
	s_or_saveexec_b32 s63, s63
	v_mov_b32_e32 v27, 0x7f800001
	s_xor_b32 exec_lo, exec_lo, s63
	s_cbranch_execz .LBB6_2875
.LBB6_3046:                             ;   in Loop: Header=BB6_2291 Depth=4
	v_cmp_ne_u16_sdwa s72, v23, v2 src0_sel:BYTE_0 src1_sel:DWORD
	v_mov_b32_e32 v27, 0
	s_andn2_b32 s16, s16, exec_lo
	s_and_b32 s72, s72, exec_lo
	s_or_b32 s16, s16, s72
	s_or_b32 exec_lo, exec_lo, s63
	s_and_saveexec_b32 s63, s16
	s_cbranch_execnz .LBB6_2876
	s_branch .LBB6_2877
.LBB6_3047:                             ;   in Loop: Header=BB6_2291 Depth=4
	s_or_saveexec_b32 s63, s63
	v_mov_b32_e32 v23, 0x7f800001
	s_xor_b32 exec_lo, exec_lo, s63
	s_cbranch_execz .LBB6_2881
.LBB6_3048:                             ;   in Loop: Header=BB6_2291 Depth=4
	v_cmp_ne_u16_sdwa s72, v24, v2 src0_sel:BYTE_0 src1_sel:DWORD
	v_mov_b32_e32 v23, 0
	s_andn2_b32 s16, s16, exec_lo
	s_and_b32 s72, s72, exec_lo
	s_or_b32 s16, s16, s72
	s_or_b32 exec_lo, exec_lo, s63
	s_and_saveexec_b32 s63, s16
	s_cbranch_execnz .LBB6_2882
	s_branch .LBB6_2883
.LBB6_3049:                             ;   in Loop: Header=BB6_2291 Depth=4
	s_or_saveexec_b32 s63, s63
	v_mov_b32_e32 v24, 0x7f800001
	s_xor_b32 exec_lo, exec_lo, s63
	s_cbranch_execz .LBB6_2895
.LBB6_3050:                             ;   in Loop: Header=BB6_2291 Depth=4
	v_cmp_ne_u16_sdwa s72, v20, v2 src0_sel:BYTE_0 src1_sel:DWORD
	v_mov_b32_e32 v24, 0
	s_andn2_b32 s16, s16, exec_lo
	s_and_b32 s72, s72, exec_lo
	s_or_b32 s16, s16, s72
	s_or_b32 exec_lo, exec_lo, s63
	s_and_saveexec_b32 s63, s16
	s_cbranch_execnz .LBB6_2896
	s_branch .LBB6_2897
.LBB6_3051:                             ;   in Loop: Header=BB6_2291 Depth=4
	s_or_saveexec_b32 s63, s63
	v_mov_b32_e32 v20, 0x7f800001
	s_xor_b32 exec_lo, exec_lo, s63
	s_cbranch_execz .LBB6_2901
.LBB6_3052:                             ;   in Loop: Header=BB6_2291 Depth=4
	v_cmp_ne_u16_sdwa s72, v21, v2 src0_sel:BYTE_0 src1_sel:DWORD
	v_mov_b32_e32 v20, 0
	s_andn2_b32 s16, s16, exec_lo
	s_and_b32 s72, s72, exec_lo
	s_or_b32 s16, s16, s72
	s_or_b32 exec_lo, exec_lo, s63
	s_and_saveexec_b32 s63, s16
	s_cbranch_execnz .LBB6_2902
	s_branch .LBB6_2903
.LBB6_3053:                             ;   in Loop: Header=BB6_2291 Depth=4
	s_or_saveexec_b32 s63, s63
	v_mov_b32_e32 v21, 0x7f800001
	s_xor_b32 exec_lo, exec_lo, s63
	s_cbranch_execz .LBB6_2915
.LBB6_3054:                             ;   in Loop: Header=BB6_2291 Depth=4
	v_cmp_ne_u16_sdwa s72, v18, v2 src0_sel:BYTE_0 src1_sel:DWORD
	v_mov_b32_e32 v21, 0
	s_andn2_b32 s16, s16, exec_lo
	s_and_b32 s72, s72, exec_lo
	s_or_b32 s16, s16, s72
	s_or_b32 exec_lo, exec_lo, s63
	s_and_saveexec_b32 s63, s16
	s_cbranch_execnz .LBB6_2916
	s_branch .LBB6_2917
.LBB6_3055:                             ;   in Loop: Header=BB6_2291 Depth=4
	s_or_saveexec_b32 s63, s63
	v_mov_b32_e32 v18, 0x7f800001
	s_xor_b32 exec_lo, exec_lo, s63
	s_cbranch_execz .LBB6_2921
.LBB6_3056:                             ;   in Loop: Header=BB6_2291 Depth=4
	v_cmp_ne_u16_sdwa s72, v19, v2 src0_sel:BYTE_0 src1_sel:DWORD
	v_mov_b32_e32 v18, 0
	s_andn2_b32 s16, s16, exec_lo
	s_and_b32 s72, s72, exec_lo
	s_or_b32 s16, s16, s72
	s_or_b32 exec_lo, exec_lo, s63
	s_and_saveexec_b32 s63, s16
	s_cbranch_execnz .LBB6_2922
	s_branch .LBB6_2923
.LBB6_3057:                             ;   in Loop: Header=BB6_274 Depth=3
	s_or_b32 exec_lo, exec_lo, s62
.LBB6_3058:                             ;   in Loop: Header=BB6_274 Depth=3
	s_or_b32 exec_lo, exec_lo, s61
	v_lshlrev_b32_e32 v1, 10, v17
	v_cmp_ne_u32_e32 vcc_lo, v5, v1
	s_and_b32 exec_lo, exec_lo, vcc_lo
	s_cbranch_execz .LBB6_3086
; %bb.3059:                             ;   in Loop: Header=BB6_274 Depth=3
	v_add_nc_u32_e32 v8, v14, v16
	v_lshlrev_b32_e32 v9, 5, v15
	v_and_b32_e32 v8, 0xffffffe0, v8
	v_sub_nc_u32_e32 v8, v14, v8
	v_sub_nc_u32_e32 v8, v8, v9
	v_add_nc_u32_e32 v8, v1, v8
	v_sub_nc_u32_e32 v1, v5, v8
	v_cmp_lt_i32_e32 vcc_lo, 0, v1
	s_and_b32 exec_lo, exec_lo, vcc_lo
	s_cbranch_execz .LBB6_3086
; %bb.3060:                             ;   in Loop: Header=BB6_274 Depth=3
	s_trap 2
	ds_read_b128 v[9:12], v0
	ds_read_b64 v[13:14], v0
	v_add_nc_u32_e32 v4, v8, v4
	s_mov_b32 s61, 0
	v_ashrrev_i32_e32 v5, 31, v4
	s_waitcnt lgkmcnt(1)
	v_add_co_u32 v8, vcc_lo, v9, v4
	v_add_co_ci_u32_e64 v9, null, v10, v5, vcc_lo
	v_add_co_u32 v10, vcc_lo, v11, v4
	v_add_co_ci_u32_e64 v11, null, v12, v5, vcc_lo
	s_waitcnt lgkmcnt(0)
	v_add_co_u32 v12, vcc_lo, v13, v4
	v_add_co_ci_u32_e64 v13, null, v14, v5, vcc_lo
	s_branch .LBB6_3064
.LBB6_3061:                             ;   in Loop: Header=BB6_3064 Depth=4
	s_or_b32 exec_lo, exec_lo, s16
	v_lshrrev_b32_e32 v14, 21, v14
	v_cmp_gt_i32_e32 vcc_lo, 32, v5
	v_min_i32_e32 v15, 31, v5
	v_and_b32_sdwa v4, v4, v60 dst_sel:DWORD dst_unused:UNUSED_PAD src0_sel:BYTE_3 src1_sel:DWORD
	v_cndmask_b32_e32 v14, 3, v14, vcc_lo
	v_lshlrev_b32_e32 v15, 2, v15
	v_and_b32_e32 v16, 3, v14
	v_or_b32_e32 v5, v5, v14
	v_or3_b32 v4, v15, v4, v16
	v_cmp_ne_u32_e32 vcc_lo, 0, v5
	v_cndmask_b32_e32 v5, 0, v4, vcc_lo
.LBB6_3062:                             ;   in Loop: Header=BB6_3064 Depth=4
	s_or_b32 exec_lo, exec_lo, s63
.LBB6_3063:                             ;   in Loop: Header=BB6_3064 Depth=4
	s_or_b32 exec_lo, exec_lo, s62
	v_sub_nc_u32_e32 v1, v1, v56
	v_add_co_u32 v8, vcc_lo, v8, v56
	v_add_co_ci_u32_e64 v9, null, 0, v9, vcc_lo
	v_add_co_u32 v10, vcc_lo, v10, v56
	flat_store_byte v[12:13], v5 glc slc
	v_add_co_ci_u32_e64 v11, null, 0, v11, vcc_lo
	v_cmp_gt_i32_e32 vcc_lo, 1, v1
	v_add_co_u32 v12, s16, v12, v56
	v_add_co_ci_u32_e64 v13, null, 0, v13, s16
	s_or_b32 s61, vcc_lo, s61
	s_andn2_b32 exec_lo, exec_lo, s61
	s_cbranch_execz .LBB6_3086
.LBB6_3064:                             ;   Parent Loop BB6_47 Depth=1
                                        ;     Parent Loop BB6_271 Depth=2
                                        ;       Parent Loop BB6_274 Depth=3
                                        ; =>      This Inner Loop Header: Depth=4
	flat_load_ubyte v14, v[8:9] slc
	flat_load_ubyte v4, v[10:11] slc
	s_mov_b32 s16, 0
	s_mov_b32 s62, exec_lo
	s_waitcnt vmcnt(1) lgkmcnt(1)
	v_cmpx_lt_i16_e32 0x7f, v14
	s_xor_b32 s62, exec_lo, s62
	s_cbranch_execz .LBB6_3082
; %bb.3065:                             ;   in Loop: Header=BB6_3064 Depth=4
	s_mov_b32 s16, -1
	s_mov_b32 s63, exec_lo
	v_cmpx_eq_u16_e32 0x80, v14
; %bb.3066:                             ;   in Loop: Header=BB6_3064 Depth=4
	s_xor_b32 s16, exec_lo, -1
; %bb.3067:                             ;   in Loop: Header=BB6_3064 Depth=4
	s_or_b32 exec_lo, exec_lo, s63
	s_and_b32 s16, s16, exec_lo
	s_or_saveexec_b32 s62, s62
	v_mov_b32_e32 v5, 0x7f800001
	s_xor_b32 exec_lo, exec_lo, s62
	s_cbranch_execnz .LBB6_3083
.LBB6_3068:                             ;   in Loop: Header=BB6_3064 Depth=4
	s_or_b32 exec_lo, exec_lo, s62
	s_and_saveexec_b32 s62, s16
	s_cbranch_execz .LBB6_3070
.LBB6_3069:                             ;   in Loop: Header=BB6_3064 Depth=4
	v_and_b32_e32 v5, 0xffff, v14
	v_lshlrev_b32_e32 v14, 24, v14
	v_and_b32_e32 v15, 3, v5
	v_bfe_u32 v18, v5, 2, 5
	v_and_b32_e32 v14, 0x80000000, v14
	v_ffbh_u32_e32 v16, v15
	v_cmp_eq_u32_e32 vcc_lo, 0, v18
	v_min_u32_e32 v16, 32, v16
	v_subrev_nc_u32_e32 v17, 29, v16
	v_sub_nc_u32_e32 v16, 30, v16
	v_lshlrev_b32_e32 v5, v17, v5
	v_cndmask_b32_e32 v16, v18, v16, vcc_lo
	v_and_b32_e32 v5, 3, v5
	v_cndmask_b32_e32 v5, v15, v5, vcc_lo
	v_lshl_add_u32 v15, v16, 23, 0x37800000
	v_lshlrev_b32_e32 v5, 21, v5
	v_or3_b32 v5, v14, v15, v5
.LBB6_3070:                             ;   in Loop: Header=BB6_3064 Depth=4
	s_or_b32 exec_lo, exec_lo, s62
	s_waitcnt vmcnt(0) lgkmcnt(0)
	v_cmp_gt_i16_sdwa s62, v4, v59 src0_sel:BYTE_0 src1_sel:DWORD
	s_mov_b32 s16, 0
	s_and_saveexec_b32 s63, s62
	s_xor_b32 s62, exec_lo, s63
	s_cbranch_execz .LBB6_3084
; %bb.3071:                             ;   in Loop: Header=BB6_3064 Depth=4
	v_cmp_eq_u16_sdwa s72, v4, v60 src0_sel:BYTE_0 src1_sel:DWORD
	s_mov_b32 s16, -1
	s_and_saveexec_b32 s63, s72
; %bb.3072:                             ;   in Loop: Header=BB6_3064 Depth=4
	s_xor_b32 s16, exec_lo, -1
; %bb.3073:                             ;   in Loop: Header=BB6_3064 Depth=4
	s_or_b32 exec_lo, exec_lo, s63
	s_and_b32 s16, s16, exec_lo
	s_or_saveexec_b32 s62, s62
	v_mov_b32_e32 v14, 0x7f800001
	s_xor_b32 exec_lo, exec_lo, s62
	s_cbranch_execnz .LBB6_3085
.LBB6_3074:                             ;   in Loop: Header=BB6_3064 Depth=4
	s_or_b32 exec_lo, exec_lo, s62
	s_and_saveexec_b32 s62, s16
	s_cbranch_execz .LBB6_3076
.LBB6_3075:                             ;   in Loop: Header=BB6_3064 Depth=4
	v_and_b32_e32 v14, 3, v4
	v_lshrrev_b16 v16, 2, v4
	v_ffbh_u32_e32 v15, v14
	v_and_b32_e32 v16, 31, v16
	v_min_u32_e32 v15, 32, v15
	v_cmp_eq_u32_e32 vcc_lo, 0, v16
	v_subrev_nc_u32_e32 v17, 29, v15
	v_sub_nc_u32_e32 v15, 30, v15
	v_lshlrev_b32_e32 v17, v17, v4
	v_lshlrev_b32_e32 v4, 24, v4
	v_cndmask_b32_e32 v15, v16, v15, vcc_lo
	v_and_b32_e32 v17, 3, v17
	v_and_b32_e32 v4, 0x80000000, v4
	v_lshl_add_u32 v15, v15, 23, 0x37800000
	v_cndmask_b32_e32 v14, v14, v17, vcc_lo
	v_lshlrev_b32_e32 v14, 21, v14
	v_or3_b32 v14, v4, v15, v14
.LBB6_3076:                             ;   in Loop: Header=BB6_3064 Depth=4
	s_or_b32 exec_lo, exec_lo, s62
	v_mul_f32_e32 v4, v5, v14
	v_and_b32_e32 v5, 0x7f800000, v4
	v_cmp_ne_u32_e32 vcc_lo, 0x7f800000, v5
	v_mov_b32_e32 v5, 0x80
	s_and_saveexec_b32 s62, vcc_lo
	s_cbranch_execz .LBB6_3063
; %bb.3077:                             ;   in Loop: Header=BB6_3064 Depth=4
	v_mov_b32_e32 v5, 0
	s_mov_b32 s63, exec_lo
	v_cmpx_ne_u32_e32 0, v4
	s_cbranch_execz .LBB6_3062
; %bb.3078:                             ;   in Loop: Header=BB6_3064 Depth=4
	v_bfe_u32 v5, v4, 23, 8
	v_and_b32_e32 v14, 0x7fffff, v4
	v_sub_nc_u32_e32 v15, 0x70, v5
	v_cmp_gt_u32_e32 vcc_lo, 0x71, v5
	v_or_b32_e32 v16, 0x800000, v14
	v_cndmask_b32_e32 v15, 0, v15, vcc_lo
	v_cmp_eq_u32_e32 vcc_lo, 0, v5
	v_add_nc_u32_e32 v5, 0xffffff91, v5
	v_cndmask_b32_e64 v15, v15, 0x6f, vcc_lo
	v_cndmask_b32_e32 v14, v16, v14, vcc_lo
	v_cndmask_b32_e64 v5, v5, 0xffffff92, vcc_lo
	v_lshl_add_u32 v16, 0x200000, v15, -1
	v_lshrrev_b32_e32 v17, v15, v14
	v_lshlrev_b32_e64 v19, v15, 0x100000
	v_add_nc_u32_e32 v15, v15, v5
	v_and_b32_e32 v14, v16, v14
	v_bfe_u32 v18, v17, 21, 1
	v_cmp_eq_u32_e64 s16, v14, v19
	v_add_nc_u32_e32 v16, -1, v18
	v_cndmask_b32_e64 v14, 0, v16, s16
	v_lshrrev_b32_e32 v16, 23, v17
	s_mov_b32 s16, exec_lo
	v_add_nc_u32_e32 v14, v14, v17
	v_xor_b32_e32 v16, 1, v16
	v_and_b32_e32 v5, 0x1fffff, v14
	v_add_nc_u32_e32 v14, v5, v17
                                        ; implicit-def: $vgpr5
	v_cmpx_ne_u32_e64 v15, v16
	s_xor_b32 s16, exec_lo, s16
; %bb.3079:                             ;   in Loop: Header=BB6_3064 Depth=4
	v_cmp_lt_u32_e32 vcc_lo, 0xffffff, v14
	v_sub_nc_u32_e32 v5, v15, v16
	v_cndmask_b32_e64 v15, 0, 1, vcc_lo
	v_add_co_ci_u32_e64 v5, null, 0, v5, vcc_lo
	v_lshrrev_b32_e32 v14, v15, v14
; %bb.3080:                             ;   in Loop: Header=BB6_3064 Depth=4
	s_andn2_saveexec_b32 s16, s16
	s_cbranch_execz .LBB6_3061
; %bb.3081:                             ;   in Loop: Header=BB6_3064 Depth=4
	v_bfe_u32 v5, v14, 23, 1
	s_branch .LBB6_3061
.LBB6_3082:                             ;   in Loop: Header=BB6_3064 Depth=4
	s_or_saveexec_b32 s62, s62
	v_mov_b32_e32 v5, 0x7f800001
	s_xor_b32 exec_lo, exec_lo, s62
	s_cbranch_execz .LBB6_3068
.LBB6_3083:                             ;   in Loop: Header=BB6_3064 Depth=4
	v_cmp_ne_u16_e32 vcc_lo, 0, v14
	v_mov_b32_e32 v5, 0
	s_andn2_b32 s16, s16, exec_lo
	s_and_b32 s63, vcc_lo, exec_lo
	s_or_b32 s16, s16, s63
	s_or_b32 exec_lo, exec_lo, s62
	s_and_saveexec_b32 s62, s16
	s_cbranch_execnz .LBB6_3069
	s_branch .LBB6_3070
.LBB6_3084:                             ;   in Loop: Header=BB6_3064 Depth=4
	s_or_saveexec_b32 s62, s62
	v_mov_b32_e32 v14, 0x7f800001
	s_xor_b32 exec_lo, exec_lo, s62
	s_cbranch_execz .LBB6_3074
.LBB6_3085:                             ;   in Loop: Header=BB6_3064 Depth=4
	v_cmp_ne_u16_sdwa s63, v4, v2 src0_sel:BYTE_0 src1_sel:DWORD
	v_mov_b32_e32 v14, 0
	s_andn2_b32 s16, s16, exec_lo
	s_and_b32 s63, s63, exec_lo
	s_or_b32 s16, s16, s63
	s_or_b32 exec_lo, exec_lo, s62
	s_and_saveexec_b32 s62, s16
	s_cbranch_execnz .LBB6_3075
	s_branch .LBB6_3076
.LBB6_3086:                             ;   in Loop: Header=BB6_274 Depth=3
	s_or_b32 exec_lo, exec_lo, s17
	v_cmp_lt_i32_e64 s16, 0, v3
	s_and_saveexec_b32 s17, s6
	s_cbranch_execz .LBB6_349
.LBB6_3087:                             ;   in Loop: Header=BB6_274 Depth=3
	s_and_saveexec_b32 s61, s29
	s_xor_b32 s61, exec_lo, s61
	s_cbranch_execz .LBB6_3102
; %bb.3088:                             ;   in Loop: Header=BB6_274 Depth=3
	s_and_saveexec_b32 s62, s11
	s_cbranch_execz .LBB6_3101
; %bb.3089:                             ;   in Loop: Header=BB6_274 Depth=3
	s_mov_b32 s72, exec_lo
	s_mov_b32 s63, exec_lo
	v_mbcnt_lo_u32_b32 v1, s72, 0
	s_waitcnt vmcnt(0) lgkmcnt(0)
	s_waitcnt_vscnt null, 0x0
	buffer_gl1_inv
	buffer_gl0_inv
	v_cmpx_eq_u32_e32 0, v1
	s_cbranch_execz .LBB6_3091
; %bb.3090:                             ;   in Loop: Header=BB6_274 Depth=3
	s_bcnt1_i32_b32 s72, s72
	v_mov_b32_e32 v4, v2
	v_mov_b32_e32 v3, s72
	ds_add_u64 v0, v[3:4]
	s_trap 2
.LBB6_3091:                             ;   in Loop: Header=BB6_274 Depth=3
	s_or_b32 exec_lo, exec_lo, s63
	s_trap 2
	ds_read_b64 v[3:4], v0
	s_waitcnt lgkmcnt(0)
	buffer_gl0_inv
	v_add_co_u32 v70, vcc_lo, v70, v47
	v_add_co_ci_u32_e64 v71, null, 0, v71, vcc_lo
	s_mov_b32 s63, exec_lo
	v_cmpx_lt_u64_e64 v[3:4], v[70:71]
	s_cbranch_execz .LBB6_3100
; %bb.3092:                             ;   in Loop: Header=BB6_274 Depth=3
	s_mov_b32 s72, 0
	s_mov_b32 s75, 0
                                        ; implicit-def: $sgpr73
                                        ; implicit-def: $sgpr74
	s_inst_prefetch 0x1
	s_branch .LBB6_3094
	.p2align	6
.LBB6_3093:                             ;   in Loop: Header=BB6_3094 Depth=4
	s_or_b32 exec_lo, exec_lo, s77
	s_and_b32 s76, exec_lo, s78
	s_or_b32 s72, s76, s72
	s_andn2_b32 s73, s73, exec_lo
	s_and_b32 s76, s74, exec_lo
	s_or_b32 s73, s73, s76
	s_andn2_b32 exec_lo, exec_lo, s72
	s_cbranch_execz .LBB6_3098
.LBB6_3094:                             ;   Parent Loop BB6_47 Depth=1
                                        ;     Parent Loop BB6_271 Depth=2
                                        ;       Parent Loop BB6_274 Depth=3
                                        ; =>      This Inner Loop Header: Depth=4
	s_add_i32 s75, s75, 1
	s_cmpk_lg_i32 s75, 0x2710
	s_cselect_b32 s76, -1, 0
	s_and_b32 vcc_lo, exec_lo, s76
	s_cbranch_vccz .LBB6_3096
; %bb.3095:                             ;   in Loop: Header=BB6_3094 Depth=4
	s_mov_b32 s78, -1
	s_or_b32 s74, s74, exec_lo
	s_and_saveexec_b32 s77, s76
	s_cbranch_execz .LBB6_3093
	s_branch .LBB6_3097
	.p2align	6
.LBB6_3096:                             ;   in Loop: Header=BB6_3094 Depth=4
	s_trap 2
	ds_read_b64 v[3:4], v0
	s_andn2_b32 s76, s76, exec_lo
	s_mov_b32 s75, 0
	s_waitcnt lgkmcnt(0)
	flat_load_dword v1, v[3:4] glc dlc
	s_waitcnt vmcnt(0) lgkmcnt(0)
	buffer_gl1_inv
	buffer_gl0_inv
	v_cmp_eq_u32_e32 vcc_lo, 0, v1
	s_and_b32 s77, vcc_lo, exec_lo
	s_or_b32 s76, s76, s77
	s_mov_b32 s78, -1
	s_or_b32 s74, s74, exec_lo
	s_and_saveexec_b32 s77, s76
	s_cbranch_execz .LBB6_3093
.LBB6_3097:                             ;   in Loop: Header=BB6_3094 Depth=4
	s_sleep 1
	s_trap 2
	ds_read_b64 v[3:4], v0
	s_waitcnt lgkmcnt(0)
	buffer_gl0_inv
	s_andn2_b32 s74, s74, exec_lo
	v_cmp_ge_u64_e32 vcc_lo, v[3:4], v[70:71]
	s_orn2_b32 s78, vcc_lo, exec_lo
	s_branch .LBB6_3093
.LBB6_3098:                             ;   in Loop: Header=BB6_274 Depth=3
	s_inst_prefetch 0x2
	s_or_b32 exec_lo, exec_lo, s72
	s_and_saveexec_b32 s72, s73
	s_xor_b32 s72, exec_lo, s72
	s_cbranch_execz .LBB6_3100
; %bb.3099:                             ;   in Loop: Header=BB6_274 Depth=3
	ds_write_b32 v0, v57
	s_trap 2
.LBB6_3100:                             ;   in Loop: Header=BB6_274 Depth=3
	s_or_b32 exec_lo, exec_lo, s63
	;;#ASMSTART
	s_wakeup
	;;#ASMEND
.LBB6_3101:                             ;   in Loop: Header=BB6_274 Depth=3
	s_or_b32 exec_lo, exec_lo, s62
.LBB6_3102:                             ;   in Loop: Header=BB6_274 Depth=3
	s_andn2_saveexec_b32 s61, s61
	s_cbranch_execz .LBB6_3104
; %bb.3103:                             ;   in Loop: Header=BB6_274 Depth=3
	s_waitcnt vmcnt(0) lgkmcnt(0)
	s_waitcnt_vscnt null, 0x0
	buffer_gl1_inv
	buffer_gl0_inv
	s_barrier
.LBB6_3104:                             ;   in Loop: Header=BB6_274 Depth=3
	s_or_b32 exec_lo, exec_lo, s61
	s_or_b32 exec_lo, exec_lo, s17
                                        ; implicit-def: $vgpr1
	s_and_saveexec_b32 s17, s13
	s_xor_b32 s17, exec_lo, s17
	s_cbranch_execnz .LBB6_350
.LBB6_3105:                             ;   in Loop: Header=BB6_274 Depth=3
	s_andn2_saveexec_b32 s16, s17
	s_cbranch_execz .LBB6_3124
.LBB6_3106:                             ;   in Loop: Header=BB6_274 Depth=3
	s_and_saveexec_b32 s17, s29
	s_xor_b32 s17, exec_lo, s17
	s_cbranch_execz .LBB6_3121
; %bb.3107:                             ;   in Loop: Header=BB6_274 Depth=3
	s_and_saveexec_b32 s61, s11
	s_cbranch_execz .LBB6_3120
; %bb.3108:                             ;   in Loop: Header=BB6_274 Depth=3
	s_mov_b32 s63, exec_lo
	s_mov_b32 s62, exec_lo
	v_mbcnt_lo_u32_b32 v1, s63, 0
	;;#ASMSTART
	s_waitcnt lgkmcnt(0) vmcnt(0)
	;;#ASMEND
	v_cmpx_eq_u32_e32 0, v1
	s_cbranch_execz .LBB6_3110
; %bb.3109:                             ;   in Loop: Header=BB6_274 Depth=3
	s_bcnt1_i32_b32 s63, s63
	v_mov_b32_e32 v4, v2
	v_mov_b32_e32 v3, s63
	s_waitcnt vmcnt(0) lgkmcnt(0)
	s_waitcnt_vscnt null, 0x0
	ds_add_u64 v0, v[3:4]
	s_trap 2
.LBB6_3110:                             ;   in Loop: Header=BB6_274 Depth=3
	s_or_b32 exec_lo, exec_lo, s62
	s_trap 2
	ds_read_b64 v[3:4], v0
	s_waitcnt vmcnt(0) lgkmcnt(0)
	buffer_gl0_inv
	v_add_co_u32 v70, vcc_lo, v70, v47
	v_add_co_ci_u32_e64 v71, null, 0, v71, vcc_lo
	s_mov_b32 s62, exec_lo
	v_cmpx_lt_u64_e64 v[3:4], v[70:71]
	s_cbranch_execz .LBB6_3119
; %bb.3111:                             ;   in Loop: Header=BB6_274 Depth=3
	s_mov_b32 s63, 0
	s_mov_b32 s74, 0
                                        ; implicit-def: $sgpr72
                                        ; implicit-def: $sgpr73
	s_inst_prefetch 0x1
	s_branch .LBB6_3113
	.p2align	6
.LBB6_3112:                             ;   in Loop: Header=BB6_3113 Depth=4
	s_or_b32 exec_lo, exec_lo, s76
	s_and_b32 s75, exec_lo, s77
	s_or_b32 s63, s75, s63
	s_andn2_b32 s72, s72, exec_lo
	s_and_b32 s75, s73, exec_lo
	s_or_b32 s72, s72, s75
	s_andn2_b32 exec_lo, exec_lo, s63
	s_cbranch_execz .LBB6_3117
.LBB6_3113:                             ;   Parent Loop BB6_47 Depth=1
                                        ;     Parent Loop BB6_271 Depth=2
                                        ;       Parent Loop BB6_274 Depth=3
                                        ; =>      This Inner Loop Header: Depth=4
	s_add_i32 s74, s74, 1
	s_cmpk_lg_i32 s74, 0x2710
	s_cselect_b32 s75, -1, 0
	s_and_b32 vcc_lo, exec_lo, s75
	s_cbranch_vccz .LBB6_3115
; %bb.3114:                             ;   in Loop: Header=BB6_3113 Depth=4
	s_mov_b32 s77, -1
	s_or_b32 s73, s73, exec_lo
	s_and_saveexec_b32 s76, s75
	s_cbranch_execz .LBB6_3112
	s_branch .LBB6_3116
	.p2align	6
.LBB6_3115:                             ;   in Loop: Header=BB6_3113 Depth=4
	s_trap 2
	ds_read_b64 v[3:4], v0
	s_andn2_b32 s75, s75, exec_lo
	s_mov_b32 s74, 0
	s_waitcnt lgkmcnt(0)
	s_waitcnt_vscnt null, 0x0
	flat_load_dword v1, v[3:4] glc dlc
	s_waitcnt vmcnt(0) lgkmcnt(0)
	buffer_gl1_inv
	buffer_gl0_inv
	v_cmp_eq_u32_e32 vcc_lo, 0, v1
	s_and_b32 s76, vcc_lo, exec_lo
	s_or_b32 s75, s75, s76
	s_mov_b32 s77, -1
	s_or_b32 s73, s73, exec_lo
	s_and_saveexec_b32 s76, s75
	s_cbranch_execz .LBB6_3112
.LBB6_3116:                             ;   in Loop: Header=BB6_3113 Depth=4
	s_sleep 1
	s_trap 2
	ds_read_b64 v[3:4], v0
	s_waitcnt lgkmcnt(0)
	buffer_gl0_inv
	s_andn2_b32 s73, s73, exec_lo
	v_cmp_ge_u64_e32 vcc_lo, v[3:4], v[70:71]
	s_orn2_b32 s77, vcc_lo, exec_lo
	s_branch .LBB6_3112
.LBB6_3117:                             ;   in Loop: Header=BB6_274 Depth=3
	s_inst_prefetch 0x2
	s_or_b32 exec_lo, exec_lo, s63
	s_and_saveexec_b32 s63, s72
	s_xor_b32 s63, exec_lo, s63
	s_cbranch_execz .LBB6_3119
; %bb.3118:                             ;   in Loop: Header=BB6_274 Depth=3
	ds_write_b32 v0, v57
	s_trap 2
.LBB6_3119:                             ;   in Loop: Header=BB6_274 Depth=3
	s_or_b32 exec_lo, exec_lo, s62
	;;#ASMSTART
	s_wakeup
	;;#ASMEND
.LBB6_3120:                             ;   in Loop: Header=BB6_274 Depth=3
	s_or_b32 exec_lo, exec_lo, s61
.LBB6_3121:                             ;   in Loop: Header=BB6_274 Depth=3
	s_andn2_saveexec_b32 s17, s17
	s_cbranch_execz .LBB6_3123
; %bb.3122:                             ;   in Loop: Header=BB6_274 Depth=3
	;;#ASMSTART
	s_waitcnt lgkmcnt(0) vmcnt(0)
	;;#ASMEND
	s_barrier
.LBB6_3123:                             ;   in Loop: Header=BB6_274 Depth=3
	s_or_b32 exec_lo, exec_lo, s17
	v_and_b32_e32 v1, 16, v44
.LBB6_3124:                             ;   in Loop: Header=BB6_274 Depth=3
	s_or_b32 exec_lo, exec_lo, s16
	v_cmp_ne_u32_e32 vcc_lo, 0, v1
	s_xor_b32 s16, s7, -1
	s_and_b32 s17, vcc_lo, s16
	s_and_saveexec_b32 s16, s17
	s_cbranch_execz .LBB6_3126
; %bb.3125:                             ;   in Loop: Header=BB6_274 Depth=3
	s_waitcnt vmcnt(0) lgkmcnt(0)
	s_waitcnt_vscnt null, 0x0
	flat_store_dword v[68:69], v57
.LBB6_3126:                             ;   in Loop: Header=BB6_274 Depth=3
	s_or_b32 exec_lo, exec_lo, s16
	v_and_b32_e32 v1, 48, v44
	s_mov_b32 s16, exec_lo
	v_cmpx_ne_u32_e32 0, v1
	s_cbranch_execz .LBB6_273
; %bb.3127:                             ;   in Loop: Header=BB6_274 Depth=3
	v_add_co_u32 v96, vcc_lo, v96, 2
	v_add_co_ci_u32_e64 v97, null, 0, v97, vcc_lo
	s_waitcnt vmcnt(0) lgkmcnt(0)
	s_waitcnt_vscnt null, 0x0
	flat_store_dwordx2 v[64:65], v[96:97]
	s_branch .LBB6_273
.LBB6_3128:                             ;   in Loop: Header=BB6_271 Depth=2
	s_or_b32 exec_lo, exec_lo, s21
.LBB6_3129:                             ;   in Loop: Header=BB6_271 Depth=2
	s_or_b32 exec_lo, exec_lo, s19
	v_cmp_gt_i32_e32 vcc_lo, 2, v1
	s_mov_b32 s17, exec_lo
	v_ashrrev_i32_e32 v16, 31, v45
	s_and_b32 s16, s17, vcc_lo
	s_mov_b32 exec_lo, s16
	s_cbranch_execz .LBB6_270
; %bb.3130:                             ;   in Loop: Header=BB6_271 Depth=2
	v_cmp_eq_u32_e64 s21, 0, v1
	s_mov_b32 s19, 0
	s_branch .LBB6_3132
.LBB6_3131:                             ;   in Loop: Header=BB6_3132 Depth=3
	s_or_b32 exec_lo, exec_lo, s16
	v_add_nc_u32_e32 v43, v100, v43
	s_mov_b32 s21, 0
	s_andn2_b32 exec_lo, exec_lo, s19
	s_cbranch_execz .LBB6_269
.LBB6_3132:                             ;   Parent Loop BB6_47 Depth=1
                                        ;     Parent Loop BB6_271 Depth=2
                                        ; =>    This Loop Header: Depth=3
                                        ;         Child Loop BB6_3138 Depth 4
                                        ;         Child Loop BB6_3166 Depth 4
	;; [unrolled: 1-line block ×3, first 2 shown]
	v_sub_nc_u32_e32 v1, v42, v43
	v_and_b32_e32 v3, 12, v44
	s_mov_b32 s22, exec_lo
	v_min_i32_e32 v100, v100, v1
	v_cmpx_ne_u32_e32 0, v3
	s_cbranch_execz .LBB6_3158
; %bb.3133:                             ;   in Loop: Header=BB6_3132 Depth=3
	v_and_b32_e32 v1, 8, v44
	s_mov_b32 s23, exec_lo
	s_waitcnt vmcnt(0) lgkmcnt(1)
	v_add_co_u32 v3, vcc_lo, v80, v1
	v_add_co_ci_u32_e64 v4, null, 0, v81, vcc_lo
	v_add_co_u32 v8, vcc_lo, v96, 2
	v_add_co_ci_u32_e64 v9, null, 0, v97, vcc_lo
	v_cmpx_lt_u64_e64 v[3:4], v[8:9]
	s_cbranch_execz .LBB6_3145
; %bb.3134:                             ;   in Loop: Header=BB6_3132 Depth=3
	v_and_b32_e32 v3, 64, v44
	s_mov_b32 s61, 0
	s_mov_b32 s73, 0
                                        ; implicit-def: $sgpr62
                                        ; implicit-def: $sgpr63
                                        ; implicit-def: $sgpr72
	v_cmp_eq_u32_e32 vcc_lo, 0, v3
	s_branch .LBB6_3138
.LBB6_3135:                             ;   in Loop: Header=BB6_3138 Depth=4
	s_waitcnt vmcnt(0) lgkmcnt(0)
	v_add_co_u32 v4, s16, v80, v1
	v_add_co_ci_u32_e64 v5, null, 0, v81, s16
	s_or_b32 s76, s76, exec_lo
	v_cmp_ge_u64_e64 s16, v[4:5], v[8:9]
	s_orn2_b32 s75, s16, exec_lo
.LBB6_3136:                             ;   in Loop: Header=BB6_3138 Depth=4
	s_or_b32 exec_lo, exec_lo, s78
	s_andn2_b32 s16, s72, exec_lo
	s_and_b32 s72, s76, exec_lo
	s_andn2_b32 s63, s63, exec_lo
	s_and_b32 s75, s75, exec_lo
	s_or_b32 s72, s16, s72
	s_or_b32 s63, s63, s75
.LBB6_3137:                             ;   in Loop: Header=BB6_3138 Depth=4
	s_or_b32 exec_lo, exec_lo, s74
	s_and_b32 s16, exec_lo, s63
	s_or_b32 s61, s16, s61
	s_andn2_b32 s16, s62, exec_lo
	s_and_b32 s62, s72, exec_lo
	s_or_b32 s62, s16, s62
	s_andn2_b32 exec_lo, exec_lo, s61
	s_cbranch_execz .LBB6_3142
.LBB6_3138:                             ;   Parent Loop BB6_47 Depth=1
                                        ;     Parent Loop BB6_271 Depth=2
                                        ;       Parent Loop BB6_3132 Depth=3
                                        ; =>      This Inner Loop Header: Depth=4
	s_sleep 1
	s_waitcnt vmcnt(0) lgkmcnt(0)
	flat_load_dwordx2 v[80:81], v[64:65] glc dlc
	s_or_b32 s72, s72, exec_lo
	s_or_b32 s63, s63, exec_lo
                                        ; implicit-def: $vgpr3
	s_and_saveexec_b32 s74, vcc_lo
	s_cbranch_execz .LBB6_3137
; %bb.3139:                             ;   in Loop: Header=BB6_3138 Depth=4
	s_cmpk_lt_i32 s73, 0x270f
	s_mov_b32 s75, -1
	s_cselect_b32 s77, -1, 0
	s_cmpk_gt_i32 s73, 0x270e
	s_cbranch_scc0 .LBB6_3141
; %bb.3140:                             ;   in Loop: Header=BB6_3138 Depth=4
	s_trap 2
	ds_read_b64 v[3:4], v0
	s_andn2_b32 s73, s77, exec_lo
	s_mov_b32 s76, 0
	s_waitcnt vmcnt(0) lgkmcnt(0)
	s_waitcnt_vscnt null, 0x0
	flat_load_dword v3, v[3:4] glc dlc
	s_waitcnt vmcnt(0) lgkmcnt(0)
	buffer_gl1_inv
	buffer_gl0_inv
	v_cmp_eq_u32_e64 s16, 0, v3
	s_and_b32 s16, s16, exec_lo
	s_or_b32 s77, s73, s16
	s_mov_b32 s73, 0
	s_and_saveexec_b32 s78, s77
	s_cbranch_execz .LBB6_3136
	s_branch .LBB6_3135
.LBB6_3141:                             ;   in Loop: Header=BB6_3138 Depth=4
	s_add_i32 s73, s73, 1
	s_mov_b32 s76, -1
                                        ; implicit-def: $vgpr3
	s_and_saveexec_b32 s78, s77
	s_cbranch_execz .LBB6_3136
	s_branch .LBB6_3135
.LBB6_3142:                             ;   in Loop: Header=BB6_3132 Depth=3
	s_or_b32 exec_lo, exec_lo, s61
	s_xor_b32 s16, s62, -1
	s_and_saveexec_b32 s61, s16
	s_xor_b32 s16, exec_lo, s61
	s_cbranch_execz .LBB6_3144
; %bb.3143:                             ;   in Loop: Header=BB6_3132 Depth=3
	v_or_b32_e32 v44, 64, v44
	s_waitcnt vmcnt(0) lgkmcnt(0)
	s_waitcnt_vscnt null, 0x0
	ds_write_b32 v0, v3
	s_trap 2
.LBB6_3144:                             ;   in Loop: Header=BB6_3132 Depth=3
	s_or_b32 exec_lo, exec_lo, s16
.LBB6_3145:                             ;   in Loop: Header=BB6_3132 Depth=3
	s_or_b32 exec_lo, exec_lo, s23
	v_and_b32_e32 v3, 0x108, v44
	s_mov_b32 s16, exec_lo
	;;#ASMSTART
	s_wakeup
	;;#ASMEND
                                        ; implicit-def: $vgpr10_vgpr11
	v_cmpx_ne_u32_e32 0x108, v3
	s_xor_b32 s16, exec_lo, s16
; %bb.3146:                             ;   in Loop: Header=BB6_3132 Depth=3
	v_and_b32_e32 v10, 7, v96
	v_mov_b32_e32 v11, v2
                                        ; implicit-def: $vgpr96_vgpr97
; %bb.3147:                             ;   in Loop: Header=BB6_3132 Depth=3
	s_andn2_saveexec_b32 s16, s16
	s_cbranch_execz .LBB6_3149
; %bb.3148:                             ;   in Loop: Header=BB6_3132 Depth=3
	v_and_b32_e32 v10, 7, v96
	v_ashrrev_i32_e32 v101, 31, v100
	v_mov_b32_e32 v11, v2
	v_mad_u64_u32 v[3:4], null, v10, 24, v[6:7]
	flat_store_dwordx2 v[3:4], v[100:101] offset:8
.LBB6_3149:                             ;   in Loop: Header=BB6_3132 Depth=3
	s_or_b32 exec_lo, exec_lo, s16
	v_and_b32_e32 v3, 0x100, v44
	s_mov_b32 s16, -1
	s_mov_b32 s23, exec_lo
                                        ; implicit-def: $vgpr12_vgpr13
	v_cmpx_ne_u32_e32 0, v3
	s_cbranch_execz .LBB6_3153
; %bb.3150:                             ;   in Loop: Header=BB6_3132 Depth=3
	v_mad_u64_u32 v[14:15], null, v10, 24, v[6:7]
	s_mov_b32 s61, exec_lo
                                        ; implicit-def: $vgpr12_vgpr13
	v_mov_b32_e32 v3, v15
	v_mad_u64_u32 v[3:4], null, v11, 24, v[3:4]
	v_mov_b32_e32 v15, v3
	flat_load_dword v3, v[14:15]
	s_waitcnt vmcnt(0) lgkmcnt(0)
	v_cmp_ne_u32_e32 vcc_lo, 1, v3
	v_cmpx_eq_u32_e32 1, v3
	s_cbranch_execz .LBB6_3152
; %bb.3151:                             ;   in Loop: Header=BB6_3132 Depth=3
	flat_load_dword v12, v[14:15] offset:4 glc dlc
	s_waitcnt vmcnt(0) lgkmcnt(0)
	v_ashrrev_i32_e32 v13, 31, v12
.LBB6_3152:                             ;   in Loop: Header=BB6_3132 Depth=3
	s_or_b32 exec_lo, exec_lo, s61
	s_orn2_b32 s16, vcc_lo, exec_lo
.LBB6_3153:                             ;   in Loop: Header=BB6_3132 Depth=3
	s_or_b32 exec_lo, exec_lo, s23
	s_and_saveexec_b32 s23, s16
; %bb.3154:                             ;   in Loop: Header=BB6_3132 Depth=3
	v_mul_lo_u32 v3, v11, v45
	v_mul_lo_u32 v4, v10, v16
	v_mad_u64_u32 v[12:13], null, v10, v45, 0
	v_add3_u32 v13, v13, v4, v3
; %bb.3155:                             ;   in Loop: Header=BB6_3132 Depth=3
	s_or_b32 exec_lo, exec_lo, s23
	v_cmp_eq_u32_e32 vcc_lo, 0, v1
	v_mov_b32_e32 v1, 0x90
	v_and_b32_e32 v5, 0x2000, v44
	s_mov_b32 s16, exec_lo
	v_cndmask_b32_e32 v1, 0xc8, v1, vcc_lo
	v_add_co_u32 v3, vcc_lo, v66, v12
	v_add_co_ci_u32_e64 v4, null, v67, v13, vcc_lo
	v_add_nc_u32_e32 v1, v0, v1
	ds_write_b64 v1, v[3:4] offset:584
	v_cmpx_ne_u32_e32 0, v5
	s_cbranch_execz .LBB6_3157
; %bb.3156:                             ;   in Loop: Header=BB6_3132 Depth=3
	ds_read_b64 v[3:4], v0 offset:872
	s_waitcnt lgkmcnt(0)
	v_add_co_u32 v3, vcc_lo, v3, 1
	v_add_co_ci_u32_e64 v4, null, 0, v4, vcc_lo
	ds_write_b64 v0, v[3:4] offset:872
.LBB6_3157:                             ;   in Loop: Header=BB6_3132 Depth=3
	s_or_b32 exec_lo, exec_lo, s16
	v_mov_b32_e32 v97, v9
	v_mov_b32_e32 v96, v8
.LBB6_3158:                             ;   in Loop: Header=BB6_3132 Depth=3
	s_or_b32 exec_lo, exec_lo, s22
	s_xor_b32 s16, s21, -1
	s_and_b32 s16, exec_lo, s16
	s_or_b32 s19, s16, s19
	s_and_saveexec_b32 s16, s6
	s_cbranch_execz .LBB6_3177
; %bb.3159:                             ;   in Loop: Header=BB6_3132 Depth=3
	s_and_saveexec_b32 s21, s29
	s_xor_b32 s21, exec_lo, s21
	s_cbranch_execz .LBB6_3174
; %bb.3160:                             ;   in Loop: Header=BB6_3132 Depth=3
	s_and_saveexec_b32 s22, s11
	s_cbranch_execz .LBB6_3173
; %bb.3161:                             ;   in Loop: Header=BB6_3132 Depth=3
	s_mov_b32 s61, exec_lo
	s_mov_b32 s23, exec_lo
	v_mbcnt_lo_u32_b32 v1, s61, 0
	s_waitcnt vmcnt(0) lgkmcnt(0)
	s_waitcnt_vscnt null, 0x0
	buffer_gl1_inv
	buffer_gl0_inv
	v_cmpx_eq_u32_e32 0, v1
	s_cbranch_execz .LBB6_3163
; %bb.3162:                             ;   in Loop: Header=BB6_3132 Depth=3
	s_bcnt1_i32_b32 s61, s61
	v_mov_b32_e32 v4, v2
	v_mov_b32_e32 v3, s61
	ds_add_u64 v0, v[3:4]
	s_trap 2
.LBB6_3163:                             ;   in Loop: Header=BB6_3132 Depth=3
	s_or_b32 exec_lo, exec_lo, s23
	s_trap 2
	ds_read_b64 v[3:4], v0
	s_waitcnt lgkmcnt(0)
	buffer_gl0_inv
	v_add_co_u32 v70, vcc_lo, v70, v47
	v_add_co_ci_u32_e64 v71, null, 0, v71, vcc_lo
	s_mov_b32 s23, exec_lo
	v_cmpx_lt_u64_e64 v[3:4], v[70:71]
	s_cbranch_execz .LBB6_3172
; %bb.3164:                             ;   in Loop: Header=BB6_3132 Depth=3
	s_mov_b32 s61, 0
	s_mov_b32 s72, 0
                                        ; implicit-def: $sgpr62
                                        ; implicit-def: $sgpr63
	s_inst_prefetch 0x1
	s_branch .LBB6_3166
	.p2align	6
.LBB6_3165:                             ;   in Loop: Header=BB6_3166 Depth=4
	s_or_b32 exec_lo, exec_lo, s74
	s_and_b32 s73, exec_lo, s75
	s_or_b32 s61, s73, s61
	s_andn2_b32 s62, s62, exec_lo
	s_and_b32 s73, s63, exec_lo
	s_or_b32 s62, s62, s73
	s_andn2_b32 exec_lo, exec_lo, s61
	s_cbranch_execz .LBB6_3170
.LBB6_3166:                             ;   Parent Loop BB6_47 Depth=1
                                        ;     Parent Loop BB6_271 Depth=2
                                        ;       Parent Loop BB6_3132 Depth=3
                                        ; =>      This Inner Loop Header: Depth=4
	s_add_i32 s72, s72, 1
	s_cmpk_lg_i32 s72, 0x2710
	s_cselect_b32 s73, -1, 0
	s_and_b32 vcc_lo, exec_lo, s73
	s_cbranch_vccz .LBB6_3168
; %bb.3167:                             ;   in Loop: Header=BB6_3166 Depth=4
	s_mov_b32 s75, -1
	s_or_b32 s63, s63, exec_lo
	s_and_saveexec_b32 s74, s73
	s_cbranch_execz .LBB6_3165
	s_branch .LBB6_3169
	.p2align	6
.LBB6_3168:                             ;   in Loop: Header=BB6_3166 Depth=4
	s_trap 2
	ds_read_b64 v[3:4], v0
	s_andn2_b32 s73, s73, exec_lo
	s_mov_b32 s72, 0
	s_waitcnt lgkmcnt(0)
	flat_load_dword v1, v[3:4] glc dlc
	s_waitcnt vmcnt(0) lgkmcnt(0)
	buffer_gl1_inv
	buffer_gl0_inv
	v_cmp_eq_u32_e32 vcc_lo, 0, v1
	s_and_b32 s74, vcc_lo, exec_lo
	s_or_b32 s73, s73, s74
	s_mov_b32 s75, -1
	s_or_b32 s63, s63, exec_lo
	s_and_saveexec_b32 s74, s73
	s_cbranch_execz .LBB6_3165
.LBB6_3169:                             ;   in Loop: Header=BB6_3166 Depth=4
	s_sleep 1
	s_trap 2
	ds_read_b64 v[3:4], v0
	s_waitcnt lgkmcnt(0)
	buffer_gl0_inv
	s_andn2_b32 s63, s63, exec_lo
	v_cmp_ge_u64_e32 vcc_lo, v[3:4], v[70:71]
	s_orn2_b32 s75, vcc_lo, exec_lo
	s_branch .LBB6_3165
.LBB6_3170:                             ;   in Loop: Header=BB6_3132 Depth=3
	s_inst_prefetch 0x2
	s_or_b32 exec_lo, exec_lo, s61
	s_and_saveexec_b32 s61, s62
	s_xor_b32 s61, exec_lo, s61
	s_cbranch_execz .LBB6_3172
; %bb.3171:                             ;   in Loop: Header=BB6_3132 Depth=3
	ds_write_b32 v0, v57
	s_trap 2
.LBB6_3172:                             ;   in Loop: Header=BB6_3132 Depth=3
	s_or_b32 exec_lo, exec_lo, s23
	;;#ASMSTART
	s_wakeup
	;;#ASMEND
.LBB6_3173:                             ;   in Loop: Header=BB6_3132 Depth=3
	s_or_b32 exec_lo, exec_lo, s22
.LBB6_3174:                             ;   in Loop: Header=BB6_3132 Depth=3
	s_andn2_saveexec_b32 s21, s21
	s_cbranch_execz .LBB6_3176
; %bb.3175:                             ;   in Loop: Header=BB6_3132 Depth=3
	s_waitcnt vmcnt(0) lgkmcnt(0)
	s_waitcnt_vscnt null, 0x0
	buffer_gl1_inv
	buffer_gl0_inv
	s_barrier
.LBB6_3176:                             ;   in Loop: Header=BB6_3132 Depth=3
	s_or_b32 exec_lo, exec_lo, s21
.LBB6_3177:                             ;   in Loop: Header=BB6_3132 Depth=3
	s_or_b32 exec_lo, exec_lo, s16
                                        ; implicit-def: $vgpr1
	s_and_saveexec_b32 s16, s47
	s_xor_b32 s16, exec_lo, s16
	s_cbranch_execz .LBB6_3189
; %bb.3178:                             ;   in Loop: Header=BB6_3132 Depth=3
	s_and_saveexec_b32 s21, s29
	s_xor_b32 s21, exec_lo, s21
	s_cbranch_execz .LBB6_3194
; %bb.3179:                             ;   in Loop: Header=BB6_3132 Depth=3
	s_and_saveexec_b32 s22, s11
	s_cbranch_execz .LBB6_3193
; %bb.3180:                             ;   in Loop: Header=BB6_3132 Depth=3
	s_mov_b32 s61, exec_lo
	s_mov_b32 s23, exec_lo
	v_mbcnt_lo_u32_b32 v1, s61, 0
	;;#ASMSTART
	s_waitcnt lgkmcnt(0) vmcnt(0)
	;;#ASMEND
	v_cmpx_eq_u32_e32 0, v1
	s_cbranch_execz .LBB6_3182
; %bb.3181:                             ;   in Loop: Header=BB6_3132 Depth=3
	s_bcnt1_i32_b32 s61, s61
	v_mov_b32_e32 v4, v2
	v_mov_b32_e32 v3, s61
	s_waitcnt vmcnt(0) lgkmcnt(0)
	s_waitcnt_vscnt null, 0x0
	ds_add_u64 v0, v[3:4]
	s_trap 2
.LBB6_3182:                             ;   in Loop: Header=BB6_3132 Depth=3
	s_or_b32 exec_lo, exec_lo, s23
	s_trap 2
	ds_read_b64 v[3:4], v0
	s_waitcnt vmcnt(0) lgkmcnt(0)
	buffer_gl0_inv
	v_add_co_u32 v70, vcc_lo, v70, v47
	v_add_co_ci_u32_e64 v71, null, 0, v71, vcc_lo
	s_mov_b32 s23, exec_lo
	v_cmpx_lt_u64_e64 v[3:4], v[70:71]
	s_cbranch_execz .LBB6_3192
; %bb.3183:                             ;   in Loop: Header=BB6_3132 Depth=3
	s_mov_b32 s61, 0
	s_mov_b32 s72, 0
                                        ; implicit-def: $sgpr62
                                        ; implicit-def: $sgpr63
	s_inst_prefetch 0x1
	s_branch .LBB6_3185
	.p2align	6
.LBB6_3184:                             ;   in Loop: Header=BB6_3185 Depth=4
	s_or_b32 exec_lo, exec_lo, s74
	s_and_b32 s73, exec_lo, s75
	s_or_b32 s61, s73, s61
	s_andn2_b32 s62, s62, exec_lo
	s_and_b32 s73, s63, exec_lo
	s_or_b32 s62, s62, s73
	s_andn2_b32 exec_lo, exec_lo, s61
	s_cbranch_execz .LBB6_3190
.LBB6_3185:                             ;   Parent Loop BB6_47 Depth=1
                                        ;     Parent Loop BB6_271 Depth=2
                                        ;       Parent Loop BB6_3132 Depth=3
                                        ; =>      This Inner Loop Header: Depth=4
	s_add_i32 s72, s72, 1
	s_cmpk_lg_i32 s72, 0x2710
	s_cselect_b32 s73, -1, 0
	s_and_b32 vcc_lo, exec_lo, s73
	s_cbranch_vccz .LBB6_3187
; %bb.3186:                             ;   in Loop: Header=BB6_3185 Depth=4
	s_mov_b32 s75, -1
	s_or_b32 s63, s63, exec_lo
	s_and_saveexec_b32 s74, s73
	s_cbranch_execz .LBB6_3184
	s_branch .LBB6_3188
	.p2align	6
.LBB6_3187:                             ;   in Loop: Header=BB6_3185 Depth=4
	s_trap 2
	ds_read_b64 v[3:4], v0
	s_andn2_b32 s73, s73, exec_lo
	s_mov_b32 s72, 0
	s_waitcnt lgkmcnt(0)
	s_waitcnt_vscnt null, 0x0
	flat_load_dword v1, v[3:4] glc dlc
	s_waitcnt vmcnt(0) lgkmcnt(0)
	buffer_gl1_inv
	buffer_gl0_inv
	v_cmp_eq_u32_e32 vcc_lo, 0, v1
	s_and_b32 s74, vcc_lo, exec_lo
	s_or_b32 s73, s73, s74
	s_mov_b32 s75, -1
	s_or_b32 s63, s63, exec_lo
	s_and_saveexec_b32 s74, s73
	s_cbranch_execz .LBB6_3184
.LBB6_3188:                             ;   in Loop: Header=BB6_3185 Depth=4
	s_sleep 1
	s_trap 2
	ds_read_b64 v[3:4], v0
	s_waitcnt lgkmcnt(0)
	buffer_gl0_inv
	s_andn2_b32 s63, s63, exec_lo
	v_cmp_ge_u64_e32 vcc_lo, v[3:4], v[70:71]
	s_orn2_b32 s75, vcc_lo, exec_lo
	s_branch .LBB6_3184
.LBB6_3189:                             ;   in Loop: Header=BB6_3132 Depth=3
	s_andn2_saveexec_b32 s21, s16
	s_cbranch_execnz .LBB6_3197
	s_branch .LBB6_3200
.LBB6_3190:                             ;   in Loop: Header=BB6_3132 Depth=3
	s_inst_prefetch 0x2
	s_or_b32 exec_lo, exec_lo, s61
	s_and_saveexec_b32 s61, s62
	s_xor_b32 s61, exec_lo, s61
	s_cbranch_execz .LBB6_3192
; %bb.3191:                             ;   in Loop: Header=BB6_3132 Depth=3
	ds_write_b32 v0, v57
	s_trap 2
.LBB6_3192:                             ;   in Loop: Header=BB6_3132 Depth=3
	s_or_b32 exec_lo, exec_lo, s23
	;;#ASMSTART
	s_wakeup
	;;#ASMEND
.LBB6_3193:                             ;   in Loop: Header=BB6_3132 Depth=3
	s_or_b32 exec_lo, exec_lo, s22
.LBB6_3194:                             ;   in Loop: Header=BB6_3132 Depth=3
	s_andn2_saveexec_b32 s21, s21
	s_cbranch_execz .LBB6_3196
; %bb.3195:                             ;   in Loop: Header=BB6_3132 Depth=3
	;;#ASMSTART
	s_waitcnt lgkmcnt(0) vmcnt(0)
	;;#ASMEND
	s_barrier
.LBB6_3196:                             ;   in Loop: Header=BB6_3132 Depth=3
	s_or_b32 exec_lo, exec_lo, s21
	v_and_b32_e32 v1, 16, v44
	s_andn2_saveexec_b32 s21, s16
	s_cbranch_execz .LBB6_3200
.LBB6_3197:                             ;   in Loop: Header=BB6_3132 Depth=3
	s_trap 2
	ds_read_b32 v1, v0
	v_cmp_lt_i32_e32 vcc_lo, 0, v100
	s_waitcnt lgkmcnt(0)
	v_readfirstlane_b32 s16, v1
	v_and_b32_e32 v1, 16, v44
	s_cmp_eq_u32 s16, 0
	v_cmp_ne_u32_e64 s16, 0, v1
	s_cselect_b32 s22, -1, 0
	v_and_b32_e32 v1, 16, v44
	s_and_b32 s22, vcc_lo, s22
	s_and_b32 s22, s16, s22
	s_and_saveexec_b32 s16, s22
	s_cbranch_execz .LBB6_3199
; %bb.3198:                             ;   in Loop: Header=BB6_3132 Depth=3
	v_mov_b32_e32 v1, 1
	s_waitcnt vmcnt(0)
	s_waitcnt_vscnt null, 0x0
	buffer_gl1_inv
	buffer_gl0_inv
.LBB6_3199:                             ;   in Loop: Header=BB6_3132 Depth=3
	s_or_b32 exec_lo, exec_lo, s16
.LBB6_3200:                             ;   in Loop: Header=BB6_3132 Depth=3
	s_or_b32 exec_lo, exec_lo, s21
	v_cmp_ne_u32_e32 vcc_lo, 0, v1
	s_xor_b32 s16, s7, -1
	s_and_b32 s21, vcc_lo, s16
	s_and_saveexec_b32 s16, s21
	s_cbranch_execz .LBB6_3202
; %bb.3201:                             ;   in Loop: Header=BB6_3132 Depth=3
	s_waitcnt vmcnt(0) lgkmcnt(0)
	s_waitcnt_vscnt null, 0x0
	flat_store_dword v[68:69], v57
.LBB6_3202:                             ;   in Loop: Header=BB6_3132 Depth=3
	s_or_b32 exec_lo, exec_lo, s16
	v_and_b32_e32 v1, 48, v44
	s_mov_b32 s16, exec_lo
	v_cmpx_ne_u32_e32 0, v1
	s_cbranch_execz .LBB6_3131
; %bb.3203:                             ;   in Loop: Header=BB6_3132 Depth=3
	v_add_co_u32 v96, vcc_lo, v96, 2
	v_add_co_ci_u32_e64 v97, null, 0, v97, vcc_lo
	s_waitcnt vmcnt(0) lgkmcnt(0)
	s_waitcnt_vscnt null, 0x0
	flat_store_dwordx2 v[64:65], v[96:97]
	s_branch .LBB6_3131
.LBB6_3204:                             ;   in Loop: Header=BB6_47 Depth=1
	s_clause 0x1
	buffer_load_dword v10, off, s[0:3], s33 offset:216
	buffer_load_dword v11, off, s[0:3], s33 offset:220
	v_mov_b32_e32 v103, 0
	s_waitcnt vmcnt(1)
	v_mul_lo_u32 v3, v10, s28
	s_waitcnt vmcnt(0)
	v_mul_lo_u32 v1, v11, s25
	v_mad_u64_u32 v[8:9], null, v10, s25, 0
	v_add3_u32 v9, v9, v3, v1
	s_clause 0x1
	buffer_load_dword v3, off, s[0:3], s33 offset:208
	buffer_load_dword v4, off, s[0:3], s33 offset:212
	s_waitcnt vmcnt(1)
	v_sub_co_u32 v3, vcc_lo, v3, v8
	s_waitcnt vmcnt(0)
	v_sub_co_ci_u32_e64 v4, null, v4, v9, vcc_lo
	v_cmp_lt_i64_e32 vcc_lo, v[10:11], v[3:4]
	v_cndmask_b32_e32 v4, v3, v10, vcc_lo
	v_max_i32_e32 v3, 0, v4
	v_cmp_lt_i32_e32 vcc_lo, 0, v4
	v_add_nc_u32_e32 v1, 31, v3
	s_and_b32 s16, s57, vcc_lo
	v_lshrrev_b32_e32 v1, 1, v1
	v_and_b32_e32 v5, 0x3ffffff0, v1
	v_mov_b32_e32 v1, 0
	v_max_i32_e32 v100, s45, v5
	s_and_saveexec_b32 s21, s16
	s_cbranch_execnz .LBB6_3205
; %bb.9403:                             ;   in Loop: Header=BB6_47 Depth=1
	s_getpc_b64 s[34:35]
.Lpost_getpc15:
	s_add_u32 s34, s34, (.LBB6_8809-.Lpost_getpc15)&4294967295
	s_addc_u32 s35, s35, (.LBB6_8809-.Lpost_getpc15)>>32
	s_setpc_b64 s[34:35]
.LBB6_3205:                             ;   in Loop: Header=BB6_47 Depth=1
	buffer_load_dword v1, off, s[0:3], s33 offset:192 ; 4-byte Folded Reload
	v_mov_b32_e32 v103, 0
	s_mov_b32 s63, 1
	s_mov_b32 s62, -1
	s_mov_b32 s61, 0
	s_waitcnt vmcnt(0)
	v_add_co_u32 v1, vcc_lo, v8, v1
	buffer_store_dword v1, off, s[0:3], s33 offset:244 ; 4-byte Folded Spill
	buffer_load_dword v1, off, s[0:3], s33 offset:196 ; 4-byte Folded Reload
	s_waitcnt vmcnt(0)
	v_add_co_ci_u32_e64 v1, null, v9, v1, vcc_lo
	buffer_store_dword v1, off, s[0:3], s33 offset:240 ; 4-byte Folded Spill
	s_branch .LBB6_3207
.LBB6_3206:                             ;   in Loop: Header=BB6_3207 Depth=2
	s_or_b32 exec_lo, exec_lo, s16
	v_add_nc_u32_e32 v103, v100, v103
	s_xor_b32 s16, s62, -1
	v_mov_b32_e32 v1, s63
	s_mov_b32 s62, 0
	s_mov_b32 s63, 2
	v_cmp_ge_i32_e32 vcc_lo, v103, v3
	s_or_b32 s16, s16, vcc_lo
	s_and_b32 s16, exec_lo, s16
	s_or_b32 s61, s16, s61
	s_andn2_b32 exec_lo, exec_lo, s61
	s_cbranch_execnz .LBB6_3207
; %bb.9405:                             ;   in Loop: Header=BB6_47 Depth=1
	s_getpc_b64 s[34:35]
.Lpost_getpc16:
	s_add_u32 s34, s34, (.LBB6_8808-.Lpost_getpc16)&4294967295
	s_addc_u32 s35, s35, (.LBB6_8808-.Lpost_getpc16)>>32
	s_setpc_b64 s[34:35]
.LBB6_3207:                             ;   Parent Loop BB6_47 Depth=1
                                        ; =>  This Loop Header: Depth=2
                                        ;       Child Loop BB6_3215 Depth 3
                                        ;       Child Loop BB6_3243 Depth 3
	;; [unrolled: 1-line block ×5, first 2 shown]
                                        ;         Child Loop BB6_5151 Depth 4
                                        ;       Child Loop BB6_5227 Depth 3
                                        ;       Child Loop BB6_5997 Depth 3
                                        ;         Child Loop BB6_6018 Depth 4
                                        ;       Child Loop BB6_6037 Depth 3
                                        ;       Child Loop BB6_7578 Depth 3
	;; [unrolled: 1-line block ×6, first 2 shown]
	s_and_saveexec_b32 s17, s4
	s_cbranch_execz .LBB6_3209
; %bb.3208:                             ;   in Loop: Header=BB6_3207 Depth=2
	s_trap 2
	s_waitcnt vmcnt(0)
	ds_read2_b64 v[8:11], v0 offset1:1
	ds_read_b64 v[4:5], v0
	s_clause 0x1
	buffer_load_dword v12, off, s[0:3], s33 offset:244
	buffer_load_dword v13, off, s[0:3], s33 offset:240
	v_ashrrev_i32_e32 v1, 31, v103
	s_waitcnt vmcnt(1) lgkmcnt(1)
	v_add_co_u32 v8, vcc_lo, v8, v12
	s_waitcnt vmcnt(0)
	v_add_co_ci_u32_e64 v9, null, v9, v13, vcc_lo
	v_add_co_u32 v10, vcc_lo, v10, v12
	v_add_co_ci_u32_e64 v11, null, v11, v13, vcc_lo
	s_waitcnt lgkmcnt(0)
	v_add_co_u32 v12, vcc_lo, v4, v12
	v_add_co_ci_u32_e64 v13, null, v5, v13, vcc_lo
	v_add_co_u32 v8, vcc_lo, v8, v103
	v_add_co_ci_u32_e64 v9, null, v9, v1, vcc_lo
	;; [unrolled: 2-line block ×3, first 2 shown]
	v_cmp_ne_u64_e32 vcc_lo, 0, v[4:5]
	v_add_co_u32 v4, s16, v10, v103
	v_add_co_ci_u32_e64 v5, null, v11, v1, s16
	v_cndmask_b32_e32 v11, 0, v13, vcc_lo
	v_cndmask_b32_e32 v10, 0, v12, vcc_lo
	ds_write_b64 v0, v[8:9]
	ds_write_b64 v0, v[4:5]
	;; [unrolled: 1-line block ×3, first 2 shown]
.LBB6_3209:                             ;   in Loop: Header=BB6_3207 Depth=2
	s_or_b32 exec_lo, exec_lo, s17
	v_sub_nc_u32_e32 v1, v3, v103
	v_and_b32_e32 v4, 12, v44
	s_mov_b32 s17, exec_lo
	v_min_i32_e32 v100, v100, v1
	v_cmpx_ne_u32_e32 0, v4
	s_cbranch_execz .LBB6_3235
; %bb.3210:                             ;   in Loop: Header=BB6_3207 Depth=2
	v_and_b32_e32 v1, 8, v44
	s_mov_b32 s18, exec_lo
	s_waitcnt vmcnt(0) lgkmcnt(1)
	v_add_co_u32 v4, vcc_lo, v80, v1
	v_add_co_ci_u32_e64 v5, null, 0, v81, vcc_lo
	v_add_co_u32 v8, vcc_lo, v96, 2
	v_add_co_ci_u32_e64 v9, null, 0, v97, vcc_lo
	v_cmpx_lt_u64_e64 v[4:5], v[8:9]
	s_cbranch_execz .LBB6_3222
; %bb.3211:                             ;   in Loop: Header=BB6_3207 Depth=2
	v_and_b32_e32 v4, 64, v44
	s_mov_b32 s19, 0
	s_mov_b32 s73, 0
                                        ; implicit-def: $sgpr22
                                        ; implicit-def: $sgpr23
                                        ; implicit-def: $sgpr72
	v_cmp_eq_u32_e32 vcc_lo, 0, v4
	s_branch .LBB6_3215
.LBB6_3212:                             ;   in Loop: Header=BB6_3215 Depth=3
	s_waitcnt vmcnt(0) lgkmcnt(0)
	v_add_co_u32 v10, s16, v80, v1
	v_add_co_ci_u32_e64 v11, null, 0, v81, s16
	s_or_b32 s76, s76, exec_lo
	v_cmp_ge_u64_e64 s16, v[10:11], v[8:9]
	s_orn2_b32 s75, s16, exec_lo
.LBB6_3213:                             ;   in Loop: Header=BB6_3215 Depth=3
	s_or_b32 exec_lo, exec_lo, s78
	s_andn2_b32 s16, s72, exec_lo
	s_and_b32 s72, s76, exec_lo
	s_andn2_b32 s23, s23, exec_lo
	s_and_b32 s75, s75, exec_lo
	s_or_b32 s72, s16, s72
	s_or_b32 s23, s23, s75
.LBB6_3214:                             ;   in Loop: Header=BB6_3215 Depth=3
	s_or_b32 exec_lo, exec_lo, s74
	s_and_b32 s16, exec_lo, s23
	s_or_b32 s19, s16, s19
	s_andn2_b32 s16, s22, exec_lo
	s_and_b32 s22, s72, exec_lo
	s_or_b32 s22, s16, s22
	s_andn2_b32 exec_lo, exec_lo, s19
	s_cbranch_execz .LBB6_3219
.LBB6_3215:                             ;   Parent Loop BB6_47 Depth=1
                                        ;     Parent Loop BB6_3207 Depth=2
                                        ; =>    This Inner Loop Header: Depth=3
	s_sleep 1
	s_waitcnt vmcnt(0) lgkmcnt(0)
	flat_load_dwordx2 v[80:81], v[64:65] glc dlc
	s_or_b32 s72, s72, exec_lo
	s_or_b32 s23, s23, exec_lo
                                        ; implicit-def: $vgpr4
	s_and_saveexec_b32 s74, vcc_lo
	s_cbranch_execz .LBB6_3214
; %bb.3216:                             ;   in Loop: Header=BB6_3215 Depth=3
	s_cmpk_lt_i32 s73, 0x270f
	s_mov_b32 s75, -1
	s_cselect_b32 s77, -1, 0
	s_cmpk_gt_i32 s73, 0x270e
	s_cbranch_scc0 .LBB6_3218
; %bb.3217:                             ;   in Loop: Header=BB6_3215 Depth=3
	s_trap 2
	ds_read_b64 v[4:5], v0
	s_andn2_b32 s73, s77, exec_lo
	s_mov_b32 s76, 0
	s_waitcnt vmcnt(0) lgkmcnt(0)
	s_waitcnt_vscnt null, 0x0
	flat_load_dword v4, v[4:5] glc dlc
	s_waitcnt vmcnt(0) lgkmcnt(0)
	buffer_gl1_inv
	buffer_gl0_inv
	v_cmp_eq_u32_e64 s16, 0, v4
	s_and_b32 s16, s16, exec_lo
	s_or_b32 s77, s73, s16
	s_mov_b32 s73, 0
	s_and_saveexec_b32 s78, s77
	s_cbranch_execz .LBB6_3213
	s_branch .LBB6_3212
.LBB6_3218:                             ;   in Loop: Header=BB6_3215 Depth=3
	s_add_i32 s73, s73, 1
	s_mov_b32 s76, -1
                                        ; implicit-def: $vgpr4
	s_and_saveexec_b32 s78, s77
	s_cbranch_execz .LBB6_3213
	s_branch .LBB6_3212
.LBB6_3219:                             ;   in Loop: Header=BB6_3207 Depth=2
	s_or_b32 exec_lo, exec_lo, s19
	s_xor_b32 s16, s22, -1
	s_and_saveexec_b32 s19, s16
	s_xor_b32 s16, exec_lo, s19
	s_cbranch_execz .LBB6_3221
; %bb.3220:                             ;   in Loop: Header=BB6_3207 Depth=2
	v_or_b32_e32 v44, 64, v44
	s_waitcnt vmcnt(0) lgkmcnt(0)
	s_waitcnt_vscnt null, 0x0
	ds_write_b32 v0, v4
	s_trap 2
.LBB6_3221:                             ;   in Loop: Header=BB6_3207 Depth=2
	s_or_b32 exec_lo, exec_lo, s16
.LBB6_3222:                             ;   in Loop: Header=BB6_3207 Depth=2
	s_or_b32 exec_lo, exec_lo, s18
	v_and_b32_e32 v4, 0x108, v44
	s_mov_b32 s16, exec_lo
	;;#ASMSTART
	s_wakeup
	;;#ASMEND
                                        ; implicit-def: $vgpr10_vgpr11
	v_cmpx_ne_u32_e32 0x108, v4
	s_xor_b32 s16, exec_lo, s16
; %bb.3223:                             ;   in Loop: Header=BB6_3207 Depth=2
	v_and_b32_e32 v10, 7, v96
	v_mov_b32_e32 v11, v2
                                        ; implicit-def: $vgpr96_vgpr97
; %bb.3224:                             ;   in Loop: Header=BB6_3207 Depth=2
	s_andn2_saveexec_b32 s16, s16
	s_cbranch_execz .LBB6_3226
; %bb.3225:                             ;   in Loop: Header=BB6_3207 Depth=2
	v_and_b32_e32 v10, 7, v96
	v_ashrrev_i32_e32 v101, 31, v100
	v_mov_b32_e32 v11, v2
	v_mad_u64_u32 v[4:5], null, v10, 24, v[6:7]
	flat_store_dwordx2 v[4:5], v[100:101] offset:8
.LBB6_3226:                             ;   in Loop: Header=BB6_3207 Depth=2
	s_or_b32 exec_lo, exec_lo, s16
	v_and_b32_e32 v4, 0x100, v44
	s_mov_b32 s16, -1
	s_mov_b32 s18, exec_lo
                                        ; implicit-def: $vgpr12_vgpr13
	v_cmpx_ne_u32_e32 0, v4
	s_cbranch_execz .LBB6_3230
; %bb.3227:                             ;   in Loop: Header=BB6_3207 Depth=2
	v_mad_u64_u32 v[14:15], null, v10, 24, v[6:7]
	s_mov_b32 s19, exec_lo
                                        ; implicit-def: $vgpr12_vgpr13
	v_mov_b32_e32 v4, v15
	v_mad_u64_u32 v[4:5], null, v11, 24, v[4:5]
	v_mov_b32_e32 v15, v4
	flat_load_dword v4, v[14:15]
	s_waitcnt vmcnt(0) lgkmcnt(0)
	v_cmp_ne_u32_e32 vcc_lo, 1, v4
	v_cmpx_eq_u32_e32 1, v4
	s_cbranch_execz .LBB6_3229
; %bb.3228:                             ;   in Loop: Header=BB6_3207 Depth=2
	flat_load_dword v12, v[14:15] offset:4 glc dlc
	s_waitcnt vmcnt(0) lgkmcnt(0)
	v_ashrrev_i32_e32 v13, 31, v12
.LBB6_3229:                             ;   in Loop: Header=BB6_3207 Depth=2
	s_or_b32 exec_lo, exec_lo, s19
	s_orn2_b32 s16, vcc_lo, exec_lo
.LBB6_3230:                             ;   in Loop: Header=BB6_3207 Depth=2
	s_or_b32 exec_lo, exec_lo, s18
	s_and_saveexec_b32 s18, s16
	s_cbranch_execz .LBB6_3232
; %bb.3231:                             ;   in Loop: Header=BB6_3207 Depth=2
	v_ashrrev_i32_e32 v5, 31, v45
	v_mul_lo_u32 v4, v11, v45
	v_mad_u64_u32 v[12:13], null, v10, v45, 0
	v_mul_lo_u32 v5, v10, v5
	v_add3_u32 v13, v13, v5, v4
.LBB6_3232:                             ;   in Loop: Header=BB6_3207 Depth=2
	s_or_b32 exec_lo, exec_lo, s18
	v_cmp_eq_u32_e32 vcc_lo, 0, v1
	v_mov_b32_e32 v1, 0x90
	v_and_b32_e32 v10, 0x2000, v44
	s_mov_b32 s16, exec_lo
	v_cndmask_b32_e32 v1, 0xd0, v1, vcc_lo
	v_add_co_u32 v4, vcc_lo, v66, v12
	v_add_co_ci_u32_e64 v5, null, v67, v13, vcc_lo
	v_add_nc_u32_e32 v1, v0, v1
	ds_write_b64 v1, v[4:5] offset:584
	v_cmpx_ne_u32_e32 0, v10
	s_cbranch_execz .LBB6_3234
; %bb.3233:                             ;   in Loop: Header=BB6_3207 Depth=2
	ds_read_b64 v[4:5], v0 offset:872
	s_waitcnt lgkmcnt(0)
	v_add_co_u32 v4, vcc_lo, v4, 1
	v_add_co_ci_u32_e64 v5, null, 0, v5, vcc_lo
	ds_write_b64 v0, v[4:5] offset:872
.LBB6_3234:                             ;   in Loop: Header=BB6_3207 Depth=2
	s_or_b32 exec_lo, exec_lo, s16
	v_mov_b32_e32 v97, v9
	v_mov_b32_e32 v96, v8
.LBB6_3235:                             ;   in Loop: Header=BB6_3207 Depth=2
	s_or_b32 exec_lo, exec_lo, s17
	s_and_saveexec_b32 s16, s6
	s_cbranch_execz .LBB6_3254
; %bb.3236:                             ;   in Loop: Header=BB6_3207 Depth=2
	s_and_saveexec_b32 s17, s29
	s_xor_b32 s17, exec_lo, s17
	s_cbranch_execz .LBB6_3251
; %bb.3237:                             ;   in Loop: Header=BB6_3207 Depth=2
	s_and_saveexec_b32 s18, s11
	s_cbranch_execz .LBB6_3250
; %bb.3238:                             ;   in Loop: Header=BB6_3207 Depth=2
	s_mov_b32 s22, exec_lo
	s_mov_b32 s19, exec_lo
	v_mbcnt_lo_u32_b32 v1, s22, 0
	s_waitcnt vmcnt(0) lgkmcnt(0)
	s_waitcnt_vscnt null, 0x0
	buffer_gl1_inv
	buffer_gl0_inv
	v_cmpx_eq_u32_e32 0, v1
	s_cbranch_execz .LBB6_3240
; %bb.3239:                             ;   in Loop: Header=BB6_3207 Depth=2
	s_bcnt1_i32_b32 s22, s22
	v_mov_b32_e32 v5, v2
	v_mov_b32_e32 v4, s22
	ds_add_u64 v0, v[4:5]
	s_trap 2
.LBB6_3240:                             ;   in Loop: Header=BB6_3207 Depth=2
	s_or_b32 exec_lo, exec_lo, s19
	s_trap 2
	ds_read_b64 v[4:5], v0
	s_waitcnt lgkmcnt(0)
	buffer_gl0_inv
	v_add_co_u32 v70, vcc_lo, v70, v47
	v_add_co_ci_u32_e64 v71, null, 0, v71, vcc_lo
	s_mov_b32 s19, exec_lo
	v_cmpx_lt_u64_e64 v[4:5], v[70:71]
	s_cbranch_execz .LBB6_3249
; %bb.3241:                             ;   in Loop: Header=BB6_3207 Depth=2
	s_mov_b32 s22, 0
	s_mov_b32 s73, 0
                                        ; implicit-def: $sgpr23
                                        ; implicit-def: $sgpr72
	s_inst_prefetch 0x1
	s_branch .LBB6_3243
	.p2align	6
.LBB6_3242:                             ;   in Loop: Header=BB6_3243 Depth=3
	s_or_b32 exec_lo, exec_lo, s75
	s_and_b32 s74, exec_lo, s76
	s_or_b32 s22, s74, s22
	s_andn2_b32 s23, s23, exec_lo
	s_and_b32 s74, s72, exec_lo
	s_or_b32 s23, s23, s74
	s_andn2_b32 exec_lo, exec_lo, s22
	s_cbranch_execz .LBB6_3247
.LBB6_3243:                             ;   Parent Loop BB6_47 Depth=1
                                        ;     Parent Loop BB6_3207 Depth=2
                                        ; =>    This Inner Loop Header: Depth=3
	s_add_i32 s73, s73, 1
	s_cmpk_lg_i32 s73, 0x2710
	s_cselect_b32 s74, -1, 0
	s_and_b32 vcc_lo, exec_lo, s74
	s_cbranch_vccz .LBB6_3245
; %bb.3244:                             ;   in Loop: Header=BB6_3243 Depth=3
	s_mov_b32 s76, -1
	s_or_b32 s72, s72, exec_lo
	s_and_saveexec_b32 s75, s74
	s_cbranch_execz .LBB6_3242
	s_branch .LBB6_3246
	.p2align	6
.LBB6_3245:                             ;   in Loop: Header=BB6_3243 Depth=3
	s_trap 2
	ds_read_b64 v[4:5], v0
	s_andn2_b32 s74, s74, exec_lo
	s_mov_b32 s73, 0
	s_waitcnt lgkmcnt(0)
	flat_load_dword v1, v[4:5] glc dlc
	s_waitcnt vmcnt(0) lgkmcnt(0)
	buffer_gl1_inv
	buffer_gl0_inv
	v_cmp_eq_u32_e32 vcc_lo, 0, v1
	s_and_b32 s75, vcc_lo, exec_lo
	s_or_b32 s74, s74, s75
	s_mov_b32 s76, -1
	s_or_b32 s72, s72, exec_lo
	s_and_saveexec_b32 s75, s74
	s_cbranch_execz .LBB6_3242
.LBB6_3246:                             ;   in Loop: Header=BB6_3243 Depth=3
	s_sleep 1
	s_trap 2
	ds_read_b64 v[4:5], v0
	s_waitcnt lgkmcnt(0)
	buffer_gl0_inv
	s_andn2_b32 s72, s72, exec_lo
	v_cmp_ge_u64_e32 vcc_lo, v[4:5], v[70:71]
	s_orn2_b32 s76, vcc_lo, exec_lo
	s_branch .LBB6_3242
.LBB6_3247:                             ;   in Loop: Header=BB6_3207 Depth=2
	s_inst_prefetch 0x2
	s_or_b32 exec_lo, exec_lo, s22
	s_and_saveexec_b32 s22, s23
	s_xor_b32 s22, exec_lo, s22
	s_cbranch_execz .LBB6_3249
; %bb.3248:                             ;   in Loop: Header=BB6_3207 Depth=2
	ds_write_b32 v0, v57
	s_trap 2
.LBB6_3249:                             ;   in Loop: Header=BB6_3207 Depth=2
	s_or_b32 exec_lo, exec_lo, s19
	;;#ASMSTART
	s_wakeup
	;;#ASMEND
.LBB6_3250:                             ;   in Loop: Header=BB6_3207 Depth=2
	s_or_b32 exec_lo, exec_lo, s18
.LBB6_3251:                             ;   in Loop: Header=BB6_3207 Depth=2
	s_andn2_saveexec_b32 s17, s17
	s_cbranch_execz .LBB6_3253
; %bb.3252:                             ;   in Loop: Header=BB6_3207 Depth=2
	s_waitcnt vmcnt(0) lgkmcnt(0)
	s_waitcnt_vscnt null, 0x0
	buffer_gl1_inv
	buffer_gl0_inv
	s_barrier
.LBB6_3253:                             ;   in Loop: Header=BB6_3207 Depth=2
	s_or_b32 exec_lo, exec_lo, s17
.LBB6_3254:                             ;   in Loop: Header=BB6_3207 Depth=2
	s_or_b32 exec_lo, exec_lo, s16
	s_trap 2
	ds_read_b32 v1, v0
	v_and_b32_e32 v4, 0x4000, v44
	s_xor_b32 s16, s5, -1
	v_cmp_ne_u32_e32 vcc_lo, 0, v4
	s_and_b32 s17, s16, vcc_lo
	s_and_saveexec_b32 s16, s17
	s_cbranch_execz .LBB6_3273
; %bb.3255:                             ;   in Loop: Header=BB6_3207 Depth=2
	s_and_saveexec_b32 s17, s29
	s_xor_b32 s17, exec_lo, s17
	s_cbranch_execz .LBB6_3270
; %bb.3256:                             ;   in Loop: Header=BB6_3207 Depth=2
	s_and_saveexec_b32 s18, s11
	s_cbranch_execz .LBB6_3269
; %bb.3257:                             ;   in Loop: Header=BB6_3207 Depth=2
	s_mov_b32 s22, exec_lo
	s_mov_b32 s19, exec_lo
	v_mbcnt_lo_u32_b32 v4, s22, 0
	s_waitcnt vmcnt(0) lgkmcnt(0)
	s_waitcnt_vscnt null, 0x0
	buffer_gl1_inv
	buffer_gl0_inv
	v_cmpx_eq_u32_e32 0, v4
	s_cbranch_execz .LBB6_3259
; %bb.3258:                             ;   in Loop: Header=BB6_3207 Depth=2
	s_bcnt1_i32_b32 s22, s22
	v_mov_b32_e32 v5, v2
	v_mov_b32_e32 v4, s22
	ds_add_u64 v0, v[4:5]
	s_trap 2
.LBB6_3259:                             ;   in Loop: Header=BB6_3207 Depth=2
	s_or_b32 exec_lo, exec_lo, s19
	s_trap 2
	ds_read_b64 v[4:5], v0
	s_waitcnt lgkmcnt(0)
	buffer_gl0_inv
	v_add_co_u32 v70, vcc_lo, v70, v47
	v_add_co_ci_u32_e64 v71, null, 0, v71, vcc_lo
	s_mov_b32 s19, exec_lo
	v_cmpx_lt_u64_e64 v[4:5], v[70:71]
	s_cbranch_execz .LBB6_3268
; %bb.3260:                             ;   in Loop: Header=BB6_3207 Depth=2
	s_mov_b32 s22, 0
	s_mov_b32 s73, 0
                                        ; implicit-def: $sgpr23
                                        ; implicit-def: $sgpr72
	s_inst_prefetch 0x1
	s_branch .LBB6_3262
	.p2align	6
.LBB6_3261:                             ;   in Loop: Header=BB6_3262 Depth=3
	s_or_b32 exec_lo, exec_lo, s75
	s_and_b32 s74, exec_lo, s76
	s_or_b32 s22, s74, s22
	s_andn2_b32 s23, s23, exec_lo
	s_and_b32 s74, s72, exec_lo
	s_or_b32 s23, s23, s74
	s_andn2_b32 exec_lo, exec_lo, s22
	s_cbranch_execz .LBB6_3266
.LBB6_3262:                             ;   Parent Loop BB6_47 Depth=1
                                        ;     Parent Loop BB6_3207 Depth=2
                                        ; =>    This Inner Loop Header: Depth=3
	s_add_i32 s73, s73, 1
	s_cmpk_lg_i32 s73, 0x2710
	s_cselect_b32 s74, -1, 0
	s_and_b32 vcc_lo, exec_lo, s74
	s_cbranch_vccz .LBB6_3264
; %bb.3263:                             ;   in Loop: Header=BB6_3262 Depth=3
	s_mov_b32 s76, -1
	s_or_b32 s72, s72, exec_lo
	s_and_saveexec_b32 s75, s74
	s_cbranch_execz .LBB6_3261
	s_branch .LBB6_3265
	.p2align	6
.LBB6_3264:                             ;   in Loop: Header=BB6_3262 Depth=3
	s_trap 2
	ds_read_b64 v[4:5], v0
	s_andn2_b32 s74, s74, exec_lo
	s_mov_b32 s73, 0
	s_waitcnt lgkmcnt(0)
	flat_load_dword v4, v[4:5] glc dlc
	s_waitcnt vmcnt(0) lgkmcnt(0)
	buffer_gl1_inv
	buffer_gl0_inv
	v_cmp_eq_u32_e32 vcc_lo, 0, v4
	s_and_b32 s75, vcc_lo, exec_lo
	s_or_b32 s74, s74, s75
	s_mov_b32 s76, -1
	s_or_b32 s72, s72, exec_lo
	s_and_saveexec_b32 s75, s74
	s_cbranch_execz .LBB6_3261
.LBB6_3265:                             ;   in Loop: Header=BB6_3262 Depth=3
	s_sleep 1
	s_trap 2
	ds_read_b64 v[4:5], v0
	s_waitcnt lgkmcnt(0)
	buffer_gl0_inv
	s_andn2_b32 s72, s72, exec_lo
	v_cmp_ge_u64_e32 vcc_lo, v[4:5], v[70:71]
	s_orn2_b32 s76, vcc_lo, exec_lo
	s_branch .LBB6_3261
.LBB6_3266:                             ;   in Loop: Header=BB6_3207 Depth=2
	s_inst_prefetch 0x2
	s_or_b32 exec_lo, exec_lo, s22
	s_and_saveexec_b32 s22, s23
	s_xor_b32 s22, exec_lo, s22
	s_cbranch_execz .LBB6_3268
; %bb.3267:                             ;   in Loop: Header=BB6_3207 Depth=2
	ds_write_b32 v0, v57
	s_trap 2
.LBB6_3268:                             ;   in Loop: Header=BB6_3207 Depth=2
	s_or_b32 exec_lo, exec_lo, s19
	;;#ASMSTART
	s_wakeup
	;;#ASMEND
.LBB6_3269:                             ;   in Loop: Header=BB6_3207 Depth=2
	s_or_b32 exec_lo, exec_lo, s18
.LBB6_3270:                             ;   in Loop: Header=BB6_3207 Depth=2
	s_andn2_saveexec_b32 s17, s17
	s_cbranch_execz .LBB6_3272
; %bb.3271:                             ;   in Loop: Header=BB6_3207 Depth=2
	s_waitcnt vmcnt(0) lgkmcnt(0)
	s_waitcnt_vscnt null, 0x0
	buffer_gl1_inv
	buffer_gl0_inv
	s_barrier
.LBB6_3272:                             ;   in Loop: Header=BB6_3207 Depth=2
	s_or_b32 exec_lo, exec_lo, s17
.LBB6_3273:                             ;   in Loop: Header=BB6_3207 Depth=2
	s_or_b32 exec_lo, exec_lo, s16
	s_trap 2
	ds_read_b64 v[101:102], v0
	s_waitcnt lgkmcnt(0)
	v_cmp_eq_u64_e32 vcc_lo, 0, v[101:102]
	s_cbranch_vccnz .LBB6_3282
; %bb.3274:                             ;   in Loop: Header=BB6_3207 Depth=2
	s_trap 2
	ds_read_b64 v[4:5], v0
	s_waitcnt lgkmcnt(0)
	buffer_store_dword v4, off, s[0:3], s33 offset:232 ; 4-byte Folded Spill
	buffer_store_dword v5, off, s[0:3], s33 offset:236 ; 4-byte Folded Spill
	v_cmp_eq_u64_e32 vcc_lo, 0, v[4:5]
	s_cbranch_vccnz .LBB6_3282
; %bb.3275:                             ;   in Loop: Header=BB6_3207 Depth=2
	s_trap 2
	ds_read_b64 v[114:115], v0
	v_cmp_eq_u32_e64 s16, 0, v1
	v_cndmask_b32_e64 v95, 0, v100, s16
	s_mov_b32 s16, -1
	s_waitcnt lgkmcnt(0)
	v_cmp_ne_u64_e32 vcc_lo, 0, v[114:115]
	s_cbranch_vccz .LBB6_6025
; %bb.3276:                             ;   in Loop: Header=BB6_3207 Depth=2
	s_and_saveexec_b32 s17, s15
	s_cbranch_execz .LBB6_3278
; %bb.3277:                             ;   in Loop: Header=BB6_3207 Depth=2
	ds_read_b32 v1, v0 offset:720
	s_waitcnt lgkmcnt(0)
	v_and_b32_e32 v1, 15, v1
	v_cmp_eq_u32_e32 vcc_lo, 0, v1
	s_orn2_b32 s16, vcc_lo, exec_lo
.LBB6_3278:                             ;   in Loop: Header=BB6_3207 Depth=2
	s_or_b32 exec_lo, exec_lo, s17
	s_and_saveexec_b32 s17, s15
	s_cbranch_execz .LBB6_3280
; %bb.3279:                             ;   in Loop: Header=BB6_3207 Depth=2
	ds_read_b32 v1, v0 offset:784
	s_waitcnt lgkmcnt(0)
	v_and_b32_e32 v1, 15, v1
	v_cmp_eq_u32_e32 vcc_lo, 0, v1
	s_and_b32 s18, s16, vcc_lo
	s_andn2_b32 s16, s16, exec_lo
	s_and_b32 s18, s18, exec_lo
	s_or_b32 s16, s16, s18
.LBB6_3280:                             ;   in Loop: Header=BB6_3207 Depth=2
	s_or_b32 exec_lo, exec_lo, s17
	s_xor_b32 s16, s16, -1
	v_mov_b32_e32 v4, 0
	v_cndmask_b32_e64 v1, 0, 1, s16
	v_mov_b32_e32 v5, v95
	v_mov_b32_e32 v16, v0
	;; [unrolled: 1-line block ×3, first 2 shown]
	s_mov_b32 s16, -1
	v_cmp_ne_u32_e32 vcc_lo, 0, v1
	s_cbranch_vccz .LBB6_3287
; %bb.3281:                             ;   in Loop: Header=BB6_3207 Depth=2
	s_and_saveexec_b32 s22, s16
	s_cbranch_execz .LBB6_6024
	s_branch .LBB6_5222
.LBB6_3282:                             ;   in Loop: Header=BB6_3207 Depth=2
	s_mov_b32 s16, 0
	s_and_saveexec_b32 s17, s6
	s_cbranch_execz .LBB6_3283
; %bb.9407:                             ;   in Loop: Header=BB6_3207 Depth=2
	s_getpc_b64 s[34:35]
.Lpost_getpc17:
	s_add_u32 s34, s34, (.LBB6_8767-.Lpost_getpc17)&4294967295
	s_addc_u32 s35, s35, (.LBB6_8767-.Lpost_getpc17)>>32
	s_setpc_b64 s[34:35]
.LBB6_3283:                             ;   in Loop: Header=BB6_3207 Depth=2
	s_or_b32 exec_lo, exec_lo, s17
                                        ; implicit-def: $vgpr1
	s_and_saveexec_b32 s17, s13
	s_xor_b32 s17, exec_lo, s17
	s_cbranch_execnz .LBB6_3284
; %bb.9409:                             ;   in Loop: Header=BB6_3207 Depth=2
	s_getpc_b64 s[34:35]
.Lpost_getpc18:
	s_add_u32 s34, s34, (.LBB6_8785-.Lpost_getpc18)&4294967295
	s_addc_u32 s35, s35, (.LBB6_8785-.Lpost_getpc18)>>32
	s_setpc_b64 s[34:35]
.LBB6_3284:                             ;   in Loop: Header=BB6_3207 Depth=2
	v_and_b32_e32 v1, 16, v44
	v_cmp_ne_u32_e32 vcc_lo, 0, v1
	v_and_b32_e32 v1, 16, v44
	s_and_b32 s18, vcc_lo, s16
	s_and_saveexec_b32 s16, s18
	s_cbranch_execz .LBB6_3286
; %bb.3285:                             ;   in Loop: Header=BB6_3207 Depth=2
	v_mov_b32_e32 v1, 1
	s_waitcnt vmcnt(0) lgkmcnt(0)
	s_waitcnt_vscnt null, 0x0
	buffer_gl1_inv
	buffer_gl0_inv
.LBB6_3286:                             ;   in Loop: Header=BB6_3207 Depth=2
	s_or_b32 exec_lo, exec_lo, s16
	s_andn2_saveexec_b32 s16, s17
	s_cbranch_execnz .LBB6_9393
; %bb.9411:                             ;   in Loop: Header=BB6_3207 Depth=2
	s_getpc_b64 s[34:35]
.Lpost_getpc19:
	s_add_u32 s34, s34, (.LBB6_8804-.Lpost_getpc19)&4294967295
	s_addc_u32 s35, s35, (.LBB6_8804-.Lpost_getpc19)>>32
	s_setpc_b64 s[34:35]
.LBB6_9393:                             ;   in Loop: Header=BB6_3207 Depth=2
	s_getpc_b64 s[34:35]
.Lpost_getpc10:
	s_add_u32 s34, s34, (.LBB6_8786-.Lpost_getpc10)&4294967295
	s_addc_u32 s35, s35, (.LBB6_8786-.Lpost_getpc10)>>32
	s_setpc_b64 s[34:35]
.LBB6_3287:                             ;   in Loop: Header=BB6_3207 Depth=2
	v_mov_b32_e32 v4, v95
	s_mov_b32 s17, exec_lo
	v_ashrrev_i32_e32 v1, 31, v4
	v_lshrrev_b32_e32 v1, 21, v1
	v_add_nc_u32_e32 v1, v4, v1
	v_ashrrev_i32_e32 v109, 11, v1
	v_sub_nc_u32_e32 v121, v109, v89
	v_cmpx_lt_i32_e32 0, v121
	s_cbranch_execz .LBB6_4827
; %bb.3288:                             ;   in Loop: Header=BB6_3207 Depth=2
	s_trap 2
	ds_read_b64 v[4:5], v0
	s_clause 0x2
	buffer_load_dword v1, off, s[0:3], s33 offset:224
	buffer_load_dword v8, off, s[0:3], s33 offset:232
	;; [unrolled: 1-line block ×3, first 2 shown]
	s_mov_b32 s18, 0
	s_waitcnt vmcnt(1)
	v_add_co_u32 v116, vcc_lo, v8, v1
	buffer_load_dword v8, off, s[0:3], s33 offset:228 ; 4-byte Folded Reload
	s_waitcnt vmcnt(0)
	v_add_co_ci_u32_e64 v117, null, v9, v8, vcc_lo
	v_add_co_u32 v118, vcc_lo, v114, v1
	v_add_co_ci_u32_e64 v119, null, v115, v8, vcc_lo
	v_add_co_u32 v40, vcc_lo, v101, v1
	v_add_co_ci_u32_e64 v41, null, v102, v8, vcc_lo
	s_waitcnt lgkmcnt(0)
	v_add_co_u32 v42, vcc_lo, v4, v1
	v_add_co_ci_u32_e64 v43, null, v5, v8, vcc_lo
	s_branch .LBB6_3292
.LBB6_3289:                             ;   in Loop: Header=BB6_3292 Depth=3
	s_or_b32 exec_lo, exec_lo, s16
	v_lshrrev_b32_e32 v15, 21, v87
	v_min_i32_e32 v86, 31, v90
	v_cmp_gt_i32_e32 vcc_lo, 32, v90
	v_and_b32_sdwa v11, v11, v60 dst_sel:DWORD dst_unused:UNUSED_PAD src0_sel:BYTE_3 src1_sel:DWORD
	v_lshlrev_b32_e32 v86, 2, v86
	v_cndmask_b32_e32 v15, 3, v15, vcc_lo
	v_and_b32_e32 v86, 0xfc, v86
	v_or_b32_e32 v87, v90, v15
	v_and_b32_e32 v15, 3, v15
	v_cmp_ne_u32_e32 vcc_lo, 0, v87
	v_or3_b32 v11, v11, v86, v15
	v_lshlrev_b32_e32 v11, 8, v11
	v_cndmask_b32_e32 v15, 0, v11, vcc_lo
.LBB6_3290:                             ;   in Loop: Header=BB6_3292 Depth=3
	s_or_b32 exec_lo, exec_lo, s22
.LBB6_3291:                             ;   in Loop: Header=BB6_3292 Depth=3
	s_or_b32 exec_lo, exec_lo, s19
	v_or_b32_sdwa v11, v17, v110 dst_sel:WORD_1 dst_unused:UNUSED_PAD src0_sel:DWORD src1_sel:DWORD
	v_add_co_u32 v40, vcc_lo, v40, v77
	v_add_co_ci_u32_e64 v41, null, 0, v41, vcc_lo
	v_or3_b32 v17, v1, v20, v11
	v_or_b32_sdwa v1, v16, v31 dst_sel:WORD_1 dst_unused:UNUSED_PAD src0_sel:DWORD src1_sel:DWORD
	v_add_co_u32 v42, vcc_lo, v42, v77
	v_sub_nc_u32_e32 v121, v121, v47
	v_add_co_ci_u32_e64 v43, null, 0, v43, vcc_lo
	v_or3_b32 v16, v122, v35, v1
	v_or_b32_sdwa v1, v18, v91 dst_sel:WORD_1 dst_unused:UNUSED_PAD src0_sel:DWORD src1_sel:DWORD
	v_or3_b32 v18, v111, v21, v1
	v_or_b32_sdwa v1, v19, v120 dst_sel:WORD_1 dst_unused:UNUSED_PAD src0_sel:DWORD src1_sel:DWORD
	;; [unrolled: 2-line block ×14, first 2 shown]
	v_or3_b32 v11, v112, v14, v1
	global_store_dwordx4 v[116:117], v[28:31], off glc slc
	global_store_dwordx4 v[116:117], v[24:27], off offset:512 glc slc
	global_store_dwordx4 v[116:117], v[16:19], off offset:1024 glc slc
	;; [unrolled: 1-line block ×3, first 2 shown]
	global_store_dwordx4 v[118:119], v[28:31], off glc slc
	global_store_dwordx4 v[118:119], v[24:27], off offset:512 glc slc
	global_store_dwordx4 v[118:119], v[16:19], off offset:1024 glc slc
	;; [unrolled: 1-line block ×3, first 2 shown]
	v_add_co_u32 v116, vcc_lo, v116, v77
	v_add_co_ci_u32_e64 v117, null, 0, v117, vcc_lo
	v_add_co_u32 v118, vcc_lo, v118, v77
	v_add_co_ci_u32_e64 v119, null, 0, v119, vcc_lo
	v_cmp_gt_i32_e32 vcc_lo, 1, v121
	s_or_b32 s18, vcc_lo, s18
	s_andn2_b32 exec_lo, exec_lo, s18
	s_cbranch_execz .LBB6_4826
.LBB6_3292:                             ;   Parent Loop BB6_47 Depth=1
                                        ;     Parent Loop BB6_3207 Depth=2
                                        ; =>    This Inner Loop Header: Depth=3
	s_clause 0x3
	global_load_dwordx4 v[48:51], v[40:41], off slc
	global_load_dwordx4 v[32:35], v[40:41], off offset:512 slc
	global_load_dwordx4 v[20:23], v[40:41], off offset:1024 slc
	;; [unrolled: 1-line block ×3, first 2 shown]
	s_clause 0x3
	global_load_dwordx4 v[36:39], v[42:43], off slc
	global_load_dwordx4 v[24:27], v[42:43], off offset:512 slc
	global_load_dwordx4 v[16:19], v[42:43], off offset:1024 slc
	;; [unrolled: 1-line block ×3, first 2 shown]
	s_mov_b32 s19, 0
	s_waitcnt vmcnt(7)
	v_cmp_gt_i16_sdwa s16, v48, v59 src0_sel:BYTE_0 src1_sel:DWORD
	s_and_saveexec_b32 s22, s16
	s_xor_b32 s16, exec_lo, s22
	s_cbranch_execz .LBB6_4570
; %bb.3293:                             ;   in Loop: Header=BB6_3292 Depth=3
	v_cmp_eq_u16_sdwa s23, v48, v60 src0_sel:BYTE_0 src1_sel:DWORD
	s_mov_b32 s19, -1
	s_and_saveexec_b32 s22, s23
; %bb.3294:                             ;   in Loop: Header=BB6_3292 Depth=3
	s_xor_b32 s19, exec_lo, -1
; %bb.3295:                             ;   in Loop: Header=BB6_3292 Depth=3
	s_or_b32 exec_lo, exec_lo, s22
	s_and_b32 s19, s19, exec_lo
	s_or_saveexec_b32 s16, s16
	v_mov_b32_e32 v1, 0x7f800001
	s_xor_b32 exec_lo, exec_lo, s16
	s_cbranch_execnz .LBB6_4571
.LBB6_3296:                             ;   in Loop: Header=BB6_3292 Depth=3
	s_or_b32 exec_lo, exec_lo, s16
	s_and_saveexec_b32 s16, s19
	s_cbranch_execz .LBB6_3298
.LBB6_3297:                             ;   in Loop: Header=BB6_3292 Depth=3
	v_and_b32_e32 v1, 3, v48
	v_bfe_u32 v4, v48, 2, 5
	v_ffbh_u32_e32 v5, v1
	v_cmp_eq_u32_e32 vcc_lo, 0, v4
	v_min_u32_e32 v5, 32, v5
	v_subrev_nc_u32_e32 v28, 29, v5
	v_sub_nc_u32_e32 v5, 30, v5
	v_lshlrev_b32_e32 v28, v28, v48
	v_cndmask_b32_e32 v4, v4, v5, vcc_lo
	v_lshlrev_b32_e32 v5, 24, v48
	v_and_b32_e32 v28, 3, v28
	v_lshl_add_u32 v4, v4, 23, 0x37800000
	v_and_b32_e32 v5, 0x80000000, v5
	v_cndmask_b32_e32 v1, v1, v28, vcc_lo
	v_lshlrev_b32_e32 v1, 21, v1
	v_or3_b32 v1, v5, v4, v1
.LBB6_3298:                             ;   in Loop: Header=BB6_3292 Depth=3
	s_or_b32 exec_lo, exec_lo, s16
	s_waitcnt vmcnt(3)
	v_cmp_gt_i16_sdwa s16, v36, v59 src0_sel:BYTE_0 src1_sel:DWORD
	s_mov_b32 s19, 0
	s_and_saveexec_b32 s22, s16
	s_xor_b32 s16, exec_lo, s22
	s_cbranch_execz .LBB6_4572
; %bb.3299:                             ;   in Loop: Header=BB6_3292 Depth=3
	v_cmp_eq_u16_sdwa s23, v36, v60 src0_sel:BYTE_0 src1_sel:DWORD
	s_mov_b32 s19, -1
	s_and_saveexec_b32 s22, s23
; %bb.3300:                             ;   in Loop: Header=BB6_3292 Depth=3
	s_xor_b32 s19, exec_lo, -1
; %bb.3301:                             ;   in Loop: Header=BB6_3292 Depth=3
	s_or_b32 exec_lo, exec_lo, s22
	s_and_b32 s19, s19, exec_lo
	s_or_saveexec_b32 s16, s16
	v_mov_b32_e32 v4, 0x7f800001
	s_xor_b32 exec_lo, exec_lo, s16
	s_cbranch_execnz .LBB6_4573
.LBB6_3302:                             ;   in Loop: Header=BB6_3292 Depth=3
	s_or_b32 exec_lo, exec_lo, s16
	s_and_saveexec_b32 s16, s19
	s_cbranch_execz .LBB6_3304
.LBB6_3303:                             ;   in Loop: Header=BB6_3292 Depth=3
	v_and_b32_e32 v4, 3, v36
	v_bfe_u32 v5, v36, 2, 5
	v_ffbh_u32_e32 v28, v4
	v_cmp_eq_u32_e32 vcc_lo, 0, v5
	v_min_u32_e32 v28, 32, v28
	v_subrev_nc_u32_e32 v29, 29, v28
	v_sub_nc_u32_e32 v28, 30, v28
	v_lshlrev_b32_e32 v29, v29, v36
	v_cndmask_b32_e32 v5, v5, v28, vcc_lo
	v_lshlrev_b32_e32 v28, 24, v36
	v_and_b32_e32 v29, 3, v29
	v_lshl_add_u32 v5, v5, 23, 0x37800000
	v_and_b32_e32 v28, 0x80000000, v28
	v_cndmask_b32_e32 v4, v4, v29, vcc_lo
	v_lshlrev_b32_e32 v4, 21, v4
	v_or3_b32 v4, v28, v5, v4
.LBB6_3304:                             ;   in Loop: Header=BB6_3292 Depth=3
	s_or_b32 exec_lo, exec_lo, s16
	v_mul_f32_e32 v1, v1, v4
	v_mov_b32_e32 v123, 0x80
	s_mov_b32 s19, exec_lo
	v_and_b32_e32 v4, 0x7f800000, v1
	v_cmpx_ne_u32_e32 0x7f800000, v4
	s_cbranch_execz .LBB6_3312
; %bb.3305:                             ;   in Loop: Header=BB6_3292 Depth=3
	v_mov_b32_e32 v123, 0
	s_mov_b32 s22, exec_lo
	v_cmpx_ne_u32_e32 0, v1
	s_cbranch_execz .LBB6_3311
; %bb.3306:                             ;   in Loop: Header=BB6_3292 Depth=3
	v_bfe_u32 v5, v1, 23, 8
	v_and_b32_e32 v4, 0x7fffff, v1
	v_cmp_gt_u32_e64 s16, 0x71, v5
	v_sub_nc_u32_e32 v28, 0x70, v5
	v_cmp_eq_u32_e32 vcc_lo, 0, v5
	v_or_b32_e32 v29, 0x800000, v4
	v_cndmask_b32_e64 v28, 0, v28, s16
	v_cndmask_b32_e32 v4, v29, v4, vcc_lo
	v_cndmask_b32_e64 v28, v28, 0x6f, vcc_lo
	v_lshl_add_u32 v29, 0x200000, v28, -1
	v_lshlrev_b32_e64 v30, v28, 0x100000
	v_and_b32_e32 v29, v29, v4
	v_cmp_eq_u32_e64 s16, v29, v30
	v_lshrrev_b32_e32 v29, v28, v4
	v_add_nc_u32_e32 v4, 0xffffff91, v5
	v_lshrrev_b32_e32 v5, 23, v29
	v_cndmask_b32_e64 v4, v4, 0xffffff92, vcc_lo
	v_xor_b32_e32 v5, 1, v5
	v_add_nc_u32_e32 v4, v28, v4
	v_bfe_u32 v28, v29, 21, 1
	v_add_nc_u32_e32 v28, -1, v28
	v_cndmask_b32_e64 v28, 0, v28, s16
	s_mov_b32 s16, exec_lo
	v_add_nc_u32_e32 v28, v28, v29
	v_and_b32_e32 v28, 0x1fffff, v28
	v_add_nc_u32_e32 v28, v28, v29
                                        ; implicit-def: $vgpr29
	v_cmpx_ne_u32_e64 v4, v5
	s_xor_b32 s16, exec_lo, s16
; %bb.3307:                             ;   in Loop: Header=BB6_3292 Depth=3
	v_cmp_lt_u32_e32 vcc_lo, 0xffffff, v28
	v_sub_nc_u32_e32 v4, v4, v5
	v_cndmask_b32_e64 v5, 0, 1, vcc_lo
	v_add_co_ci_u32_e64 v29, null, 0, v4, vcc_lo
	v_lshrrev_b32_e32 v28, v5, v28
; %bb.3308:                             ;   in Loop: Header=BB6_3292 Depth=3
	s_andn2_saveexec_b32 s16, s16
; %bb.3309:                             ;   in Loop: Header=BB6_3292 Depth=3
	v_bfe_u32 v29, v28, 23, 1
; %bb.3310:                             ;   in Loop: Header=BB6_3292 Depth=3
	s_or_b32 exec_lo, exec_lo, s16
	v_lshrrev_b32_e32 v4, 21, v28
	v_min_i32_e32 v5, 31, v29
	v_cmp_gt_i32_e32 vcc_lo, 32, v29
	v_and_b32_sdwa v1, v1, v60 dst_sel:DWORD dst_unused:UNUSED_PAD src0_sel:BYTE_3 src1_sel:DWORD
	v_lshlrev_b32_e32 v5, 2, v5
	v_cndmask_b32_e32 v4, 3, v4, vcc_lo
	v_and_b32_e32 v5, 0xfc, v5
	v_or_b32_e32 v28, v29, v4
	v_and_b32_e32 v4, 3, v4
	v_cmp_ne_u32_e32 vcc_lo, 0, v28
	v_or3_b32 v1, v5, v1, v4
	v_cndmask_b32_e32 v123, 0, v1, vcc_lo
.LBB6_3311:                             ;   in Loop: Header=BB6_3292 Depth=3
	s_or_b32 exec_lo, exec_lo, s22
.LBB6_3312:                             ;   in Loop: Header=BB6_3292 Depth=3
	s_or_b32 exec_lo, exec_lo, s19
	v_cmp_gt_i16_sdwa s16, v48, v59 src0_sel:BYTE_1 src1_sel:DWORD
	s_mov_b32 s19, 0
	s_and_saveexec_b32 s22, s16
	s_xor_b32 s16, exec_lo, s22
	s_cbranch_execz .LBB6_4574
; %bb.3313:                             ;   in Loop: Header=BB6_3292 Depth=3
	v_cmp_eq_u16_sdwa s23, v48, v60 src0_sel:BYTE_1 src1_sel:DWORD
	s_mov_b32 s19, -1
	s_and_saveexec_b32 s22, s23
; %bb.3314:                             ;   in Loop: Header=BB6_3292 Depth=3
	s_xor_b32 s19, exec_lo, -1
; %bb.3315:                             ;   in Loop: Header=BB6_3292 Depth=3
	s_or_b32 exec_lo, exec_lo, s22
	s_and_b32 s19, s19, exec_lo
	s_or_saveexec_b32 s16, s16
	v_mov_b32_e32 v1, 0x7f800001
	s_xor_b32 exec_lo, exec_lo, s16
	s_cbranch_execnz .LBB6_4575
.LBB6_3316:                             ;   in Loop: Header=BB6_3292 Depth=3
	s_or_b32 exec_lo, exec_lo, s16
	s_and_saveexec_b32 s16, s19
	s_cbranch_execz .LBB6_3318
.LBB6_3317:                             ;   in Loop: Header=BB6_3292 Depth=3
	v_and_b32_sdwa v1, v61, v48 dst_sel:DWORD dst_unused:UNUSED_PAD src0_sel:DWORD src1_sel:BYTE_1
	v_and_b32_e32 v4, 3, v1
	v_bfe_u32 v29, v1, 2, 5
	v_ffbh_u32_e32 v5, v4
	v_cmp_eq_u32_e32 vcc_lo, 0, v29
	v_min_u32_e32 v5, 32, v5
	v_subrev_nc_u32_e32 v28, 29, v5
	v_sub_nc_u32_e32 v5, 30, v5
	v_lshlrev_b32_e32 v1, v28, v1
	v_lshlrev_b32_sdwa v28, v62, v48 dst_sel:DWORD dst_unused:UNUSED_PAD src0_sel:DWORD src1_sel:BYTE_1
	v_cndmask_b32_e32 v5, v29, v5, vcc_lo
	v_and_b32_e32 v1, 3, v1
	v_lshl_add_u32 v5, v5, 23, 0x37800000
	v_cndmask_b32_e32 v1, v4, v1, vcc_lo
	v_and_b32_e32 v4, 0x80000000, v28
	v_lshlrev_b32_e32 v1, 21, v1
	v_or3_b32 v1, v4, v5, v1
.LBB6_3318:                             ;   in Loop: Header=BB6_3292 Depth=3
	s_or_b32 exec_lo, exec_lo, s16
	v_cmp_gt_i16_sdwa s16, v36, v59 src0_sel:BYTE_1 src1_sel:DWORD
	s_mov_b32 s19, 0
	s_and_saveexec_b32 s22, s16
	s_xor_b32 s16, exec_lo, s22
	s_cbranch_execz .LBB6_4576
; %bb.3319:                             ;   in Loop: Header=BB6_3292 Depth=3
	v_cmp_eq_u16_sdwa s23, v36, v60 src0_sel:BYTE_1 src1_sel:DWORD
	s_mov_b32 s19, -1
	s_and_saveexec_b32 s22, s23
; %bb.3320:                             ;   in Loop: Header=BB6_3292 Depth=3
	s_xor_b32 s19, exec_lo, -1
; %bb.3321:                             ;   in Loop: Header=BB6_3292 Depth=3
	s_or_b32 exec_lo, exec_lo, s22
	s_and_b32 s19, s19, exec_lo
	s_or_saveexec_b32 s16, s16
	v_mov_b32_e32 v4, 0x7f800001
	s_xor_b32 exec_lo, exec_lo, s16
	s_cbranch_execnz .LBB6_4577
.LBB6_3322:                             ;   in Loop: Header=BB6_3292 Depth=3
	s_or_b32 exec_lo, exec_lo, s16
	s_and_saveexec_b32 s16, s19
	s_cbranch_execz .LBB6_3324
.LBB6_3323:                             ;   in Loop: Header=BB6_3292 Depth=3
	v_and_b32_sdwa v4, v61, v36 dst_sel:DWORD dst_unused:UNUSED_PAD src0_sel:DWORD src1_sel:BYTE_1
	v_and_b32_e32 v5, 3, v4
	v_bfe_u32 v30, v4, 2, 5
	v_ffbh_u32_e32 v28, v5
	v_cmp_eq_u32_e32 vcc_lo, 0, v30
	v_min_u32_e32 v28, 32, v28
	v_subrev_nc_u32_e32 v29, 29, v28
	v_sub_nc_u32_e32 v28, 30, v28
	v_lshlrev_b32_e32 v4, v29, v4
	v_lshlrev_b32_sdwa v29, v62, v36 dst_sel:DWORD dst_unused:UNUSED_PAD src0_sel:DWORD src1_sel:BYTE_1
	v_cndmask_b32_e32 v28, v30, v28, vcc_lo
	v_and_b32_e32 v4, 3, v4
	v_lshl_add_u32 v28, v28, 23, 0x37800000
	v_cndmask_b32_e32 v4, v5, v4, vcc_lo
	v_and_b32_e32 v5, 0x80000000, v29
	v_lshlrev_b32_e32 v4, 21, v4
	v_or3_b32 v4, v5, v28, v4
.LBB6_3324:                             ;   in Loop: Header=BB6_3292 Depth=3
	s_or_b32 exec_lo, exec_lo, s16
	v_mul_f32_e32 v1, v1, v4
	v_mov_b32_e32 v124, 0x8000
	s_mov_b32 s19, exec_lo
	v_and_b32_e32 v4, 0x7f800000, v1
	v_cmpx_ne_u32_e32 0x7f800000, v4
	s_cbranch_execz .LBB6_3332
; %bb.3325:                             ;   in Loop: Header=BB6_3292 Depth=3
	v_mov_b32_e32 v124, 0
	s_mov_b32 s22, exec_lo
	v_cmpx_ne_u32_e32 0, v1
	s_cbranch_execz .LBB6_3331
; %bb.3326:                             ;   in Loop: Header=BB6_3292 Depth=3
	v_bfe_u32 v5, v1, 23, 8
	v_and_b32_e32 v4, 0x7fffff, v1
	v_cmp_gt_u32_e64 s16, 0x71, v5
	v_sub_nc_u32_e32 v28, 0x70, v5
	v_cmp_eq_u32_e32 vcc_lo, 0, v5
	v_or_b32_e32 v29, 0x800000, v4
	v_cndmask_b32_e64 v28, 0, v28, s16
	v_cndmask_b32_e32 v4, v29, v4, vcc_lo
	v_cndmask_b32_e64 v28, v28, 0x6f, vcc_lo
	v_lshl_add_u32 v29, 0x200000, v28, -1
	v_lshlrev_b32_e64 v30, v28, 0x100000
	v_and_b32_e32 v29, v29, v4
	v_cmp_eq_u32_e64 s16, v29, v30
	v_lshrrev_b32_e32 v29, v28, v4
	v_add_nc_u32_e32 v4, 0xffffff91, v5
	v_lshrrev_b32_e32 v5, 23, v29
	v_cndmask_b32_e64 v4, v4, 0xffffff92, vcc_lo
	v_xor_b32_e32 v5, 1, v5
	v_add_nc_u32_e32 v4, v28, v4
	v_bfe_u32 v28, v29, 21, 1
	v_add_nc_u32_e32 v28, -1, v28
	v_cndmask_b32_e64 v28, 0, v28, s16
	s_mov_b32 s16, exec_lo
	v_add_nc_u32_e32 v28, v28, v29
	v_and_b32_e32 v28, 0x1fffff, v28
	v_add_nc_u32_e32 v28, v28, v29
                                        ; implicit-def: $vgpr29
	v_cmpx_ne_u32_e64 v4, v5
	s_xor_b32 s16, exec_lo, s16
; %bb.3327:                             ;   in Loop: Header=BB6_3292 Depth=3
	v_cmp_lt_u32_e32 vcc_lo, 0xffffff, v28
	v_sub_nc_u32_e32 v4, v4, v5
	v_cndmask_b32_e64 v5, 0, 1, vcc_lo
	v_add_co_ci_u32_e64 v29, null, 0, v4, vcc_lo
	v_lshrrev_b32_e32 v28, v5, v28
; %bb.3328:                             ;   in Loop: Header=BB6_3292 Depth=3
	s_andn2_saveexec_b32 s16, s16
; %bb.3329:                             ;   in Loop: Header=BB6_3292 Depth=3
	v_bfe_u32 v29, v28, 23, 1
; %bb.3330:                             ;   in Loop: Header=BB6_3292 Depth=3
	s_or_b32 exec_lo, exec_lo, s16
	v_lshrrev_b32_e32 v4, 21, v28
	v_min_i32_e32 v5, 31, v29
	v_cmp_gt_i32_e32 vcc_lo, 32, v29
	v_and_b32_sdwa v1, v1, v60 dst_sel:DWORD dst_unused:UNUSED_PAD src0_sel:BYTE_3 src1_sel:DWORD
	v_lshlrev_b32_e32 v5, 2, v5
	v_cndmask_b32_e32 v4, 3, v4, vcc_lo
	v_and_b32_e32 v5, 0xfc, v5
	v_or_b32_e32 v28, v29, v4
	v_and_b32_e32 v4, 3, v4
	v_cmp_ne_u32_e32 vcc_lo, 0, v28
	v_or3_b32 v1, v1, v5, v4
	v_lshlrev_b32_e32 v1, 8, v1
	v_cndmask_b32_e32 v124, 0, v1, vcc_lo
.LBB6_3331:                             ;   in Loop: Header=BB6_3292 Depth=3
	s_or_b32 exec_lo, exec_lo, s22
.LBB6_3332:                             ;   in Loop: Header=BB6_3292 Depth=3
	s_or_b32 exec_lo, exec_lo, s19
	v_and_b32_sdwa v4, v48, v63 dst_sel:DWORD dst_unused:UNUSED_PAD src0_sel:WORD_1 src1_sel:DWORD
	s_mov_b32 s19, 0
	s_mov_b32 s16, exec_lo
	v_cmpx_lt_i16_e32 0x7f, v4
	s_xor_b32 s16, exec_lo, s16
	s_cbranch_execz .LBB6_4578
; %bb.3333:                             ;   in Loop: Header=BB6_3292 Depth=3
	s_mov_b32 s19, -1
	s_mov_b32 s22, exec_lo
	v_cmpx_eq_u16_e32 0x80, v4
; %bb.3334:                             ;   in Loop: Header=BB6_3292 Depth=3
	s_xor_b32 s19, exec_lo, -1
; %bb.3335:                             ;   in Loop: Header=BB6_3292 Depth=3
	s_or_b32 exec_lo, exec_lo, s22
	s_and_b32 s19, s19, exec_lo
                                        ; implicit-def: $vgpr4
	s_or_saveexec_b32 s16, s16
	v_mov_b32_e32 v1, 0x7f800001
	s_xor_b32 exec_lo, exec_lo, s16
	s_cbranch_execnz .LBB6_4579
.LBB6_3336:                             ;   in Loop: Header=BB6_3292 Depth=3
	s_or_b32 exec_lo, exec_lo, s16
	s_and_saveexec_b32 s16, s19
	s_cbranch_execz .LBB6_3338
.LBB6_3337:                             ;   in Loop: Header=BB6_3292 Depth=3
	v_bfe_u32 v1, v48, 16, 2
	v_bfe_u32 v4, v48, 18, 5
	v_ffbh_u32_e32 v5, v1
	v_cmp_eq_u32_e32 vcc_lo, 0, v4
	v_min_u32_e32 v5, 32, v5
	v_subrev_nc_u32_e32 v28, 29, v5
	v_sub_nc_u32_e32 v5, 30, v5
	v_lshlrev_b32_sdwa v28, v28, v48 dst_sel:DWORD dst_unused:UNUSED_PAD src0_sel:DWORD src1_sel:WORD_1
	v_cndmask_b32_e32 v4, v4, v5, vcc_lo
	v_lshlrev_b32_e32 v5, 8, v48
	v_and_b32_e32 v28, 3, v28
	v_lshl_add_u32 v4, v4, 23, 0x37800000
	v_and_b32_e32 v5, 0x80000000, v5
	v_cndmask_b32_e32 v1, v1, v28, vcc_lo
	v_lshlrev_b32_e32 v1, 21, v1
	v_or3_b32 v1, v5, v4, v1
.LBB6_3338:                             ;   in Loop: Header=BB6_3292 Depth=3
	s_or_b32 exec_lo, exec_lo, s16
	v_and_b32_sdwa v5, v36, v63 dst_sel:DWORD dst_unused:UNUSED_PAD src0_sel:WORD_1 src1_sel:DWORD
	s_mov_b32 s19, 0
	s_mov_b32 s16, exec_lo
	v_cmpx_lt_i16_e32 0x7f, v5
	s_xor_b32 s16, exec_lo, s16
	s_cbranch_execz .LBB6_4580
; %bb.3339:                             ;   in Loop: Header=BB6_3292 Depth=3
	s_mov_b32 s19, -1
	s_mov_b32 s22, exec_lo
	v_cmpx_eq_u16_e32 0x80, v5
; %bb.3340:                             ;   in Loop: Header=BB6_3292 Depth=3
	s_xor_b32 s19, exec_lo, -1
; %bb.3341:                             ;   in Loop: Header=BB6_3292 Depth=3
	s_or_b32 exec_lo, exec_lo, s22
	s_and_b32 s19, s19, exec_lo
                                        ; implicit-def: $vgpr5
	s_or_saveexec_b32 s16, s16
	v_mov_b32_e32 v4, 0x7f800001
	s_xor_b32 exec_lo, exec_lo, s16
	s_cbranch_execnz .LBB6_4581
.LBB6_3342:                             ;   in Loop: Header=BB6_3292 Depth=3
	s_or_b32 exec_lo, exec_lo, s16
	s_and_saveexec_b32 s16, s19
	s_cbranch_execz .LBB6_3344
.LBB6_3343:                             ;   in Loop: Header=BB6_3292 Depth=3
	v_bfe_u32 v4, v36, 16, 2
	v_bfe_u32 v5, v36, 18, 5
	v_ffbh_u32_e32 v28, v4
	v_cmp_eq_u32_e32 vcc_lo, 0, v5
	v_min_u32_e32 v28, 32, v28
	v_subrev_nc_u32_e32 v29, 29, v28
	v_sub_nc_u32_e32 v28, 30, v28
	v_lshlrev_b32_sdwa v29, v29, v36 dst_sel:DWORD dst_unused:UNUSED_PAD src0_sel:DWORD src1_sel:WORD_1
	v_cndmask_b32_e32 v5, v5, v28, vcc_lo
	v_lshlrev_b32_e32 v28, 8, v36
	v_and_b32_e32 v29, 3, v29
	v_lshl_add_u32 v5, v5, 23, 0x37800000
	v_and_b32_e32 v28, 0x80000000, v28
	v_cndmask_b32_e32 v4, v4, v29, vcc_lo
	v_lshlrev_b32_e32 v4, 21, v4
	v_or3_b32 v4, v28, v5, v4
.LBB6_3344:                             ;   in Loop: Header=BB6_3292 Depth=3
	s_or_b32 exec_lo, exec_lo, s16
	v_mul_f32_e32 v1, v1, v4
	v_mov_b32_e32 v125, 0x80
	s_mov_b32 s19, exec_lo
	v_and_b32_e32 v4, 0x7f800000, v1
	v_cmpx_ne_u32_e32 0x7f800000, v4
	s_cbranch_execz .LBB6_3352
; %bb.3345:                             ;   in Loop: Header=BB6_3292 Depth=3
	v_mov_b32_e32 v125, 0
	s_mov_b32 s22, exec_lo
	v_cmpx_ne_u32_e32 0, v1
	s_cbranch_execz .LBB6_3351
; %bb.3346:                             ;   in Loop: Header=BB6_3292 Depth=3
	v_bfe_u32 v5, v1, 23, 8
	v_and_b32_e32 v4, 0x7fffff, v1
	v_cmp_gt_u32_e64 s16, 0x71, v5
	v_sub_nc_u32_e32 v28, 0x70, v5
	v_cmp_eq_u32_e32 vcc_lo, 0, v5
	v_or_b32_e32 v29, 0x800000, v4
	v_cndmask_b32_e64 v28, 0, v28, s16
	v_cndmask_b32_e32 v4, v29, v4, vcc_lo
	v_cndmask_b32_e64 v28, v28, 0x6f, vcc_lo
	v_lshl_add_u32 v29, 0x200000, v28, -1
	v_lshlrev_b32_e64 v30, v28, 0x100000
	v_and_b32_e32 v29, v29, v4
	v_cmp_eq_u32_e64 s16, v29, v30
	v_lshrrev_b32_e32 v29, v28, v4
	v_add_nc_u32_e32 v4, 0xffffff91, v5
	v_lshrrev_b32_e32 v5, 23, v29
	v_cndmask_b32_e64 v4, v4, 0xffffff92, vcc_lo
	v_xor_b32_e32 v5, 1, v5
	v_add_nc_u32_e32 v4, v28, v4
	v_bfe_u32 v28, v29, 21, 1
	v_add_nc_u32_e32 v28, -1, v28
	v_cndmask_b32_e64 v28, 0, v28, s16
	s_mov_b32 s16, exec_lo
	v_add_nc_u32_e32 v28, v28, v29
	v_and_b32_e32 v28, 0x1fffff, v28
	v_add_nc_u32_e32 v28, v28, v29
                                        ; implicit-def: $vgpr29
	v_cmpx_ne_u32_e64 v4, v5
	s_xor_b32 s16, exec_lo, s16
; %bb.3347:                             ;   in Loop: Header=BB6_3292 Depth=3
	v_cmp_lt_u32_e32 vcc_lo, 0xffffff, v28
	v_sub_nc_u32_e32 v4, v4, v5
	v_cndmask_b32_e64 v5, 0, 1, vcc_lo
	v_add_co_ci_u32_e64 v29, null, 0, v4, vcc_lo
	v_lshrrev_b32_e32 v28, v5, v28
; %bb.3348:                             ;   in Loop: Header=BB6_3292 Depth=3
	s_andn2_saveexec_b32 s16, s16
; %bb.3349:                             ;   in Loop: Header=BB6_3292 Depth=3
	v_bfe_u32 v29, v28, 23, 1
; %bb.3350:                             ;   in Loop: Header=BB6_3292 Depth=3
	s_or_b32 exec_lo, exec_lo, s16
	v_lshrrev_b32_e32 v4, 21, v28
	v_min_i32_e32 v5, 31, v29
	v_cmp_gt_i32_e32 vcc_lo, 32, v29
	v_and_b32_sdwa v1, v1, v60 dst_sel:DWORD dst_unused:UNUSED_PAD src0_sel:BYTE_3 src1_sel:DWORD
	v_lshlrev_b32_e32 v5, 2, v5
	v_cndmask_b32_e32 v4, 3, v4, vcc_lo
	v_and_b32_e32 v5, 0xfc, v5
	v_or_b32_e32 v28, v29, v4
	v_and_b32_e32 v4, 3, v4
	v_cmp_ne_u32_e32 vcc_lo, 0, v28
	v_or3_b32 v1, v5, v1, v4
	v_cndmask_b32_e32 v125, 0, v1, vcc_lo
.LBB6_3351:                             ;   in Loop: Header=BB6_3292 Depth=3
	s_or_b32 exec_lo, exec_lo, s22
.LBB6_3352:                             ;   in Loop: Header=BB6_3292 Depth=3
	s_or_b32 exec_lo, exec_lo, s19
	v_cmp_gt_i16_sdwa s16, v48, v59 src0_sel:BYTE_3 src1_sel:DWORD
	s_mov_b32 s19, 0
	s_and_saveexec_b32 s22, s16
	s_xor_b32 s16, exec_lo, s22
	s_cbranch_execz .LBB6_4582
; %bb.3353:                             ;   in Loop: Header=BB6_3292 Depth=3
	v_cmp_eq_u16_sdwa s23, v48, v60 src0_sel:BYTE_3 src1_sel:DWORD
	s_mov_b32 s19, -1
	s_and_saveexec_b32 s22, s23
; %bb.3354:                             ;   in Loop: Header=BB6_3292 Depth=3
	s_xor_b32 s19, exec_lo, -1
; %bb.3355:                             ;   in Loop: Header=BB6_3292 Depth=3
	s_or_b32 exec_lo, exec_lo, s22
	s_and_b32 s19, s19, exec_lo
	s_or_saveexec_b32 s16, s16
	v_mov_b32_e32 v1, 0x7f800001
	s_xor_b32 exec_lo, exec_lo, s16
	s_cbranch_execnz .LBB6_4583
.LBB6_3356:                             ;   in Loop: Header=BB6_3292 Depth=3
	s_or_b32 exec_lo, exec_lo, s16
	s_and_saveexec_b32 s16, s19
	s_cbranch_execz .LBB6_3358
.LBB6_3357:                             ;   in Loop: Header=BB6_3292 Depth=3
	v_bfe_u32 v1, v48, 24, 2
	v_bfe_u32 v28, v48, 26, 5
	v_ffbh_u32_e32 v4, v1
	v_cmp_eq_u32_e32 vcc_lo, 0, v28
	v_min_u32_e32 v4, 32, v4
	v_subrev_nc_u32_e32 v5, 29, v4
	v_sub_nc_u32_e32 v4, 30, v4
	v_lshlrev_b32_sdwa v5, v5, v48 dst_sel:DWORD dst_unused:UNUSED_PAD src0_sel:DWORD src1_sel:BYTE_3
	v_cndmask_b32_e32 v4, v28, v4, vcc_lo
	v_and_b32_e32 v5, 3, v5
	v_lshl_add_u32 v4, v4, 23, 0x37800000
	v_cndmask_b32_e32 v1, v1, v5, vcc_lo
	v_and_b32_e32 v5, 0x80000000, v48
	v_lshlrev_b32_e32 v1, 21, v1
	v_or3_b32 v1, v5, v4, v1
.LBB6_3358:                             ;   in Loop: Header=BB6_3292 Depth=3
	s_or_b32 exec_lo, exec_lo, s16
	v_cmp_gt_i16_sdwa s16, v36, v59 src0_sel:BYTE_3 src1_sel:DWORD
	s_mov_b32 s19, 0
	s_and_saveexec_b32 s22, s16
	s_xor_b32 s16, exec_lo, s22
	s_cbranch_execz .LBB6_4584
; %bb.3359:                             ;   in Loop: Header=BB6_3292 Depth=3
	v_cmp_eq_u16_sdwa s23, v36, v60 src0_sel:BYTE_3 src1_sel:DWORD
	s_mov_b32 s19, -1
	s_and_saveexec_b32 s22, s23
; %bb.3360:                             ;   in Loop: Header=BB6_3292 Depth=3
	s_xor_b32 s19, exec_lo, -1
; %bb.3361:                             ;   in Loop: Header=BB6_3292 Depth=3
	s_or_b32 exec_lo, exec_lo, s22
	s_and_b32 s19, s19, exec_lo
	s_or_saveexec_b32 s16, s16
	v_mov_b32_e32 v4, 0x7f800001
	s_xor_b32 exec_lo, exec_lo, s16
	s_cbranch_execnz .LBB6_4585
.LBB6_3362:                             ;   in Loop: Header=BB6_3292 Depth=3
	s_or_b32 exec_lo, exec_lo, s16
	s_and_saveexec_b32 s16, s19
	s_cbranch_execz .LBB6_3364
.LBB6_3363:                             ;   in Loop: Header=BB6_3292 Depth=3
	v_bfe_u32 v4, v36, 24, 2
	v_bfe_u32 v29, v36, 26, 5
	v_ffbh_u32_e32 v5, v4
	v_cmp_eq_u32_e32 vcc_lo, 0, v29
	v_min_u32_e32 v5, 32, v5
	v_subrev_nc_u32_e32 v28, 29, v5
	v_sub_nc_u32_e32 v5, 30, v5
	v_lshlrev_b32_sdwa v28, v28, v36 dst_sel:DWORD dst_unused:UNUSED_PAD src0_sel:DWORD src1_sel:BYTE_3
	v_cndmask_b32_e32 v5, v29, v5, vcc_lo
	v_and_b32_e32 v28, 3, v28
	v_lshl_add_u32 v5, v5, 23, 0x37800000
	v_cndmask_b32_e32 v4, v4, v28, vcc_lo
	v_and_b32_e32 v28, 0x80000000, v36
	v_lshlrev_b32_e32 v4, 21, v4
	v_or3_b32 v4, v28, v5, v4
.LBB6_3364:                             ;   in Loop: Header=BB6_3292 Depth=3
	s_or_b32 exec_lo, exec_lo, s16
	v_mul_f32_e32 v1, v1, v4
	v_mov_b32_e32 v36, 0x8000
	s_mov_b32 s19, exec_lo
	v_and_b32_e32 v4, 0x7f800000, v1
	v_cmpx_ne_u32_e32 0x7f800000, v4
	s_cbranch_execz .LBB6_3372
; %bb.3365:                             ;   in Loop: Header=BB6_3292 Depth=3
	v_mov_b32_e32 v36, 0
	s_mov_b32 s22, exec_lo
	v_cmpx_ne_u32_e32 0, v1
	s_cbranch_execz .LBB6_3371
; %bb.3366:                             ;   in Loop: Header=BB6_3292 Depth=3
	v_bfe_u32 v5, v1, 23, 8
	v_and_b32_e32 v4, 0x7fffff, v1
	v_cmp_gt_u32_e64 s16, 0x71, v5
	v_sub_nc_u32_e32 v28, 0x70, v5
	v_cmp_eq_u32_e32 vcc_lo, 0, v5
	v_or_b32_e32 v29, 0x800000, v4
	v_cndmask_b32_e64 v28, 0, v28, s16
	v_cndmask_b32_e32 v4, v29, v4, vcc_lo
	v_cndmask_b32_e64 v28, v28, 0x6f, vcc_lo
	v_lshl_add_u32 v29, 0x200000, v28, -1
	v_lshlrev_b32_e64 v30, v28, 0x100000
	v_and_b32_e32 v29, v29, v4
	v_cmp_eq_u32_e64 s16, v29, v30
	v_lshrrev_b32_e32 v29, v28, v4
	v_add_nc_u32_e32 v4, 0xffffff91, v5
	v_lshrrev_b32_e32 v5, 23, v29
	v_cndmask_b32_e64 v4, v4, 0xffffff92, vcc_lo
	v_xor_b32_e32 v5, 1, v5
	v_add_nc_u32_e32 v4, v28, v4
	v_bfe_u32 v28, v29, 21, 1
	v_add_nc_u32_e32 v28, -1, v28
	v_cndmask_b32_e64 v28, 0, v28, s16
	s_mov_b32 s16, exec_lo
	v_add_nc_u32_e32 v28, v28, v29
	v_and_b32_e32 v28, 0x1fffff, v28
	v_add_nc_u32_e32 v28, v28, v29
                                        ; implicit-def: $vgpr29
	v_cmpx_ne_u32_e64 v4, v5
	s_xor_b32 s16, exec_lo, s16
; %bb.3367:                             ;   in Loop: Header=BB6_3292 Depth=3
	v_cmp_lt_u32_e32 vcc_lo, 0xffffff, v28
	v_sub_nc_u32_e32 v4, v4, v5
	v_cndmask_b32_e64 v5, 0, 1, vcc_lo
	v_add_co_ci_u32_e64 v29, null, 0, v4, vcc_lo
	v_lshrrev_b32_e32 v28, v5, v28
; %bb.3368:                             ;   in Loop: Header=BB6_3292 Depth=3
	s_andn2_saveexec_b32 s16, s16
; %bb.3369:                             ;   in Loop: Header=BB6_3292 Depth=3
	v_bfe_u32 v29, v28, 23, 1
; %bb.3370:                             ;   in Loop: Header=BB6_3292 Depth=3
	s_or_b32 exec_lo, exec_lo, s16
	v_lshrrev_b32_e32 v4, 21, v28
	v_min_i32_e32 v5, 31, v29
	v_cmp_gt_i32_e32 vcc_lo, 32, v29
	v_and_b32_sdwa v1, v1, v60 dst_sel:DWORD dst_unused:UNUSED_PAD src0_sel:BYTE_3 src1_sel:DWORD
	v_lshlrev_b32_e32 v5, 2, v5
	v_cndmask_b32_e32 v4, 3, v4, vcc_lo
	v_and_b32_e32 v5, 0xfc, v5
	v_or_b32_e32 v28, v29, v4
	v_and_b32_e32 v4, 3, v4
	v_cmp_ne_u32_e32 vcc_lo, 0, v28
	v_or3_b32 v1, v1, v5, v4
	v_lshlrev_b32_e32 v1, 8, v1
	v_cndmask_b32_e32 v36, 0, v1, vcc_lo
.LBB6_3371:                             ;   in Loop: Header=BB6_3292 Depth=3
	s_or_b32 exec_lo, exec_lo, s22
.LBB6_3372:                             ;   in Loop: Header=BB6_3292 Depth=3
	s_or_b32 exec_lo, exec_lo, s19
	v_cmp_gt_i16_sdwa s16, v49, v59 src0_sel:BYTE_0 src1_sel:DWORD
	s_mov_b32 s19, 0
	s_and_saveexec_b32 s22, s16
	s_xor_b32 s16, exec_lo, s22
	s_cbranch_execz .LBB6_4586
; %bb.3373:                             ;   in Loop: Header=BB6_3292 Depth=3
	v_cmp_eq_u16_sdwa s23, v49, v60 src0_sel:BYTE_0 src1_sel:DWORD
	s_mov_b32 s19, -1
	s_and_saveexec_b32 s22, s23
; %bb.3374:                             ;   in Loop: Header=BB6_3292 Depth=3
	s_xor_b32 s19, exec_lo, -1
; %bb.3375:                             ;   in Loop: Header=BB6_3292 Depth=3
	s_or_b32 exec_lo, exec_lo, s22
	s_and_b32 s19, s19, exec_lo
	s_or_saveexec_b32 s16, s16
	v_mov_b32_e32 v1, 0x7f800001
	s_xor_b32 exec_lo, exec_lo, s16
	s_cbranch_execnz .LBB6_4587
.LBB6_3376:                             ;   in Loop: Header=BB6_3292 Depth=3
	s_or_b32 exec_lo, exec_lo, s16
	s_and_saveexec_b32 s16, s19
	s_cbranch_execz .LBB6_3378
.LBB6_3377:                             ;   in Loop: Header=BB6_3292 Depth=3
	v_and_b32_e32 v1, 3, v49
	v_bfe_u32 v4, v49, 2, 5
	v_ffbh_u32_e32 v5, v1
	v_cmp_eq_u32_e32 vcc_lo, 0, v4
	v_min_u32_e32 v5, 32, v5
	v_subrev_nc_u32_e32 v28, 29, v5
	v_sub_nc_u32_e32 v5, 30, v5
	v_lshlrev_b32_e32 v28, v28, v49
	v_cndmask_b32_e32 v4, v4, v5, vcc_lo
	v_lshlrev_b32_e32 v5, 24, v49
	v_and_b32_e32 v28, 3, v28
	v_lshl_add_u32 v4, v4, 23, 0x37800000
	v_and_b32_e32 v5, 0x80000000, v5
	v_cndmask_b32_e32 v1, v1, v28, vcc_lo
	v_lshlrev_b32_e32 v1, 21, v1
	v_or3_b32 v1, v5, v4, v1
.LBB6_3378:                             ;   in Loop: Header=BB6_3292 Depth=3
	s_or_b32 exec_lo, exec_lo, s16
	v_cmp_gt_i16_sdwa s16, v37, v59 src0_sel:BYTE_0 src1_sel:DWORD
	s_mov_b32 s19, 0
	s_and_saveexec_b32 s22, s16
	s_xor_b32 s16, exec_lo, s22
	s_cbranch_execz .LBB6_4588
; %bb.3379:                             ;   in Loop: Header=BB6_3292 Depth=3
	v_cmp_eq_u16_sdwa s23, v37, v60 src0_sel:BYTE_0 src1_sel:DWORD
	s_mov_b32 s19, -1
	s_and_saveexec_b32 s22, s23
; %bb.3380:                             ;   in Loop: Header=BB6_3292 Depth=3
	s_xor_b32 s19, exec_lo, -1
; %bb.3381:                             ;   in Loop: Header=BB6_3292 Depth=3
	s_or_b32 exec_lo, exec_lo, s22
	s_and_b32 s19, s19, exec_lo
	s_or_saveexec_b32 s16, s16
	v_mov_b32_e32 v4, 0x7f800001
	s_xor_b32 exec_lo, exec_lo, s16
	s_cbranch_execnz .LBB6_4589
.LBB6_3382:                             ;   in Loop: Header=BB6_3292 Depth=3
	s_or_b32 exec_lo, exec_lo, s16
	s_and_saveexec_b32 s16, s19
	s_cbranch_execz .LBB6_3384
.LBB6_3383:                             ;   in Loop: Header=BB6_3292 Depth=3
	v_and_b32_e32 v4, 3, v37
	v_bfe_u32 v5, v37, 2, 5
	v_ffbh_u32_e32 v28, v4
	v_cmp_eq_u32_e32 vcc_lo, 0, v5
	v_min_u32_e32 v28, 32, v28
	v_subrev_nc_u32_e32 v29, 29, v28
	v_sub_nc_u32_e32 v28, 30, v28
	v_lshlrev_b32_e32 v29, v29, v37
	v_cndmask_b32_e32 v5, v5, v28, vcc_lo
	v_lshlrev_b32_e32 v28, 24, v37
	v_and_b32_e32 v29, 3, v29
	v_lshl_add_u32 v5, v5, 23, 0x37800000
	v_and_b32_e32 v28, 0x80000000, v28
	v_cndmask_b32_e32 v4, v4, v29, vcc_lo
	v_lshlrev_b32_e32 v4, 21, v4
	v_or3_b32 v4, v28, v5, v4
.LBB6_3384:                             ;   in Loop: Header=BB6_3292 Depth=3
	s_or_b32 exec_lo, exec_lo, s16
	v_mul_f32_e32 v1, v1, v4
	v_mov_b32_e32 v48, 0x80
	s_mov_b32 s19, exec_lo
	v_and_b32_e32 v4, 0x7f800000, v1
	v_cmpx_ne_u32_e32 0x7f800000, v4
	s_cbranch_execz .LBB6_3392
; %bb.3385:                             ;   in Loop: Header=BB6_3292 Depth=3
	v_mov_b32_e32 v48, 0
	s_mov_b32 s22, exec_lo
	v_cmpx_ne_u32_e32 0, v1
	s_cbranch_execz .LBB6_3391
; %bb.3386:                             ;   in Loop: Header=BB6_3292 Depth=3
	v_bfe_u32 v5, v1, 23, 8
	v_and_b32_e32 v4, 0x7fffff, v1
	v_cmp_gt_u32_e64 s16, 0x71, v5
	v_sub_nc_u32_e32 v28, 0x70, v5
	v_cmp_eq_u32_e32 vcc_lo, 0, v5
	v_or_b32_e32 v29, 0x800000, v4
	v_cndmask_b32_e64 v28, 0, v28, s16
	v_cndmask_b32_e32 v4, v29, v4, vcc_lo
	v_cndmask_b32_e64 v28, v28, 0x6f, vcc_lo
	v_lshl_add_u32 v29, 0x200000, v28, -1
	v_lshlrev_b32_e64 v30, v28, 0x100000
	v_and_b32_e32 v29, v29, v4
	v_cmp_eq_u32_e64 s16, v29, v30
	v_lshrrev_b32_e32 v29, v28, v4
	v_add_nc_u32_e32 v4, 0xffffff91, v5
	v_lshrrev_b32_e32 v5, 23, v29
	v_cndmask_b32_e64 v4, v4, 0xffffff92, vcc_lo
	v_xor_b32_e32 v5, 1, v5
	v_add_nc_u32_e32 v4, v28, v4
	v_bfe_u32 v28, v29, 21, 1
	v_add_nc_u32_e32 v28, -1, v28
	v_cndmask_b32_e64 v28, 0, v28, s16
	s_mov_b32 s16, exec_lo
	v_add_nc_u32_e32 v28, v28, v29
	v_and_b32_e32 v28, 0x1fffff, v28
	v_add_nc_u32_e32 v28, v28, v29
                                        ; implicit-def: $vgpr29
	v_cmpx_ne_u32_e64 v4, v5
	s_xor_b32 s16, exec_lo, s16
; %bb.3387:                             ;   in Loop: Header=BB6_3292 Depth=3
	v_cmp_lt_u32_e32 vcc_lo, 0xffffff, v28
	v_sub_nc_u32_e32 v4, v4, v5
	v_cndmask_b32_e64 v5, 0, 1, vcc_lo
	v_add_co_ci_u32_e64 v29, null, 0, v4, vcc_lo
	v_lshrrev_b32_e32 v28, v5, v28
; %bb.3388:                             ;   in Loop: Header=BB6_3292 Depth=3
	s_andn2_saveexec_b32 s16, s16
; %bb.3389:                             ;   in Loop: Header=BB6_3292 Depth=3
	v_bfe_u32 v29, v28, 23, 1
; %bb.3390:                             ;   in Loop: Header=BB6_3292 Depth=3
	s_or_b32 exec_lo, exec_lo, s16
	v_lshrrev_b32_e32 v4, 21, v28
	v_min_i32_e32 v5, 31, v29
	v_cmp_gt_i32_e32 vcc_lo, 32, v29
	v_and_b32_sdwa v1, v1, v60 dst_sel:DWORD dst_unused:UNUSED_PAD src0_sel:BYTE_3 src1_sel:DWORD
	v_lshlrev_b32_e32 v5, 2, v5
	v_cndmask_b32_e32 v4, 3, v4, vcc_lo
	v_and_b32_e32 v5, 0xfc, v5
	v_or_b32_e32 v28, v29, v4
	v_and_b32_e32 v4, 3, v4
	v_cmp_ne_u32_e32 vcc_lo, 0, v28
	v_or3_b32 v1, v5, v1, v4
	v_cndmask_b32_e32 v48, 0, v1, vcc_lo
.LBB6_3391:                             ;   in Loop: Header=BB6_3292 Depth=3
	s_or_b32 exec_lo, exec_lo, s22
.LBB6_3392:                             ;   in Loop: Header=BB6_3292 Depth=3
	s_or_b32 exec_lo, exec_lo, s19
	v_cmp_gt_i16_sdwa s16, v49, v59 src0_sel:BYTE_1 src1_sel:DWORD
	s_mov_b32 s19, 0
	s_and_saveexec_b32 s22, s16
	s_xor_b32 s16, exec_lo, s22
	s_cbranch_execz .LBB6_4590
; %bb.3393:                             ;   in Loop: Header=BB6_3292 Depth=3
	v_cmp_eq_u16_sdwa s23, v49, v60 src0_sel:BYTE_1 src1_sel:DWORD
	s_mov_b32 s19, -1
	s_and_saveexec_b32 s22, s23
; %bb.3394:                             ;   in Loop: Header=BB6_3292 Depth=3
	s_xor_b32 s19, exec_lo, -1
; %bb.3395:                             ;   in Loop: Header=BB6_3292 Depth=3
	s_or_b32 exec_lo, exec_lo, s22
	s_and_b32 s19, s19, exec_lo
	s_or_saveexec_b32 s16, s16
	v_mov_b32_e32 v1, 0x7f800001
	s_xor_b32 exec_lo, exec_lo, s16
	s_cbranch_execnz .LBB6_4591
.LBB6_3396:                             ;   in Loop: Header=BB6_3292 Depth=3
	s_or_b32 exec_lo, exec_lo, s16
	s_and_saveexec_b32 s16, s19
	s_cbranch_execz .LBB6_3398
.LBB6_3397:                             ;   in Loop: Header=BB6_3292 Depth=3
	v_and_b32_sdwa v1, v61, v49 dst_sel:DWORD dst_unused:UNUSED_PAD src0_sel:DWORD src1_sel:BYTE_1
	v_and_b32_e32 v4, 3, v1
	v_bfe_u32 v29, v1, 2, 5
	v_ffbh_u32_e32 v5, v4
	v_cmp_eq_u32_e32 vcc_lo, 0, v29
	v_min_u32_e32 v5, 32, v5
	v_subrev_nc_u32_e32 v28, 29, v5
	v_sub_nc_u32_e32 v5, 30, v5
	v_lshlrev_b32_e32 v1, v28, v1
	v_lshlrev_b32_sdwa v28, v62, v49 dst_sel:DWORD dst_unused:UNUSED_PAD src0_sel:DWORD src1_sel:BYTE_1
	v_cndmask_b32_e32 v5, v29, v5, vcc_lo
	v_and_b32_e32 v1, 3, v1
	v_lshl_add_u32 v5, v5, 23, 0x37800000
	v_cndmask_b32_e32 v1, v4, v1, vcc_lo
	v_and_b32_e32 v4, 0x80000000, v28
	v_lshlrev_b32_e32 v1, 21, v1
	v_or3_b32 v1, v4, v5, v1
.LBB6_3398:                             ;   in Loop: Header=BB6_3292 Depth=3
	s_or_b32 exec_lo, exec_lo, s16
	v_cmp_gt_i16_sdwa s16, v37, v59 src0_sel:BYTE_1 src1_sel:DWORD
	s_mov_b32 s19, 0
	s_and_saveexec_b32 s22, s16
	s_xor_b32 s16, exec_lo, s22
	s_cbranch_execz .LBB6_4592
; %bb.3399:                             ;   in Loop: Header=BB6_3292 Depth=3
	v_cmp_eq_u16_sdwa s23, v37, v60 src0_sel:BYTE_1 src1_sel:DWORD
	s_mov_b32 s19, -1
	s_and_saveexec_b32 s22, s23
; %bb.3400:                             ;   in Loop: Header=BB6_3292 Depth=3
	s_xor_b32 s19, exec_lo, -1
; %bb.3401:                             ;   in Loop: Header=BB6_3292 Depth=3
	s_or_b32 exec_lo, exec_lo, s22
	s_and_b32 s19, s19, exec_lo
	s_or_saveexec_b32 s16, s16
	v_mov_b32_e32 v4, 0x7f800001
	s_xor_b32 exec_lo, exec_lo, s16
	s_cbranch_execnz .LBB6_4593
.LBB6_3402:                             ;   in Loop: Header=BB6_3292 Depth=3
	s_or_b32 exec_lo, exec_lo, s16
	s_and_saveexec_b32 s16, s19
	s_cbranch_execz .LBB6_3404
.LBB6_3403:                             ;   in Loop: Header=BB6_3292 Depth=3
	v_and_b32_sdwa v4, v61, v37 dst_sel:DWORD dst_unused:UNUSED_PAD src0_sel:DWORD src1_sel:BYTE_1
	v_and_b32_e32 v5, 3, v4
	v_bfe_u32 v30, v4, 2, 5
	v_ffbh_u32_e32 v28, v5
	v_cmp_eq_u32_e32 vcc_lo, 0, v30
	v_min_u32_e32 v28, 32, v28
	v_subrev_nc_u32_e32 v29, 29, v28
	v_sub_nc_u32_e32 v28, 30, v28
	v_lshlrev_b32_e32 v4, v29, v4
	v_lshlrev_b32_sdwa v29, v62, v37 dst_sel:DWORD dst_unused:UNUSED_PAD src0_sel:DWORD src1_sel:BYTE_1
	v_cndmask_b32_e32 v28, v30, v28, vcc_lo
	v_and_b32_e32 v4, 3, v4
	v_lshl_add_u32 v28, v28, 23, 0x37800000
	v_cndmask_b32_e32 v4, v5, v4, vcc_lo
	v_and_b32_e32 v5, 0x80000000, v29
	v_lshlrev_b32_e32 v4, 21, v4
	v_or3_b32 v4, v5, v28, v4
.LBB6_3404:                             ;   in Loop: Header=BB6_3292 Depth=3
	s_or_b32 exec_lo, exec_lo, s16
	v_mul_f32_e32 v1, v1, v4
	v_mov_b32_e32 v126, 0x8000
	s_mov_b32 s19, exec_lo
	v_and_b32_e32 v4, 0x7f800000, v1
	v_cmpx_ne_u32_e32 0x7f800000, v4
	s_cbranch_execz .LBB6_3412
; %bb.3405:                             ;   in Loop: Header=BB6_3292 Depth=3
	v_mov_b32_e32 v126, 0
	s_mov_b32 s22, exec_lo
	v_cmpx_ne_u32_e32 0, v1
	s_cbranch_execz .LBB6_3411
; %bb.3406:                             ;   in Loop: Header=BB6_3292 Depth=3
	v_bfe_u32 v5, v1, 23, 8
	v_and_b32_e32 v4, 0x7fffff, v1
	v_cmp_gt_u32_e64 s16, 0x71, v5
	v_sub_nc_u32_e32 v28, 0x70, v5
	v_cmp_eq_u32_e32 vcc_lo, 0, v5
	v_or_b32_e32 v29, 0x800000, v4
	v_cndmask_b32_e64 v28, 0, v28, s16
	v_cndmask_b32_e32 v4, v29, v4, vcc_lo
	v_cndmask_b32_e64 v28, v28, 0x6f, vcc_lo
	v_lshl_add_u32 v29, 0x200000, v28, -1
	v_lshlrev_b32_e64 v30, v28, 0x100000
	v_and_b32_e32 v29, v29, v4
	v_cmp_eq_u32_e64 s16, v29, v30
	v_lshrrev_b32_e32 v29, v28, v4
	v_add_nc_u32_e32 v4, 0xffffff91, v5
	v_lshrrev_b32_e32 v5, 23, v29
	v_cndmask_b32_e64 v4, v4, 0xffffff92, vcc_lo
	v_xor_b32_e32 v5, 1, v5
	v_add_nc_u32_e32 v4, v28, v4
	v_bfe_u32 v28, v29, 21, 1
	v_add_nc_u32_e32 v28, -1, v28
	v_cndmask_b32_e64 v28, 0, v28, s16
	s_mov_b32 s16, exec_lo
	v_add_nc_u32_e32 v28, v28, v29
	v_and_b32_e32 v28, 0x1fffff, v28
	v_add_nc_u32_e32 v28, v28, v29
                                        ; implicit-def: $vgpr29
	v_cmpx_ne_u32_e64 v4, v5
	s_xor_b32 s16, exec_lo, s16
; %bb.3407:                             ;   in Loop: Header=BB6_3292 Depth=3
	v_cmp_lt_u32_e32 vcc_lo, 0xffffff, v28
	v_sub_nc_u32_e32 v4, v4, v5
	v_cndmask_b32_e64 v5, 0, 1, vcc_lo
	v_add_co_ci_u32_e64 v29, null, 0, v4, vcc_lo
	v_lshrrev_b32_e32 v28, v5, v28
; %bb.3408:                             ;   in Loop: Header=BB6_3292 Depth=3
	s_andn2_saveexec_b32 s16, s16
; %bb.3409:                             ;   in Loop: Header=BB6_3292 Depth=3
	v_bfe_u32 v29, v28, 23, 1
; %bb.3410:                             ;   in Loop: Header=BB6_3292 Depth=3
	s_or_b32 exec_lo, exec_lo, s16
	v_lshrrev_b32_e32 v4, 21, v28
	v_min_i32_e32 v5, 31, v29
	v_cmp_gt_i32_e32 vcc_lo, 32, v29
	v_and_b32_sdwa v1, v1, v60 dst_sel:DWORD dst_unused:UNUSED_PAD src0_sel:BYTE_3 src1_sel:DWORD
	v_lshlrev_b32_e32 v5, 2, v5
	v_cndmask_b32_e32 v4, 3, v4, vcc_lo
	v_and_b32_e32 v5, 0xfc, v5
	v_or_b32_e32 v28, v29, v4
	v_and_b32_e32 v4, 3, v4
	v_cmp_ne_u32_e32 vcc_lo, 0, v28
	v_or3_b32 v1, v1, v5, v4
	v_lshlrev_b32_e32 v1, 8, v1
	v_cndmask_b32_e32 v126, 0, v1, vcc_lo
.LBB6_3411:                             ;   in Loop: Header=BB6_3292 Depth=3
	s_or_b32 exec_lo, exec_lo, s22
.LBB6_3412:                             ;   in Loop: Header=BB6_3292 Depth=3
	s_or_b32 exec_lo, exec_lo, s19
	v_and_b32_sdwa v4, v49, v63 dst_sel:DWORD dst_unused:UNUSED_PAD src0_sel:WORD_1 src1_sel:DWORD
	s_mov_b32 s19, 0
	s_mov_b32 s16, exec_lo
	v_cmpx_lt_i16_e32 0x7f, v4
	s_xor_b32 s16, exec_lo, s16
	s_cbranch_execz .LBB6_4594
; %bb.3413:                             ;   in Loop: Header=BB6_3292 Depth=3
	s_mov_b32 s19, -1
	s_mov_b32 s22, exec_lo
	v_cmpx_eq_u16_e32 0x80, v4
; %bb.3414:                             ;   in Loop: Header=BB6_3292 Depth=3
	s_xor_b32 s19, exec_lo, -1
; %bb.3415:                             ;   in Loop: Header=BB6_3292 Depth=3
	s_or_b32 exec_lo, exec_lo, s22
	s_and_b32 s19, s19, exec_lo
                                        ; implicit-def: $vgpr4
	s_or_saveexec_b32 s16, s16
	v_mov_b32_e32 v1, 0x7f800001
	s_xor_b32 exec_lo, exec_lo, s16
	s_cbranch_execnz .LBB6_4595
.LBB6_3416:                             ;   in Loop: Header=BB6_3292 Depth=3
	s_or_b32 exec_lo, exec_lo, s16
	s_and_saveexec_b32 s16, s19
	s_cbranch_execz .LBB6_3418
.LBB6_3417:                             ;   in Loop: Header=BB6_3292 Depth=3
	v_bfe_u32 v1, v49, 16, 2
	v_bfe_u32 v4, v49, 18, 5
	v_ffbh_u32_e32 v5, v1
	v_cmp_eq_u32_e32 vcc_lo, 0, v4
	v_min_u32_e32 v5, 32, v5
	v_subrev_nc_u32_e32 v28, 29, v5
	v_sub_nc_u32_e32 v5, 30, v5
	v_lshlrev_b32_sdwa v28, v28, v49 dst_sel:DWORD dst_unused:UNUSED_PAD src0_sel:DWORD src1_sel:WORD_1
	v_cndmask_b32_e32 v4, v4, v5, vcc_lo
	v_lshlrev_b32_e32 v5, 8, v49
	v_and_b32_e32 v28, 3, v28
	v_lshl_add_u32 v4, v4, 23, 0x37800000
	v_and_b32_e32 v5, 0x80000000, v5
	v_cndmask_b32_e32 v1, v1, v28, vcc_lo
	v_lshlrev_b32_e32 v1, 21, v1
	v_or3_b32 v1, v5, v4, v1
.LBB6_3418:                             ;   in Loop: Header=BB6_3292 Depth=3
	s_or_b32 exec_lo, exec_lo, s16
	v_and_b32_sdwa v5, v37, v63 dst_sel:DWORD dst_unused:UNUSED_PAD src0_sel:WORD_1 src1_sel:DWORD
	s_mov_b32 s19, 0
	s_mov_b32 s16, exec_lo
	v_cmpx_lt_i16_e32 0x7f, v5
	s_xor_b32 s16, exec_lo, s16
	s_cbranch_execz .LBB6_4596
; %bb.3419:                             ;   in Loop: Header=BB6_3292 Depth=3
	s_mov_b32 s19, -1
	s_mov_b32 s22, exec_lo
	v_cmpx_eq_u16_e32 0x80, v5
; %bb.3420:                             ;   in Loop: Header=BB6_3292 Depth=3
	s_xor_b32 s19, exec_lo, -1
; %bb.3421:                             ;   in Loop: Header=BB6_3292 Depth=3
	s_or_b32 exec_lo, exec_lo, s22
	s_and_b32 s19, s19, exec_lo
                                        ; implicit-def: $vgpr5
	s_or_saveexec_b32 s16, s16
	v_mov_b32_e32 v4, 0x7f800001
	s_xor_b32 exec_lo, exec_lo, s16
	s_cbranch_execnz .LBB6_4597
.LBB6_3422:                             ;   in Loop: Header=BB6_3292 Depth=3
	s_or_b32 exec_lo, exec_lo, s16
	s_and_saveexec_b32 s16, s19
	s_cbranch_execz .LBB6_3424
.LBB6_3423:                             ;   in Loop: Header=BB6_3292 Depth=3
	v_bfe_u32 v4, v37, 16, 2
	v_bfe_u32 v5, v37, 18, 5
	v_ffbh_u32_e32 v28, v4
	v_cmp_eq_u32_e32 vcc_lo, 0, v5
	v_min_u32_e32 v28, 32, v28
	v_subrev_nc_u32_e32 v29, 29, v28
	v_sub_nc_u32_e32 v28, 30, v28
	v_lshlrev_b32_sdwa v29, v29, v37 dst_sel:DWORD dst_unused:UNUSED_PAD src0_sel:DWORD src1_sel:WORD_1
	v_cndmask_b32_e32 v5, v5, v28, vcc_lo
	v_lshlrev_b32_e32 v28, 8, v37
	v_and_b32_e32 v29, 3, v29
	v_lshl_add_u32 v5, v5, 23, 0x37800000
	v_and_b32_e32 v28, 0x80000000, v28
	v_cndmask_b32_e32 v4, v4, v29, vcc_lo
	v_lshlrev_b32_e32 v4, 21, v4
	v_or3_b32 v4, v28, v5, v4
.LBB6_3424:                             ;   in Loop: Header=BB6_3292 Depth=3
	s_or_b32 exec_lo, exec_lo, s16
	v_mul_f32_e32 v1, v1, v4
	v_mov_b32_e32 v52, 0x80
	s_mov_b32 s19, exec_lo
	v_and_b32_e32 v4, 0x7f800000, v1
	v_cmpx_ne_u32_e32 0x7f800000, v4
	s_cbranch_execz .LBB6_3432
; %bb.3425:                             ;   in Loop: Header=BB6_3292 Depth=3
	v_mov_b32_e32 v52, 0
	s_mov_b32 s22, exec_lo
	v_cmpx_ne_u32_e32 0, v1
	s_cbranch_execz .LBB6_3431
; %bb.3426:                             ;   in Loop: Header=BB6_3292 Depth=3
	v_bfe_u32 v5, v1, 23, 8
	v_and_b32_e32 v4, 0x7fffff, v1
	v_cmp_gt_u32_e64 s16, 0x71, v5
	v_sub_nc_u32_e32 v28, 0x70, v5
	v_cmp_eq_u32_e32 vcc_lo, 0, v5
	v_or_b32_e32 v29, 0x800000, v4
	v_cndmask_b32_e64 v28, 0, v28, s16
	v_cndmask_b32_e32 v4, v29, v4, vcc_lo
	v_cndmask_b32_e64 v28, v28, 0x6f, vcc_lo
	v_lshl_add_u32 v29, 0x200000, v28, -1
	v_lshlrev_b32_e64 v30, v28, 0x100000
	v_and_b32_e32 v29, v29, v4
	v_cmp_eq_u32_e64 s16, v29, v30
	v_lshrrev_b32_e32 v29, v28, v4
	v_add_nc_u32_e32 v4, 0xffffff91, v5
	v_lshrrev_b32_e32 v5, 23, v29
	v_cndmask_b32_e64 v4, v4, 0xffffff92, vcc_lo
	v_xor_b32_e32 v5, 1, v5
	v_add_nc_u32_e32 v4, v28, v4
	v_bfe_u32 v28, v29, 21, 1
	v_add_nc_u32_e32 v28, -1, v28
	v_cndmask_b32_e64 v28, 0, v28, s16
	s_mov_b32 s16, exec_lo
	v_add_nc_u32_e32 v28, v28, v29
	v_and_b32_e32 v28, 0x1fffff, v28
	v_add_nc_u32_e32 v28, v28, v29
                                        ; implicit-def: $vgpr29
	v_cmpx_ne_u32_e64 v4, v5
	s_xor_b32 s16, exec_lo, s16
; %bb.3427:                             ;   in Loop: Header=BB6_3292 Depth=3
	v_cmp_lt_u32_e32 vcc_lo, 0xffffff, v28
	v_sub_nc_u32_e32 v4, v4, v5
	v_cndmask_b32_e64 v5, 0, 1, vcc_lo
	v_add_co_ci_u32_e64 v29, null, 0, v4, vcc_lo
	v_lshrrev_b32_e32 v28, v5, v28
; %bb.3428:                             ;   in Loop: Header=BB6_3292 Depth=3
	s_andn2_saveexec_b32 s16, s16
; %bb.3429:                             ;   in Loop: Header=BB6_3292 Depth=3
	v_bfe_u32 v29, v28, 23, 1
; %bb.3430:                             ;   in Loop: Header=BB6_3292 Depth=3
	s_or_b32 exec_lo, exec_lo, s16
	v_lshrrev_b32_e32 v4, 21, v28
	v_min_i32_e32 v5, 31, v29
	v_cmp_gt_i32_e32 vcc_lo, 32, v29
	v_and_b32_sdwa v1, v1, v60 dst_sel:DWORD dst_unused:UNUSED_PAD src0_sel:BYTE_3 src1_sel:DWORD
	v_lshlrev_b32_e32 v5, 2, v5
	v_cndmask_b32_e32 v4, 3, v4, vcc_lo
	v_and_b32_e32 v5, 0xfc, v5
	v_or_b32_e32 v28, v29, v4
	v_and_b32_e32 v4, 3, v4
	v_cmp_ne_u32_e32 vcc_lo, 0, v28
	v_or3_b32 v1, v5, v1, v4
	v_cndmask_b32_e32 v52, 0, v1, vcc_lo
.LBB6_3431:                             ;   in Loop: Header=BB6_3292 Depth=3
	s_or_b32 exec_lo, exec_lo, s22
.LBB6_3432:                             ;   in Loop: Header=BB6_3292 Depth=3
	s_or_b32 exec_lo, exec_lo, s19
	v_cmp_gt_i16_sdwa s16, v49, v59 src0_sel:BYTE_3 src1_sel:DWORD
	s_mov_b32 s19, 0
	s_and_saveexec_b32 s22, s16
	s_xor_b32 s16, exec_lo, s22
	s_cbranch_execz .LBB6_4598
; %bb.3433:                             ;   in Loop: Header=BB6_3292 Depth=3
	v_cmp_eq_u16_sdwa s23, v49, v60 src0_sel:BYTE_3 src1_sel:DWORD
	s_mov_b32 s19, -1
	s_and_saveexec_b32 s22, s23
; %bb.3434:                             ;   in Loop: Header=BB6_3292 Depth=3
	s_xor_b32 s19, exec_lo, -1
; %bb.3435:                             ;   in Loop: Header=BB6_3292 Depth=3
	s_or_b32 exec_lo, exec_lo, s22
	s_and_b32 s19, s19, exec_lo
	s_or_saveexec_b32 s16, s16
	v_mov_b32_e32 v1, 0x7f800001
	s_xor_b32 exec_lo, exec_lo, s16
	s_cbranch_execnz .LBB6_4599
.LBB6_3436:                             ;   in Loop: Header=BB6_3292 Depth=3
	s_or_b32 exec_lo, exec_lo, s16
	s_and_saveexec_b32 s16, s19
	s_cbranch_execz .LBB6_3438
.LBB6_3437:                             ;   in Loop: Header=BB6_3292 Depth=3
	v_bfe_u32 v1, v49, 24, 2
	v_bfe_u32 v28, v49, 26, 5
	v_ffbh_u32_e32 v4, v1
	v_cmp_eq_u32_e32 vcc_lo, 0, v28
	v_min_u32_e32 v4, 32, v4
	v_subrev_nc_u32_e32 v5, 29, v4
	v_sub_nc_u32_e32 v4, 30, v4
	v_lshlrev_b32_sdwa v5, v5, v49 dst_sel:DWORD dst_unused:UNUSED_PAD src0_sel:DWORD src1_sel:BYTE_3
	v_cndmask_b32_e32 v4, v28, v4, vcc_lo
	v_and_b32_e32 v5, 3, v5
	v_lshl_add_u32 v4, v4, 23, 0x37800000
	v_cndmask_b32_e32 v1, v1, v5, vcc_lo
	v_and_b32_e32 v5, 0x80000000, v49
	v_lshlrev_b32_e32 v1, 21, v1
	v_or3_b32 v1, v5, v4, v1
.LBB6_3438:                             ;   in Loop: Header=BB6_3292 Depth=3
	s_or_b32 exec_lo, exec_lo, s16
	v_cmp_gt_i16_sdwa s16, v37, v59 src0_sel:BYTE_3 src1_sel:DWORD
	s_mov_b32 s19, 0
	s_and_saveexec_b32 s22, s16
	s_xor_b32 s16, exec_lo, s22
	s_cbranch_execz .LBB6_4600
; %bb.3439:                             ;   in Loop: Header=BB6_3292 Depth=3
	v_cmp_eq_u16_sdwa s23, v37, v60 src0_sel:BYTE_3 src1_sel:DWORD
	s_mov_b32 s19, -1
	s_and_saveexec_b32 s22, s23
; %bb.3440:                             ;   in Loop: Header=BB6_3292 Depth=3
	s_xor_b32 s19, exec_lo, -1
; %bb.3441:                             ;   in Loop: Header=BB6_3292 Depth=3
	s_or_b32 exec_lo, exec_lo, s22
	s_and_b32 s19, s19, exec_lo
	s_or_saveexec_b32 s16, s16
	v_mov_b32_e32 v4, 0x7f800001
	s_xor_b32 exec_lo, exec_lo, s16
	s_cbranch_execnz .LBB6_4601
.LBB6_3442:                             ;   in Loop: Header=BB6_3292 Depth=3
	s_or_b32 exec_lo, exec_lo, s16
	s_and_saveexec_b32 s16, s19
	s_cbranch_execz .LBB6_3444
.LBB6_3443:                             ;   in Loop: Header=BB6_3292 Depth=3
	v_bfe_u32 v4, v37, 24, 2
	v_bfe_u32 v29, v37, 26, 5
	v_ffbh_u32_e32 v5, v4
	v_cmp_eq_u32_e32 vcc_lo, 0, v29
	v_min_u32_e32 v5, 32, v5
	v_subrev_nc_u32_e32 v28, 29, v5
	v_sub_nc_u32_e32 v5, 30, v5
	v_lshlrev_b32_sdwa v28, v28, v37 dst_sel:DWORD dst_unused:UNUSED_PAD src0_sel:DWORD src1_sel:BYTE_3
	v_cndmask_b32_e32 v5, v29, v5, vcc_lo
	v_and_b32_e32 v28, 3, v28
	v_lshl_add_u32 v5, v5, 23, 0x37800000
	v_cndmask_b32_e32 v4, v4, v28, vcc_lo
	v_and_b32_e32 v28, 0x80000000, v37
	v_lshlrev_b32_e32 v4, 21, v4
	v_or3_b32 v4, v28, v5, v4
.LBB6_3444:                             ;   in Loop: Header=BB6_3292 Depth=3
	s_or_b32 exec_lo, exec_lo, s16
	v_mul_f32_e32 v1, v1, v4
	v_mov_b32_e32 v37, 0x8000
	s_mov_b32 s19, exec_lo
	v_and_b32_e32 v4, 0x7f800000, v1
	v_cmpx_ne_u32_e32 0x7f800000, v4
	s_cbranch_execz .LBB6_3452
; %bb.3445:                             ;   in Loop: Header=BB6_3292 Depth=3
	v_mov_b32_e32 v37, 0
	s_mov_b32 s22, exec_lo
	v_cmpx_ne_u32_e32 0, v1
	s_cbranch_execz .LBB6_3451
; %bb.3446:                             ;   in Loop: Header=BB6_3292 Depth=3
	v_bfe_u32 v5, v1, 23, 8
	v_and_b32_e32 v4, 0x7fffff, v1
	v_cmp_gt_u32_e64 s16, 0x71, v5
	v_sub_nc_u32_e32 v28, 0x70, v5
	v_cmp_eq_u32_e32 vcc_lo, 0, v5
	v_or_b32_e32 v29, 0x800000, v4
	v_cndmask_b32_e64 v28, 0, v28, s16
	v_cndmask_b32_e32 v4, v29, v4, vcc_lo
	v_cndmask_b32_e64 v28, v28, 0x6f, vcc_lo
	v_lshl_add_u32 v29, 0x200000, v28, -1
	v_lshlrev_b32_e64 v30, v28, 0x100000
	v_and_b32_e32 v29, v29, v4
	v_cmp_eq_u32_e64 s16, v29, v30
	v_lshrrev_b32_e32 v29, v28, v4
	v_add_nc_u32_e32 v4, 0xffffff91, v5
	v_lshrrev_b32_e32 v5, 23, v29
	v_cndmask_b32_e64 v4, v4, 0xffffff92, vcc_lo
	v_xor_b32_e32 v5, 1, v5
	v_add_nc_u32_e32 v4, v28, v4
	v_bfe_u32 v28, v29, 21, 1
	v_add_nc_u32_e32 v28, -1, v28
	v_cndmask_b32_e64 v28, 0, v28, s16
	s_mov_b32 s16, exec_lo
	v_add_nc_u32_e32 v28, v28, v29
	v_and_b32_e32 v28, 0x1fffff, v28
	v_add_nc_u32_e32 v28, v28, v29
                                        ; implicit-def: $vgpr29
	v_cmpx_ne_u32_e64 v4, v5
	s_xor_b32 s16, exec_lo, s16
; %bb.3447:                             ;   in Loop: Header=BB6_3292 Depth=3
	v_cmp_lt_u32_e32 vcc_lo, 0xffffff, v28
	v_sub_nc_u32_e32 v4, v4, v5
	v_cndmask_b32_e64 v5, 0, 1, vcc_lo
	v_add_co_ci_u32_e64 v29, null, 0, v4, vcc_lo
	v_lshrrev_b32_e32 v28, v5, v28
; %bb.3448:                             ;   in Loop: Header=BB6_3292 Depth=3
	s_andn2_saveexec_b32 s16, s16
; %bb.3449:                             ;   in Loop: Header=BB6_3292 Depth=3
	v_bfe_u32 v29, v28, 23, 1
; %bb.3450:                             ;   in Loop: Header=BB6_3292 Depth=3
	s_or_b32 exec_lo, exec_lo, s16
	v_lshrrev_b32_e32 v4, 21, v28
	v_min_i32_e32 v5, 31, v29
	v_cmp_gt_i32_e32 vcc_lo, 32, v29
	v_and_b32_sdwa v1, v1, v60 dst_sel:DWORD dst_unused:UNUSED_PAD src0_sel:BYTE_3 src1_sel:DWORD
	v_lshlrev_b32_e32 v5, 2, v5
	v_cndmask_b32_e32 v4, 3, v4, vcc_lo
	v_and_b32_e32 v5, 0xfc, v5
	v_or_b32_e32 v28, v29, v4
	v_and_b32_e32 v4, 3, v4
	v_cmp_ne_u32_e32 vcc_lo, 0, v28
	v_or3_b32 v1, v1, v5, v4
	v_lshlrev_b32_e32 v1, 8, v1
	v_cndmask_b32_e32 v37, 0, v1, vcc_lo
.LBB6_3451:                             ;   in Loop: Header=BB6_3292 Depth=3
	s_or_b32 exec_lo, exec_lo, s22
.LBB6_3452:                             ;   in Loop: Header=BB6_3292 Depth=3
	s_or_b32 exec_lo, exec_lo, s19
	v_cmp_gt_i16_sdwa s16, v50, v59 src0_sel:BYTE_0 src1_sel:DWORD
	s_mov_b32 s19, 0
	s_and_saveexec_b32 s22, s16
	s_xor_b32 s16, exec_lo, s22
	s_cbranch_execz .LBB6_4602
; %bb.3453:                             ;   in Loop: Header=BB6_3292 Depth=3
	v_cmp_eq_u16_sdwa s23, v50, v60 src0_sel:BYTE_0 src1_sel:DWORD
	s_mov_b32 s19, -1
	s_and_saveexec_b32 s22, s23
; %bb.3454:                             ;   in Loop: Header=BB6_3292 Depth=3
	s_xor_b32 s19, exec_lo, -1
; %bb.3455:                             ;   in Loop: Header=BB6_3292 Depth=3
	s_or_b32 exec_lo, exec_lo, s22
	s_and_b32 s19, s19, exec_lo
	s_or_saveexec_b32 s16, s16
	v_mov_b32_e32 v1, 0x7f800001
	s_xor_b32 exec_lo, exec_lo, s16
	s_cbranch_execnz .LBB6_4603
.LBB6_3456:                             ;   in Loop: Header=BB6_3292 Depth=3
	s_or_b32 exec_lo, exec_lo, s16
	s_and_saveexec_b32 s16, s19
	s_cbranch_execz .LBB6_3458
.LBB6_3457:                             ;   in Loop: Header=BB6_3292 Depth=3
	v_and_b32_e32 v1, 3, v50
	v_bfe_u32 v4, v50, 2, 5
	v_ffbh_u32_e32 v5, v1
	v_cmp_eq_u32_e32 vcc_lo, 0, v4
	v_min_u32_e32 v5, 32, v5
	v_subrev_nc_u32_e32 v28, 29, v5
	v_sub_nc_u32_e32 v5, 30, v5
	v_lshlrev_b32_e32 v28, v28, v50
	v_cndmask_b32_e32 v4, v4, v5, vcc_lo
	v_lshlrev_b32_e32 v5, 24, v50
	v_and_b32_e32 v28, 3, v28
	v_lshl_add_u32 v4, v4, 23, 0x37800000
	v_and_b32_e32 v5, 0x80000000, v5
	v_cndmask_b32_e32 v1, v1, v28, vcc_lo
	v_lshlrev_b32_e32 v1, 21, v1
	v_or3_b32 v1, v5, v4, v1
.LBB6_3458:                             ;   in Loop: Header=BB6_3292 Depth=3
	s_or_b32 exec_lo, exec_lo, s16
	v_cmp_gt_i16_sdwa s16, v38, v59 src0_sel:BYTE_0 src1_sel:DWORD
	s_mov_b32 s19, 0
	s_and_saveexec_b32 s22, s16
	s_xor_b32 s16, exec_lo, s22
	s_cbranch_execz .LBB6_4604
; %bb.3459:                             ;   in Loop: Header=BB6_3292 Depth=3
	v_cmp_eq_u16_sdwa s23, v38, v60 src0_sel:BYTE_0 src1_sel:DWORD
	s_mov_b32 s19, -1
	s_and_saveexec_b32 s22, s23
; %bb.3460:                             ;   in Loop: Header=BB6_3292 Depth=3
	s_xor_b32 s19, exec_lo, -1
; %bb.3461:                             ;   in Loop: Header=BB6_3292 Depth=3
	s_or_b32 exec_lo, exec_lo, s22
	s_and_b32 s19, s19, exec_lo
	s_or_saveexec_b32 s16, s16
	v_mov_b32_e32 v4, 0x7f800001
	s_xor_b32 exec_lo, exec_lo, s16
	s_cbranch_execnz .LBB6_4605
.LBB6_3462:                             ;   in Loop: Header=BB6_3292 Depth=3
	s_or_b32 exec_lo, exec_lo, s16
	s_and_saveexec_b32 s16, s19
	s_cbranch_execz .LBB6_3464
.LBB6_3463:                             ;   in Loop: Header=BB6_3292 Depth=3
	v_and_b32_e32 v4, 3, v38
	v_bfe_u32 v5, v38, 2, 5
	v_ffbh_u32_e32 v28, v4
	v_cmp_eq_u32_e32 vcc_lo, 0, v5
	v_min_u32_e32 v28, 32, v28
	v_subrev_nc_u32_e32 v29, 29, v28
	v_sub_nc_u32_e32 v28, 30, v28
	v_lshlrev_b32_e32 v29, v29, v38
	v_cndmask_b32_e32 v5, v5, v28, vcc_lo
	v_lshlrev_b32_e32 v28, 24, v38
	v_and_b32_e32 v29, 3, v29
	v_lshl_add_u32 v5, v5, 23, 0x37800000
	v_and_b32_e32 v28, 0x80000000, v28
	v_cndmask_b32_e32 v4, v4, v29, vcc_lo
	v_lshlrev_b32_e32 v4, 21, v4
	v_or3_b32 v4, v28, v5, v4
.LBB6_3464:                             ;   in Loop: Header=BB6_3292 Depth=3
	s_or_b32 exec_lo, exec_lo, s16
	v_mul_f32_e32 v1, v1, v4
	v_mov_b32_e32 v49, 0x80
	s_mov_b32 s19, exec_lo
	v_and_b32_e32 v4, 0x7f800000, v1
	v_cmpx_ne_u32_e32 0x7f800000, v4
	s_cbranch_execz .LBB6_3472
; %bb.3465:                             ;   in Loop: Header=BB6_3292 Depth=3
	v_mov_b32_e32 v49, 0
	s_mov_b32 s22, exec_lo
	v_cmpx_ne_u32_e32 0, v1
	s_cbranch_execz .LBB6_3471
; %bb.3466:                             ;   in Loop: Header=BB6_3292 Depth=3
	v_bfe_u32 v5, v1, 23, 8
	v_and_b32_e32 v4, 0x7fffff, v1
	v_cmp_gt_u32_e64 s16, 0x71, v5
	v_sub_nc_u32_e32 v28, 0x70, v5
	v_cmp_eq_u32_e32 vcc_lo, 0, v5
	v_or_b32_e32 v29, 0x800000, v4
	v_cndmask_b32_e64 v28, 0, v28, s16
	v_cndmask_b32_e32 v4, v29, v4, vcc_lo
	v_cndmask_b32_e64 v28, v28, 0x6f, vcc_lo
	v_lshl_add_u32 v29, 0x200000, v28, -1
	v_lshlrev_b32_e64 v30, v28, 0x100000
	v_and_b32_e32 v29, v29, v4
	v_cmp_eq_u32_e64 s16, v29, v30
	v_lshrrev_b32_e32 v29, v28, v4
	v_add_nc_u32_e32 v4, 0xffffff91, v5
	v_lshrrev_b32_e32 v5, 23, v29
	v_cndmask_b32_e64 v4, v4, 0xffffff92, vcc_lo
	v_xor_b32_e32 v5, 1, v5
	v_add_nc_u32_e32 v4, v28, v4
	v_bfe_u32 v28, v29, 21, 1
	v_add_nc_u32_e32 v28, -1, v28
	v_cndmask_b32_e64 v28, 0, v28, s16
	s_mov_b32 s16, exec_lo
	v_add_nc_u32_e32 v28, v28, v29
	v_and_b32_e32 v28, 0x1fffff, v28
	v_add_nc_u32_e32 v28, v28, v29
                                        ; implicit-def: $vgpr29
	v_cmpx_ne_u32_e64 v4, v5
	s_xor_b32 s16, exec_lo, s16
; %bb.3467:                             ;   in Loop: Header=BB6_3292 Depth=3
	v_cmp_lt_u32_e32 vcc_lo, 0xffffff, v28
	v_sub_nc_u32_e32 v4, v4, v5
	v_cndmask_b32_e64 v5, 0, 1, vcc_lo
	v_add_co_ci_u32_e64 v29, null, 0, v4, vcc_lo
	v_lshrrev_b32_e32 v28, v5, v28
; %bb.3468:                             ;   in Loop: Header=BB6_3292 Depth=3
	s_andn2_saveexec_b32 s16, s16
; %bb.3469:                             ;   in Loop: Header=BB6_3292 Depth=3
	v_bfe_u32 v29, v28, 23, 1
; %bb.3470:                             ;   in Loop: Header=BB6_3292 Depth=3
	s_or_b32 exec_lo, exec_lo, s16
	v_lshrrev_b32_e32 v4, 21, v28
	v_min_i32_e32 v5, 31, v29
	v_cmp_gt_i32_e32 vcc_lo, 32, v29
	v_and_b32_sdwa v1, v1, v60 dst_sel:DWORD dst_unused:UNUSED_PAD src0_sel:BYTE_3 src1_sel:DWORD
	v_lshlrev_b32_e32 v5, 2, v5
	v_cndmask_b32_e32 v4, 3, v4, vcc_lo
	v_and_b32_e32 v5, 0xfc, v5
	v_or_b32_e32 v28, v29, v4
	v_and_b32_e32 v4, 3, v4
	v_cmp_ne_u32_e32 vcc_lo, 0, v28
	v_or3_b32 v1, v5, v1, v4
	v_cndmask_b32_e32 v49, 0, v1, vcc_lo
.LBB6_3471:                             ;   in Loop: Header=BB6_3292 Depth=3
	s_or_b32 exec_lo, exec_lo, s22
.LBB6_3472:                             ;   in Loop: Header=BB6_3292 Depth=3
	s_or_b32 exec_lo, exec_lo, s19
	v_cmp_gt_i16_sdwa s16, v50, v59 src0_sel:BYTE_1 src1_sel:DWORD
	s_mov_b32 s19, 0
	s_and_saveexec_b32 s22, s16
	s_xor_b32 s16, exec_lo, s22
	s_cbranch_execz .LBB6_4606
; %bb.3473:                             ;   in Loop: Header=BB6_3292 Depth=3
	v_cmp_eq_u16_sdwa s23, v50, v60 src0_sel:BYTE_1 src1_sel:DWORD
	s_mov_b32 s19, -1
	s_and_saveexec_b32 s22, s23
; %bb.3474:                             ;   in Loop: Header=BB6_3292 Depth=3
	s_xor_b32 s19, exec_lo, -1
; %bb.3475:                             ;   in Loop: Header=BB6_3292 Depth=3
	s_or_b32 exec_lo, exec_lo, s22
	s_and_b32 s19, s19, exec_lo
	s_or_saveexec_b32 s16, s16
	v_mov_b32_e32 v1, 0x7f800001
	s_xor_b32 exec_lo, exec_lo, s16
	s_cbranch_execnz .LBB6_4607
.LBB6_3476:                             ;   in Loop: Header=BB6_3292 Depth=3
	s_or_b32 exec_lo, exec_lo, s16
	s_and_saveexec_b32 s16, s19
	s_cbranch_execz .LBB6_3478
.LBB6_3477:                             ;   in Loop: Header=BB6_3292 Depth=3
	v_and_b32_sdwa v1, v61, v50 dst_sel:DWORD dst_unused:UNUSED_PAD src0_sel:DWORD src1_sel:BYTE_1
	v_and_b32_e32 v4, 3, v1
	v_bfe_u32 v29, v1, 2, 5
	v_ffbh_u32_e32 v5, v4
	v_cmp_eq_u32_e32 vcc_lo, 0, v29
	v_min_u32_e32 v5, 32, v5
	v_subrev_nc_u32_e32 v28, 29, v5
	v_sub_nc_u32_e32 v5, 30, v5
	v_lshlrev_b32_e32 v1, v28, v1
	v_lshlrev_b32_sdwa v28, v62, v50 dst_sel:DWORD dst_unused:UNUSED_PAD src0_sel:DWORD src1_sel:BYTE_1
	v_cndmask_b32_e32 v5, v29, v5, vcc_lo
	v_and_b32_e32 v1, 3, v1
	v_lshl_add_u32 v5, v5, 23, 0x37800000
	v_cndmask_b32_e32 v1, v4, v1, vcc_lo
	v_and_b32_e32 v4, 0x80000000, v28
	v_lshlrev_b32_e32 v1, 21, v1
	v_or3_b32 v1, v4, v5, v1
.LBB6_3478:                             ;   in Loop: Header=BB6_3292 Depth=3
	s_or_b32 exec_lo, exec_lo, s16
	v_cmp_gt_i16_sdwa s16, v38, v59 src0_sel:BYTE_1 src1_sel:DWORD
	s_mov_b32 s19, 0
	s_and_saveexec_b32 s22, s16
	s_xor_b32 s16, exec_lo, s22
	s_cbranch_execz .LBB6_4608
; %bb.3479:                             ;   in Loop: Header=BB6_3292 Depth=3
	v_cmp_eq_u16_sdwa s23, v38, v60 src0_sel:BYTE_1 src1_sel:DWORD
	s_mov_b32 s19, -1
	s_and_saveexec_b32 s22, s23
; %bb.3480:                             ;   in Loop: Header=BB6_3292 Depth=3
	s_xor_b32 s19, exec_lo, -1
; %bb.3481:                             ;   in Loop: Header=BB6_3292 Depth=3
	s_or_b32 exec_lo, exec_lo, s22
	s_and_b32 s19, s19, exec_lo
	s_or_saveexec_b32 s16, s16
	v_mov_b32_e32 v4, 0x7f800001
	s_xor_b32 exec_lo, exec_lo, s16
	s_cbranch_execnz .LBB6_4609
.LBB6_3482:                             ;   in Loop: Header=BB6_3292 Depth=3
	s_or_b32 exec_lo, exec_lo, s16
	s_and_saveexec_b32 s16, s19
	s_cbranch_execz .LBB6_3484
.LBB6_3483:                             ;   in Loop: Header=BB6_3292 Depth=3
	v_and_b32_sdwa v4, v61, v38 dst_sel:DWORD dst_unused:UNUSED_PAD src0_sel:DWORD src1_sel:BYTE_1
	v_and_b32_e32 v5, 3, v4
	v_bfe_u32 v30, v4, 2, 5
	v_ffbh_u32_e32 v28, v5
	v_cmp_eq_u32_e32 vcc_lo, 0, v30
	v_min_u32_e32 v28, 32, v28
	v_subrev_nc_u32_e32 v29, 29, v28
	v_sub_nc_u32_e32 v28, 30, v28
	v_lshlrev_b32_e32 v4, v29, v4
	v_lshlrev_b32_sdwa v29, v62, v38 dst_sel:DWORD dst_unused:UNUSED_PAD src0_sel:DWORD src1_sel:BYTE_1
	v_cndmask_b32_e32 v28, v30, v28, vcc_lo
	v_and_b32_e32 v4, 3, v4
	v_lshl_add_u32 v28, v28, 23, 0x37800000
	v_cndmask_b32_e32 v4, v5, v4, vcc_lo
	v_and_b32_e32 v5, 0x80000000, v29
	v_lshlrev_b32_e32 v4, 21, v4
	v_or3_b32 v4, v5, v28, v4
.LBB6_3484:                             ;   in Loop: Header=BB6_3292 Depth=3
	s_or_b32 exec_lo, exec_lo, s16
	v_mul_f32_e32 v1, v1, v4
	v_mov_b32_e32 v53, 0x8000
	s_mov_b32 s19, exec_lo
	v_and_b32_e32 v4, 0x7f800000, v1
	v_cmpx_ne_u32_e32 0x7f800000, v4
	s_cbranch_execz .LBB6_3492
; %bb.3485:                             ;   in Loop: Header=BB6_3292 Depth=3
	v_mov_b32_e32 v53, 0
	s_mov_b32 s22, exec_lo
	v_cmpx_ne_u32_e32 0, v1
	s_cbranch_execz .LBB6_3491
; %bb.3486:                             ;   in Loop: Header=BB6_3292 Depth=3
	v_bfe_u32 v5, v1, 23, 8
	v_and_b32_e32 v4, 0x7fffff, v1
	v_cmp_gt_u32_e64 s16, 0x71, v5
	v_sub_nc_u32_e32 v28, 0x70, v5
	v_cmp_eq_u32_e32 vcc_lo, 0, v5
	v_or_b32_e32 v29, 0x800000, v4
	v_cndmask_b32_e64 v28, 0, v28, s16
	v_cndmask_b32_e32 v4, v29, v4, vcc_lo
	v_cndmask_b32_e64 v28, v28, 0x6f, vcc_lo
	v_lshl_add_u32 v29, 0x200000, v28, -1
	v_lshlrev_b32_e64 v30, v28, 0x100000
	v_and_b32_e32 v29, v29, v4
	v_cmp_eq_u32_e64 s16, v29, v30
	v_lshrrev_b32_e32 v29, v28, v4
	v_add_nc_u32_e32 v4, 0xffffff91, v5
	v_lshrrev_b32_e32 v5, 23, v29
	v_cndmask_b32_e64 v4, v4, 0xffffff92, vcc_lo
	v_xor_b32_e32 v5, 1, v5
	v_add_nc_u32_e32 v4, v28, v4
	v_bfe_u32 v28, v29, 21, 1
	v_add_nc_u32_e32 v28, -1, v28
	v_cndmask_b32_e64 v28, 0, v28, s16
	s_mov_b32 s16, exec_lo
	v_add_nc_u32_e32 v28, v28, v29
	v_and_b32_e32 v28, 0x1fffff, v28
	v_add_nc_u32_e32 v28, v28, v29
                                        ; implicit-def: $vgpr29
	v_cmpx_ne_u32_e64 v4, v5
	s_xor_b32 s16, exec_lo, s16
; %bb.3487:                             ;   in Loop: Header=BB6_3292 Depth=3
	v_cmp_lt_u32_e32 vcc_lo, 0xffffff, v28
	v_sub_nc_u32_e32 v4, v4, v5
	v_cndmask_b32_e64 v5, 0, 1, vcc_lo
	v_add_co_ci_u32_e64 v29, null, 0, v4, vcc_lo
	v_lshrrev_b32_e32 v28, v5, v28
; %bb.3488:                             ;   in Loop: Header=BB6_3292 Depth=3
	s_andn2_saveexec_b32 s16, s16
; %bb.3489:                             ;   in Loop: Header=BB6_3292 Depth=3
	v_bfe_u32 v29, v28, 23, 1
; %bb.3490:                             ;   in Loop: Header=BB6_3292 Depth=3
	s_or_b32 exec_lo, exec_lo, s16
	v_lshrrev_b32_e32 v4, 21, v28
	v_min_i32_e32 v5, 31, v29
	v_cmp_gt_i32_e32 vcc_lo, 32, v29
	v_and_b32_sdwa v1, v1, v60 dst_sel:DWORD dst_unused:UNUSED_PAD src0_sel:BYTE_3 src1_sel:DWORD
	v_lshlrev_b32_e32 v5, 2, v5
	v_cndmask_b32_e32 v4, 3, v4, vcc_lo
	v_and_b32_e32 v5, 0xfc, v5
	v_or_b32_e32 v28, v29, v4
	v_and_b32_e32 v4, 3, v4
	v_cmp_ne_u32_e32 vcc_lo, 0, v28
	v_or3_b32 v1, v1, v5, v4
	v_lshlrev_b32_e32 v1, 8, v1
	v_cndmask_b32_e32 v53, 0, v1, vcc_lo
.LBB6_3491:                             ;   in Loop: Header=BB6_3292 Depth=3
	s_or_b32 exec_lo, exec_lo, s22
.LBB6_3492:                             ;   in Loop: Header=BB6_3292 Depth=3
	s_or_b32 exec_lo, exec_lo, s19
	v_and_b32_sdwa v4, v50, v63 dst_sel:DWORD dst_unused:UNUSED_PAD src0_sel:WORD_1 src1_sel:DWORD
	s_mov_b32 s19, 0
	s_mov_b32 s16, exec_lo
	v_cmpx_lt_i16_e32 0x7f, v4
	s_xor_b32 s16, exec_lo, s16
	s_cbranch_execz .LBB6_4610
; %bb.3493:                             ;   in Loop: Header=BB6_3292 Depth=3
	s_mov_b32 s19, -1
	s_mov_b32 s22, exec_lo
	v_cmpx_eq_u16_e32 0x80, v4
; %bb.3494:                             ;   in Loop: Header=BB6_3292 Depth=3
	s_xor_b32 s19, exec_lo, -1
; %bb.3495:                             ;   in Loop: Header=BB6_3292 Depth=3
	s_or_b32 exec_lo, exec_lo, s22
	s_and_b32 s19, s19, exec_lo
                                        ; implicit-def: $vgpr4
	s_or_saveexec_b32 s16, s16
	v_mov_b32_e32 v1, 0x7f800001
	s_xor_b32 exec_lo, exec_lo, s16
	s_cbranch_execnz .LBB6_4611
.LBB6_3496:                             ;   in Loop: Header=BB6_3292 Depth=3
	s_or_b32 exec_lo, exec_lo, s16
	s_and_saveexec_b32 s16, s19
	s_cbranch_execz .LBB6_3498
.LBB6_3497:                             ;   in Loop: Header=BB6_3292 Depth=3
	v_bfe_u32 v1, v50, 16, 2
	v_bfe_u32 v4, v50, 18, 5
	v_ffbh_u32_e32 v5, v1
	v_cmp_eq_u32_e32 vcc_lo, 0, v4
	v_min_u32_e32 v5, 32, v5
	v_subrev_nc_u32_e32 v28, 29, v5
	v_sub_nc_u32_e32 v5, 30, v5
	v_lshlrev_b32_sdwa v28, v28, v50 dst_sel:DWORD dst_unused:UNUSED_PAD src0_sel:DWORD src1_sel:WORD_1
	v_cndmask_b32_e32 v4, v4, v5, vcc_lo
	v_lshlrev_b32_e32 v5, 8, v50
	v_and_b32_e32 v28, 3, v28
	v_lshl_add_u32 v4, v4, 23, 0x37800000
	v_and_b32_e32 v5, 0x80000000, v5
	v_cndmask_b32_e32 v1, v1, v28, vcc_lo
	v_lshlrev_b32_e32 v1, 21, v1
	v_or3_b32 v1, v5, v4, v1
.LBB6_3498:                             ;   in Loop: Header=BB6_3292 Depth=3
	s_or_b32 exec_lo, exec_lo, s16
	v_and_b32_sdwa v5, v38, v63 dst_sel:DWORD dst_unused:UNUSED_PAD src0_sel:WORD_1 src1_sel:DWORD
	s_mov_b32 s19, 0
	s_mov_b32 s16, exec_lo
	v_cmpx_lt_i16_e32 0x7f, v5
	s_xor_b32 s16, exec_lo, s16
	s_cbranch_execz .LBB6_4612
; %bb.3499:                             ;   in Loop: Header=BB6_3292 Depth=3
	s_mov_b32 s19, -1
	s_mov_b32 s22, exec_lo
	v_cmpx_eq_u16_e32 0x80, v5
; %bb.3500:                             ;   in Loop: Header=BB6_3292 Depth=3
	s_xor_b32 s19, exec_lo, -1
; %bb.3501:                             ;   in Loop: Header=BB6_3292 Depth=3
	s_or_b32 exec_lo, exec_lo, s22
	s_and_b32 s19, s19, exec_lo
                                        ; implicit-def: $vgpr5
	s_or_saveexec_b32 s16, s16
	v_mov_b32_e32 v4, 0x7f800001
	s_xor_b32 exec_lo, exec_lo, s16
	s_cbranch_execnz .LBB6_4613
.LBB6_3502:                             ;   in Loop: Header=BB6_3292 Depth=3
	s_or_b32 exec_lo, exec_lo, s16
	s_and_saveexec_b32 s16, s19
	s_cbranch_execz .LBB6_3504
.LBB6_3503:                             ;   in Loop: Header=BB6_3292 Depth=3
	v_bfe_u32 v4, v38, 16, 2
	v_bfe_u32 v5, v38, 18, 5
	v_ffbh_u32_e32 v28, v4
	v_cmp_eq_u32_e32 vcc_lo, 0, v5
	v_min_u32_e32 v28, 32, v28
	v_subrev_nc_u32_e32 v29, 29, v28
	v_sub_nc_u32_e32 v28, 30, v28
	v_lshlrev_b32_sdwa v29, v29, v38 dst_sel:DWORD dst_unused:UNUSED_PAD src0_sel:DWORD src1_sel:WORD_1
	v_cndmask_b32_e32 v5, v5, v28, vcc_lo
	v_lshlrev_b32_e32 v28, 8, v38
	v_and_b32_e32 v29, 3, v29
	v_lshl_add_u32 v5, v5, 23, 0x37800000
	v_and_b32_e32 v28, 0x80000000, v28
	v_cndmask_b32_e32 v4, v4, v29, vcc_lo
	v_lshlrev_b32_e32 v4, 21, v4
	v_or3_b32 v4, v28, v5, v4
.LBB6_3504:                             ;   in Loop: Header=BB6_3292 Depth=3
	s_or_b32 exec_lo, exec_lo, s16
	v_mul_f32_e32 v1, v1, v4
	v_mov_b32_e32 v30, 0x80
	s_mov_b32 s19, exec_lo
	v_and_b32_e32 v4, 0x7f800000, v1
	v_cmpx_ne_u32_e32 0x7f800000, v4
	s_cbranch_execz .LBB6_3512
; %bb.3505:                             ;   in Loop: Header=BB6_3292 Depth=3
	v_mov_b32_e32 v30, 0
	s_mov_b32 s22, exec_lo
	v_cmpx_ne_u32_e32 0, v1
	s_cbranch_execz .LBB6_3511
; %bb.3506:                             ;   in Loop: Header=BB6_3292 Depth=3
	v_bfe_u32 v5, v1, 23, 8
	v_and_b32_e32 v4, 0x7fffff, v1
	v_cmp_gt_u32_e64 s16, 0x71, v5
	v_sub_nc_u32_e32 v28, 0x70, v5
	v_cmp_eq_u32_e32 vcc_lo, 0, v5
	v_or_b32_e32 v29, 0x800000, v4
	v_cndmask_b32_e64 v28, 0, v28, s16
	v_cndmask_b32_e32 v4, v29, v4, vcc_lo
	v_cndmask_b32_e64 v28, v28, 0x6f, vcc_lo
	v_lshl_add_u32 v29, 0x200000, v28, -1
	v_lshlrev_b32_e64 v30, v28, 0x100000
	v_and_b32_e32 v29, v29, v4
	v_cmp_eq_u32_e64 s16, v29, v30
	v_lshrrev_b32_e32 v29, v28, v4
	v_add_nc_u32_e32 v4, 0xffffff91, v5
	v_lshrrev_b32_e32 v5, 23, v29
	v_cndmask_b32_e64 v4, v4, 0xffffff92, vcc_lo
	v_xor_b32_e32 v5, 1, v5
	v_add_nc_u32_e32 v4, v28, v4
	v_bfe_u32 v28, v29, 21, 1
	v_add_nc_u32_e32 v28, -1, v28
	v_cndmask_b32_e64 v28, 0, v28, s16
	s_mov_b32 s16, exec_lo
	v_add_nc_u32_e32 v28, v28, v29
	v_and_b32_e32 v28, 0x1fffff, v28
	v_add_nc_u32_e32 v28, v28, v29
                                        ; implicit-def: $vgpr29
	v_cmpx_ne_u32_e64 v4, v5
	s_xor_b32 s16, exec_lo, s16
; %bb.3507:                             ;   in Loop: Header=BB6_3292 Depth=3
	v_cmp_lt_u32_e32 vcc_lo, 0xffffff, v28
	v_sub_nc_u32_e32 v4, v4, v5
	v_cndmask_b32_e64 v5, 0, 1, vcc_lo
	v_add_co_ci_u32_e64 v29, null, 0, v4, vcc_lo
	v_lshrrev_b32_e32 v28, v5, v28
; %bb.3508:                             ;   in Loop: Header=BB6_3292 Depth=3
	s_andn2_saveexec_b32 s16, s16
; %bb.3509:                             ;   in Loop: Header=BB6_3292 Depth=3
	v_bfe_u32 v29, v28, 23, 1
; %bb.3510:                             ;   in Loop: Header=BB6_3292 Depth=3
	s_or_b32 exec_lo, exec_lo, s16
	v_lshrrev_b32_e32 v4, 21, v28
	v_min_i32_e32 v5, 31, v29
	v_cmp_gt_i32_e32 vcc_lo, 32, v29
	v_and_b32_sdwa v1, v1, v60 dst_sel:DWORD dst_unused:UNUSED_PAD src0_sel:BYTE_3 src1_sel:DWORD
	v_lshlrev_b32_e32 v5, 2, v5
	v_cndmask_b32_e32 v4, 3, v4, vcc_lo
	v_and_b32_e32 v5, 0xfc, v5
	v_or_b32_e32 v28, v29, v4
	v_and_b32_e32 v4, 3, v4
	v_cmp_ne_u32_e32 vcc_lo, 0, v28
	v_or3_b32 v1, v5, v1, v4
	v_cndmask_b32_e32 v30, 0, v1, vcc_lo
.LBB6_3511:                             ;   in Loop: Header=BB6_3292 Depth=3
	s_or_b32 exec_lo, exec_lo, s22
.LBB6_3512:                             ;   in Loop: Header=BB6_3292 Depth=3
	s_or_b32 exec_lo, exec_lo, s19
	v_cmp_gt_i16_sdwa s16, v50, v59 src0_sel:BYTE_3 src1_sel:DWORD
	s_mov_b32 s19, 0
	s_and_saveexec_b32 s22, s16
	s_xor_b32 s16, exec_lo, s22
	s_cbranch_execz .LBB6_4614
; %bb.3513:                             ;   in Loop: Header=BB6_3292 Depth=3
	v_cmp_eq_u16_sdwa s23, v50, v60 src0_sel:BYTE_3 src1_sel:DWORD
	s_mov_b32 s19, -1
	s_and_saveexec_b32 s22, s23
; %bb.3514:                             ;   in Loop: Header=BB6_3292 Depth=3
	s_xor_b32 s19, exec_lo, -1
; %bb.3515:                             ;   in Loop: Header=BB6_3292 Depth=3
	s_or_b32 exec_lo, exec_lo, s22
	s_and_b32 s19, s19, exec_lo
	s_or_saveexec_b32 s16, s16
	v_mov_b32_e32 v1, 0x7f800001
	s_xor_b32 exec_lo, exec_lo, s16
	s_cbranch_execnz .LBB6_4615
.LBB6_3516:                             ;   in Loop: Header=BB6_3292 Depth=3
	s_or_b32 exec_lo, exec_lo, s16
	s_and_saveexec_b32 s16, s19
	s_cbranch_execz .LBB6_3518
.LBB6_3517:                             ;   in Loop: Header=BB6_3292 Depth=3
	v_bfe_u32 v1, v50, 24, 2
	v_bfe_u32 v28, v50, 26, 5
	v_ffbh_u32_e32 v4, v1
	v_cmp_eq_u32_e32 vcc_lo, 0, v28
	v_min_u32_e32 v4, 32, v4
	v_subrev_nc_u32_e32 v5, 29, v4
	v_sub_nc_u32_e32 v4, 30, v4
	v_lshlrev_b32_sdwa v5, v5, v50 dst_sel:DWORD dst_unused:UNUSED_PAD src0_sel:DWORD src1_sel:BYTE_3
	v_cndmask_b32_e32 v4, v28, v4, vcc_lo
	v_and_b32_e32 v5, 3, v5
	v_lshl_add_u32 v4, v4, 23, 0x37800000
	v_cndmask_b32_e32 v1, v1, v5, vcc_lo
	v_and_b32_e32 v5, 0x80000000, v50
	v_lshlrev_b32_e32 v1, 21, v1
	v_or3_b32 v1, v5, v4, v1
.LBB6_3518:                             ;   in Loop: Header=BB6_3292 Depth=3
	s_or_b32 exec_lo, exec_lo, s16
	v_cmp_gt_i16_sdwa s16, v38, v59 src0_sel:BYTE_3 src1_sel:DWORD
	s_mov_b32 s19, 0
	s_and_saveexec_b32 s22, s16
	s_xor_b32 s16, exec_lo, s22
	s_cbranch_execz .LBB6_4616
; %bb.3519:                             ;   in Loop: Header=BB6_3292 Depth=3
	v_cmp_eq_u16_sdwa s23, v38, v60 src0_sel:BYTE_3 src1_sel:DWORD
	s_mov_b32 s19, -1
	s_and_saveexec_b32 s22, s23
; %bb.3520:                             ;   in Loop: Header=BB6_3292 Depth=3
	s_xor_b32 s19, exec_lo, -1
; %bb.3521:                             ;   in Loop: Header=BB6_3292 Depth=3
	s_or_b32 exec_lo, exec_lo, s22
	s_and_b32 s19, s19, exec_lo
	s_or_saveexec_b32 s16, s16
	v_mov_b32_e32 v4, 0x7f800001
	s_xor_b32 exec_lo, exec_lo, s16
	s_cbranch_execnz .LBB6_4617
.LBB6_3522:                             ;   in Loop: Header=BB6_3292 Depth=3
	s_or_b32 exec_lo, exec_lo, s16
	s_and_saveexec_b32 s16, s19
	s_cbranch_execz .LBB6_3524
.LBB6_3523:                             ;   in Loop: Header=BB6_3292 Depth=3
	v_bfe_u32 v4, v38, 24, 2
	v_bfe_u32 v29, v38, 26, 5
	v_ffbh_u32_e32 v5, v4
	v_cmp_eq_u32_e32 vcc_lo, 0, v29
	v_min_u32_e32 v5, 32, v5
	v_subrev_nc_u32_e32 v28, 29, v5
	v_sub_nc_u32_e32 v5, 30, v5
	v_lshlrev_b32_sdwa v28, v28, v38 dst_sel:DWORD dst_unused:UNUSED_PAD src0_sel:DWORD src1_sel:BYTE_3
	v_cndmask_b32_e32 v5, v29, v5, vcc_lo
	v_and_b32_e32 v28, 3, v28
	v_lshl_add_u32 v5, v5, 23, 0x37800000
	v_cndmask_b32_e32 v4, v4, v28, vcc_lo
	v_and_b32_e32 v28, 0x80000000, v38
	v_lshlrev_b32_e32 v4, 21, v4
	v_or3_b32 v4, v28, v5, v4
.LBB6_3524:                             ;   in Loop: Header=BB6_3292 Depth=3
	s_or_b32 exec_lo, exec_lo, s16
	v_mul_f32_e32 v1, v1, v4
	v_mov_b32_e32 v38, 0x8000
	s_mov_b32 s19, exec_lo
	v_and_b32_e32 v4, 0x7f800000, v1
	v_cmpx_ne_u32_e32 0x7f800000, v4
	s_cbranch_execz .LBB6_3532
; %bb.3525:                             ;   in Loop: Header=BB6_3292 Depth=3
	v_mov_b32_e32 v38, 0
	s_mov_b32 s22, exec_lo
	v_cmpx_ne_u32_e32 0, v1
	s_cbranch_execz .LBB6_3531
; %bb.3526:                             ;   in Loop: Header=BB6_3292 Depth=3
	v_bfe_u32 v5, v1, 23, 8
	v_and_b32_e32 v4, 0x7fffff, v1
	v_cmp_gt_u32_e64 s16, 0x71, v5
	v_sub_nc_u32_e32 v28, 0x70, v5
	v_cmp_eq_u32_e32 vcc_lo, 0, v5
	v_or_b32_e32 v29, 0x800000, v4
	v_cndmask_b32_e64 v28, 0, v28, s16
	v_cndmask_b32_e32 v4, v29, v4, vcc_lo
	v_cndmask_b32_e64 v28, v28, 0x6f, vcc_lo
	v_lshl_add_u32 v29, 0x200000, v28, -1
	v_lshlrev_b32_e64 v31, v28, 0x100000
	v_and_b32_e32 v29, v29, v4
	v_cmp_eq_u32_e64 s16, v29, v31
	v_lshrrev_b32_e32 v29, v28, v4
	v_add_nc_u32_e32 v4, 0xffffff91, v5
	v_lshrrev_b32_e32 v5, 23, v29
	v_cndmask_b32_e64 v4, v4, 0xffffff92, vcc_lo
	v_xor_b32_e32 v5, 1, v5
	v_add_nc_u32_e32 v4, v28, v4
	v_bfe_u32 v28, v29, 21, 1
	v_add_nc_u32_e32 v28, -1, v28
	v_cndmask_b32_e64 v28, 0, v28, s16
	s_mov_b32 s16, exec_lo
	v_add_nc_u32_e32 v28, v28, v29
	v_and_b32_e32 v28, 0x1fffff, v28
	v_add_nc_u32_e32 v28, v28, v29
                                        ; implicit-def: $vgpr29
	v_cmpx_ne_u32_e64 v4, v5
	s_xor_b32 s16, exec_lo, s16
; %bb.3527:                             ;   in Loop: Header=BB6_3292 Depth=3
	v_cmp_lt_u32_e32 vcc_lo, 0xffffff, v28
	v_sub_nc_u32_e32 v4, v4, v5
	v_cndmask_b32_e64 v5, 0, 1, vcc_lo
	v_add_co_ci_u32_e64 v29, null, 0, v4, vcc_lo
	v_lshrrev_b32_e32 v28, v5, v28
; %bb.3528:                             ;   in Loop: Header=BB6_3292 Depth=3
	s_andn2_saveexec_b32 s16, s16
; %bb.3529:                             ;   in Loop: Header=BB6_3292 Depth=3
	v_bfe_u32 v29, v28, 23, 1
; %bb.3530:                             ;   in Loop: Header=BB6_3292 Depth=3
	s_or_b32 exec_lo, exec_lo, s16
	v_lshrrev_b32_e32 v4, 21, v28
	v_min_i32_e32 v5, 31, v29
	v_cmp_gt_i32_e32 vcc_lo, 32, v29
	v_and_b32_sdwa v1, v1, v60 dst_sel:DWORD dst_unused:UNUSED_PAD src0_sel:BYTE_3 src1_sel:DWORD
	v_lshlrev_b32_e32 v5, 2, v5
	v_cndmask_b32_e32 v4, 3, v4, vcc_lo
	v_and_b32_e32 v5, 0xfc, v5
	v_or_b32_e32 v28, v29, v4
	v_and_b32_e32 v4, 3, v4
	v_cmp_ne_u32_e32 vcc_lo, 0, v28
	v_or3_b32 v1, v1, v5, v4
	v_lshlrev_b32_e32 v1, 8, v1
	v_cndmask_b32_e32 v38, 0, v1, vcc_lo
.LBB6_3531:                             ;   in Loop: Header=BB6_3292 Depth=3
	s_or_b32 exec_lo, exec_lo, s22
.LBB6_3532:                             ;   in Loop: Header=BB6_3292 Depth=3
	s_or_b32 exec_lo, exec_lo, s19
	v_cmp_gt_i16_sdwa s16, v51, v59 src0_sel:BYTE_0 src1_sel:DWORD
	s_mov_b32 s19, 0
	s_and_saveexec_b32 s22, s16
	s_xor_b32 s16, exec_lo, s22
	s_cbranch_execz .LBB6_4618
; %bb.3533:                             ;   in Loop: Header=BB6_3292 Depth=3
	v_cmp_eq_u16_sdwa s23, v51, v60 src0_sel:BYTE_0 src1_sel:DWORD
	s_mov_b32 s19, -1
	s_and_saveexec_b32 s22, s23
; %bb.3534:                             ;   in Loop: Header=BB6_3292 Depth=3
	s_xor_b32 s19, exec_lo, -1
; %bb.3535:                             ;   in Loop: Header=BB6_3292 Depth=3
	s_or_b32 exec_lo, exec_lo, s22
	s_and_b32 s19, s19, exec_lo
	s_or_saveexec_b32 s16, s16
	v_mov_b32_e32 v1, 0x7f800001
	s_xor_b32 exec_lo, exec_lo, s16
	s_cbranch_execnz .LBB6_4619
.LBB6_3536:                             ;   in Loop: Header=BB6_3292 Depth=3
	s_or_b32 exec_lo, exec_lo, s16
	s_and_saveexec_b32 s16, s19
	s_cbranch_execz .LBB6_3538
.LBB6_3537:                             ;   in Loop: Header=BB6_3292 Depth=3
	v_and_b32_e32 v1, 3, v51
	v_bfe_u32 v4, v51, 2, 5
	v_ffbh_u32_e32 v5, v1
	v_cmp_eq_u32_e32 vcc_lo, 0, v4
	v_min_u32_e32 v5, 32, v5
	v_subrev_nc_u32_e32 v28, 29, v5
	v_sub_nc_u32_e32 v5, 30, v5
	v_lshlrev_b32_e32 v28, v28, v51
	v_cndmask_b32_e32 v4, v4, v5, vcc_lo
	v_lshlrev_b32_e32 v5, 24, v51
	v_and_b32_e32 v28, 3, v28
	v_lshl_add_u32 v4, v4, 23, 0x37800000
	v_and_b32_e32 v5, 0x80000000, v5
	v_cndmask_b32_e32 v1, v1, v28, vcc_lo
	v_lshlrev_b32_e32 v1, 21, v1
	v_or3_b32 v1, v5, v4, v1
.LBB6_3538:                             ;   in Loop: Header=BB6_3292 Depth=3
	s_or_b32 exec_lo, exec_lo, s16
	v_cmp_gt_i16_sdwa s16, v39, v59 src0_sel:BYTE_0 src1_sel:DWORD
	s_mov_b32 s19, 0
	s_and_saveexec_b32 s22, s16
	s_xor_b32 s16, exec_lo, s22
	s_cbranch_execz .LBB6_4620
; %bb.3539:                             ;   in Loop: Header=BB6_3292 Depth=3
	v_cmp_eq_u16_sdwa s23, v39, v60 src0_sel:BYTE_0 src1_sel:DWORD
	s_mov_b32 s19, -1
	s_and_saveexec_b32 s22, s23
; %bb.3540:                             ;   in Loop: Header=BB6_3292 Depth=3
	s_xor_b32 s19, exec_lo, -1
; %bb.3541:                             ;   in Loop: Header=BB6_3292 Depth=3
	s_or_b32 exec_lo, exec_lo, s22
	s_and_b32 s19, s19, exec_lo
	s_or_saveexec_b32 s16, s16
	v_mov_b32_e32 v4, 0x7f800001
	s_xor_b32 exec_lo, exec_lo, s16
	s_cbranch_execnz .LBB6_4621
.LBB6_3542:                             ;   in Loop: Header=BB6_3292 Depth=3
	s_or_b32 exec_lo, exec_lo, s16
	s_and_saveexec_b32 s16, s19
	s_cbranch_execz .LBB6_3544
.LBB6_3543:                             ;   in Loop: Header=BB6_3292 Depth=3
	v_and_b32_e32 v4, 3, v39
	v_bfe_u32 v5, v39, 2, 5
	v_ffbh_u32_e32 v28, v4
	v_cmp_eq_u32_e32 vcc_lo, 0, v5
	v_min_u32_e32 v28, 32, v28
	v_subrev_nc_u32_e32 v29, 29, v28
	v_sub_nc_u32_e32 v28, 30, v28
	v_lshlrev_b32_e32 v29, v29, v39
	v_cndmask_b32_e32 v5, v5, v28, vcc_lo
	v_lshlrev_b32_e32 v28, 24, v39
	v_and_b32_e32 v29, 3, v29
	v_lshl_add_u32 v5, v5, 23, 0x37800000
	v_and_b32_e32 v28, 0x80000000, v28
	v_cndmask_b32_e32 v4, v4, v29, vcc_lo
	v_lshlrev_b32_e32 v4, 21, v4
	v_or3_b32 v4, v28, v5, v4
.LBB6_3544:                             ;   in Loop: Header=BB6_3292 Depth=3
	s_or_b32 exec_lo, exec_lo, s16
	v_mul_f32_e32 v1, v1, v4
	v_mov_b32_e32 v50, 0x80
	s_mov_b32 s19, exec_lo
	v_and_b32_e32 v4, 0x7f800000, v1
	v_cmpx_ne_u32_e32 0x7f800000, v4
	s_cbranch_execz .LBB6_3552
; %bb.3545:                             ;   in Loop: Header=BB6_3292 Depth=3
	v_mov_b32_e32 v50, 0
	s_mov_b32 s22, exec_lo
	v_cmpx_ne_u32_e32 0, v1
	s_cbranch_execz .LBB6_3551
; %bb.3546:                             ;   in Loop: Header=BB6_3292 Depth=3
	v_bfe_u32 v5, v1, 23, 8
	v_and_b32_e32 v4, 0x7fffff, v1
	v_cmp_gt_u32_e64 s16, 0x71, v5
	v_sub_nc_u32_e32 v28, 0x70, v5
	v_cmp_eq_u32_e32 vcc_lo, 0, v5
	v_or_b32_e32 v29, 0x800000, v4
	v_cndmask_b32_e64 v28, 0, v28, s16
	v_cndmask_b32_e32 v4, v29, v4, vcc_lo
	v_cndmask_b32_e64 v28, v28, 0x6f, vcc_lo
	v_lshl_add_u32 v29, 0x200000, v28, -1
	v_lshlrev_b32_e64 v31, v28, 0x100000
	v_and_b32_e32 v29, v29, v4
	v_cmp_eq_u32_e64 s16, v29, v31
	v_lshrrev_b32_e32 v29, v28, v4
	v_add_nc_u32_e32 v4, 0xffffff91, v5
	v_lshrrev_b32_e32 v5, 23, v29
	v_cndmask_b32_e64 v4, v4, 0xffffff92, vcc_lo
	v_xor_b32_e32 v5, 1, v5
	v_add_nc_u32_e32 v4, v28, v4
	v_bfe_u32 v28, v29, 21, 1
	v_add_nc_u32_e32 v28, -1, v28
	v_cndmask_b32_e64 v28, 0, v28, s16
	s_mov_b32 s16, exec_lo
	v_add_nc_u32_e32 v28, v28, v29
	v_and_b32_e32 v28, 0x1fffff, v28
	v_add_nc_u32_e32 v28, v28, v29
                                        ; implicit-def: $vgpr29
	v_cmpx_ne_u32_e64 v4, v5
	s_xor_b32 s16, exec_lo, s16
; %bb.3547:                             ;   in Loop: Header=BB6_3292 Depth=3
	v_cmp_lt_u32_e32 vcc_lo, 0xffffff, v28
	v_sub_nc_u32_e32 v4, v4, v5
	v_cndmask_b32_e64 v5, 0, 1, vcc_lo
	v_add_co_ci_u32_e64 v29, null, 0, v4, vcc_lo
	v_lshrrev_b32_e32 v28, v5, v28
; %bb.3548:                             ;   in Loop: Header=BB6_3292 Depth=3
	s_andn2_saveexec_b32 s16, s16
; %bb.3549:                             ;   in Loop: Header=BB6_3292 Depth=3
	v_bfe_u32 v29, v28, 23, 1
; %bb.3550:                             ;   in Loop: Header=BB6_3292 Depth=3
	s_or_b32 exec_lo, exec_lo, s16
	v_lshrrev_b32_e32 v4, 21, v28
	v_min_i32_e32 v5, 31, v29
	v_cmp_gt_i32_e32 vcc_lo, 32, v29
	v_and_b32_sdwa v1, v1, v60 dst_sel:DWORD dst_unused:UNUSED_PAD src0_sel:BYTE_3 src1_sel:DWORD
	v_lshlrev_b32_e32 v5, 2, v5
	v_cndmask_b32_e32 v4, 3, v4, vcc_lo
	v_and_b32_e32 v5, 0xfc, v5
	v_or_b32_e32 v28, v29, v4
	v_and_b32_e32 v4, 3, v4
	v_cmp_ne_u32_e32 vcc_lo, 0, v28
	v_or3_b32 v1, v5, v1, v4
	v_cndmask_b32_e32 v50, 0, v1, vcc_lo
.LBB6_3551:                             ;   in Loop: Header=BB6_3292 Depth=3
	s_or_b32 exec_lo, exec_lo, s22
.LBB6_3552:                             ;   in Loop: Header=BB6_3292 Depth=3
	s_or_b32 exec_lo, exec_lo, s19
	v_cmp_gt_i16_sdwa s16, v51, v59 src0_sel:BYTE_1 src1_sel:DWORD
	s_mov_b32 s19, 0
	s_and_saveexec_b32 s22, s16
	s_xor_b32 s16, exec_lo, s22
	s_cbranch_execz .LBB6_4622
; %bb.3553:                             ;   in Loop: Header=BB6_3292 Depth=3
	v_cmp_eq_u16_sdwa s23, v51, v60 src0_sel:BYTE_1 src1_sel:DWORD
	s_mov_b32 s19, -1
	s_and_saveexec_b32 s22, s23
; %bb.3554:                             ;   in Loop: Header=BB6_3292 Depth=3
	s_xor_b32 s19, exec_lo, -1
; %bb.3555:                             ;   in Loop: Header=BB6_3292 Depth=3
	s_or_b32 exec_lo, exec_lo, s22
	s_and_b32 s19, s19, exec_lo
	s_or_saveexec_b32 s16, s16
	v_mov_b32_e32 v1, 0x7f800001
	s_xor_b32 exec_lo, exec_lo, s16
	s_cbranch_execnz .LBB6_4623
.LBB6_3556:                             ;   in Loop: Header=BB6_3292 Depth=3
	s_or_b32 exec_lo, exec_lo, s16
	s_and_saveexec_b32 s16, s19
	s_cbranch_execz .LBB6_3558
.LBB6_3557:                             ;   in Loop: Header=BB6_3292 Depth=3
	v_and_b32_sdwa v1, v61, v51 dst_sel:DWORD dst_unused:UNUSED_PAD src0_sel:DWORD src1_sel:BYTE_1
	v_and_b32_e32 v4, 3, v1
	v_bfe_u32 v29, v1, 2, 5
	v_ffbh_u32_e32 v5, v4
	v_cmp_eq_u32_e32 vcc_lo, 0, v29
	v_min_u32_e32 v5, 32, v5
	v_subrev_nc_u32_e32 v28, 29, v5
	v_sub_nc_u32_e32 v5, 30, v5
	v_lshlrev_b32_e32 v1, v28, v1
	v_lshlrev_b32_sdwa v28, v62, v51 dst_sel:DWORD dst_unused:UNUSED_PAD src0_sel:DWORD src1_sel:BYTE_1
	v_cndmask_b32_e32 v5, v29, v5, vcc_lo
	v_and_b32_e32 v1, 3, v1
	v_lshl_add_u32 v5, v5, 23, 0x37800000
	v_cndmask_b32_e32 v1, v4, v1, vcc_lo
	v_and_b32_e32 v4, 0x80000000, v28
	v_lshlrev_b32_e32 v1, 21, v1
	v_or3_b32 v1, v4, v5, v1
.LBB6_3558:                             ;   in Loop: Header=BB6_3292 Depth=3
	s_or_b32 exec_lo, exec_lo, s16
	v_cmp_gt_i16_sdwa s16, v39, v59 src0_sel:BYTE_1 src1_sel:DWORD
	s_mov_b32 s19, 0
	s_and_saveexec_b32 s22, s16
	s_xor_b32 s16, exec_lo, s22
	s_cbranch_execz .LBB6_4624
; %bb.3559:                             ;   in Loop: Header=BB6_3292 Depth=3
	v_cmp_eq_u16_sdwa s23, v39, v60 src0_sel:BYTE_1 src1_sel:DWORD
	s_mov_b32 s19, -1
	s_and_saveexec_b32 s22, s23
; %bb.3560:                             ;   in Loop: Header=BB6_3292 Depth=3
	s_xor_b32 s19, exec_lo, -1
; %bb.3561:                             ;   in Loop: Header=BB6_3292 Depth=3
	s_or_b32 exec_lo, exec_lo, s22
	s_and_b32 s19, s19, exec_lo
	s_or_saveexec_b32 s16, s16
	v_mov_b32_e32 v4, 0x7f800001
	s_xor_b32 exec_lo, exec_lo, s16
	s_cbranch_execnz .LBB6_4625
.LBB6_3562:                             ;   in Loop: Header=BB6_3292 Depth=3
	s_or_b32 exec_lo, exec_lo, s16
	s_and_saveexec_b32 s16, s19
	s_cbranch_execz .LBB6_3564
.LBB6_3563:                             ;   in Loop: Header=BB6_3292 Depth=3
	v_and_b32_sdwa v4, v61, v39 dst_sel:DWORD dst_unused:UNUSED_PAD src0_sel:DWORD src1_sel:BYTE_1
	v_and_b32_e32 v5, 3, v4
	v_bfe_u32 v31, v4, 2, 5
	v_ffbh_u32_e32 v28, v5
	v_cmp_eq_u32_e32 vcc_lo, 0, v31
	v_min_u32_e32 v28, 32, v28
	v_subrev_nc_u32_e32 v29, 29, v28
	v_sub_nc_u32_e32 v28, 30, v28
	v_lshlrev_b32_e32 v4, v29, v4
	v_lshlrev_b32_sdwa v29, v62, v39 dst_sel:DWORD dst_unused:UNUSED_PAD src0_sel:DWORD src1_sel:BYTE_1
	v_cndmask_b32_e32 v28, v31, v28, vcc_lo
	v_and_b32_e32 v4, 3, v4
	v_lshl_add_u32 v28, v28, 23, 0x37800000
	v_cndmask_b32_e32 v4, v5, v4, vcc_lo
	v_and_b32_e32 v5, 0x80000000, v29
	v_lshlrev_b32_e32 v4, 21, v4
	v_or3_b32 v4, v5, v28, v4
.LBB6_3564:                             ;   in Loop: Header=BB6_3292 Depth=3
	s_or_b32 exec_lo, exec_lo, s16
	v_mul_f32_e32 v1, v1, v4
	v_mov_b32_e32 v54, 0x8000
	s_mov_b32 s19, exec_lo
	v_and_b32_e32 v4, 0x7f800000, v1
	v_cmpx_ne_u32_e32 0x7f800000, v4
	s_cbranch_execz .LBB6_3572
; %bb.3565:                             ;   in Loop: Header=BB6_3292 Depth=3
	v_mov_b32_e32 v54, 0
	s_mov_b32 s22, exec_lo
	v_cmpx_ne_u32_e32 0, v1
	s_cbranch_execz .LBB6_3571
; %bb.3566:                             ;   in Loop: Header=BB6_3292 Depth=3
	v_bfe_u32 v5, v1, 23, 8
	v_and_b32_e32 v4, 0x7fffff, v1
	v_cmp_gt_u32_e64 s16, 0x71, v5
	v_sub_nc_u32_e32 v28, 0x70, v5
	v_cmp_eq_u32_e32 vcc_lo, 0, v5
	v_or_b32_e32 v29, 0x800000, v4
	v_cndmask_b32_e64 v28, 0, v28, s16
	v_cndmask_b32_e32 v4, v29, v4, vcc_lo
	v_cndmask_b32_e64 v28, v28, 0x6f, vcc_lo
	v_lshl_add_u32 v29, 0x200000, v28, -1
	v_lshlrev_b32_e64 v31, v28, 0x100000
	v_and_b32_e32 v29, v29, v4
	v_cmp_eq_u32_e64 s16, v29, v31
	v_lshrrev_b32_e32 v29, v28, v4
	v_add_nc_u32_e32 v4, 0xffffff91, v5
	v_lshrrev_b32_e32 v5, 23, v29
	v_cndmask_b32_e64 v4, v4, 0xffffff92, vcc_lo
	v_xor_b32_e32 v5, 1, v5
	v_add_nc_u32_e32 v4, v28, v4
	v_bfe_u32 v28, v29, 21, 1
	v_add_nc_u32_e32 v28, -1, v28
	v_cndmask_b32_e64 v28, 0, v28, s16
	s_mov_b32 s16, exec_lo
	v_add_nc_u32_e32 v28, v28, v29
	v_and_b32_e32 v28, 0x1fffff, v28
	v_add_nc_u32_e32 v28, v28, v29
                                        ; implicit-def: $vgpr29
	v_cmpx_ne_u32_e64 v4, v5
	s_xor_b32 s16, exec_lo, s16
; %bb.3567:                             ;   in Loop: Header=BB6_3292 Depth=3
	v_cmp_lt_u32_e32 vcc_lo, 0xffffff, v28
	v_sub_nc_u32_e32 v4, v4, v5
	v_cndmask_b32_e64 v5, 0, 1, vcc_lo
	v_add_co_ci_u32_e64 v29, null, 0, v4, vcc_lo
	v_lshrrev_b32_e32 v28, v5, v28
; %bb.3568:                             ;   in Loop: Header=BB6_3292 Depth=3
	s_andn2_saveexec_b32 s16, s16
; %bb.3569:                             ;   in Loop: Header=BB6_3292 Depth=3
	v_bfe_u32 v29, v28, 23, 1
; %bb.3570:                             ;   in Loop: Header=BB6_3292 Depth=3
	s_or_b32 exec_lo, exec_lo, s16
	v_lshrrev_b32_e32 v4, 21, v28
	v_min_i32_e32 v5, 31, v29
	v_cmp_gt_i32_e32 vcc_lo, 32, v29
	v_and_b32_sdwa v1, v1, v60 dst_sel:DWORD dst_unused:UNUSED_PAD src0_sel:BYTE_3 src1_sel:DWORD
	v_lshlrev_b32_e32 v5, 2, v5
	v_cndmask_b32_e32 v4, 3, v4, vcc_lo
	v_and_b32_e32 v5, 0xfc, v5
	v_or_b32_e32 v28, v29, v4
	v_and_b32_e32 v4, 3, v4
	v_cmp_ne_u32_e32 vcc_lo, 0, v28
	v_or3_b32 v1, v1, v5, v4
	v_lshlrev_b32_e32 v1, 8, v1
	v_cndmask_b32_e32 v54, 0, v1, vcc_lo
.LBB6_3571:                             ;   in Loop: Header=BB6_3292 Depth=3
	s_or_b32 exec_lo, exec_lo, s22
.LBB6_3572:                             ;   in Loop: Header=BB6_3292 Depth=3
	s_or_b32 exec_lo, exec_lo, s19
	v_and_b32_sdwa v4, v51, v63 dst_sel:DWORD dst_unused:UNUSED_PAD src0_sel:WORD_1 src1_sel:DWORD
	s_mov_b32 s19, 0
	s_mov_b32 s16, exec_lo
	v_cmpx_lt_i16_e32 0x7f, v4
	s_xor_b32 s16, exec_lo, s16
	s_cbranch_execz .LBB6_4626
; %bb.3573:                             ;   in Loop: Header=BB6_3292 Depth=3
	s_mov_b32 s19, -1
	s_mov_b32 s22, exec_lo
	v_cmpx_eq_u16_e32 0x80, v4
; %bb.3574:                             ;   in Loop: Header=BB6_3292 Depth=3
	s_xor_b32 s19, exec_lo, -1
; %bb.3575:                             ;   in Loop: Header=BB6_3292 Depth=3
	s_or_b32 exec_lo, exec_lo, s22
	s_and_b32 s19, s19, exec_lo
                                        ; implicit-def: $vgpr4
	s_or_saveexec_b32 s16, s16
	v_mov_b32_e32 v1, 0x7f800001
	s_xor_b32 exec_lo, exec_lo, s16
	s_cbranch_execnz .LBB6_4627
.LBB6_3576:                             ;   in Loop: Header=BB6_3292 Depth=3
	s_or_b32 exec_lo, exec_lo, s16
	s_and_saveexec_b32 s16, s19
	s_cbranch_execz .LBB6_3578
.LBB6_3577:                             ;   in Loop: Header=BB6_3292 Depth=3
	v_bfe_u32 v1, v51, 16, 2
	v_bfe_u32 v4, v51, 18, 5
	v_ffbh_u32_e32 v5, v1
	v_cmp_eq_u32_e32 vcc_lo, 0, v4
	v_min_u32_e32 v5, 32, v5
	v_subrev_nc_u32_e32 v28, 29, v5
	v_sub_nc_u32_e32 v5, 30, v5
	v_lshlrev_b32_sdwa v28, v28, v51 dst_sel:DWORD dst_unused:UNUSED_PAD src0_sel:DWORD src1_sel:WORD_1
	v_cndmask_b32_e32 v4, v4, v5, vcc_lo
	v_lshlrev_b32_e32 v5, 8, v51
	v_and_b32_e32 v28, 3, v28
	v_lshl_add_u32 v4, v4, 23, 0x37800000
	v_and_b32_e32 v5, 0x80000000, v5
	v_cndmask_b32_e32 v1, v1, v28, vcc_lo
	v_lshlrev_b32_e32 v1, 21, v1
	v_or3_b32 v1, v5, v4, v1
.LBB6_3578:                             ;   in Loop: Header=BB6_3292 Depth=3
	s_or_b32 exec_lo, exec_lo, s16
	v_and_b32_sdwa v5, v39, v63 dst_sel:DWORD dst_unused:UNUSED_PAD src0_sel:WORD_1 src1_sel:DWORD
	s_mov_b32 s19, 0
	s_mov_b32 s16, exec_lo
	v_cmpx_lt_i16_e32 0x7f, v5
	s_xor_b32 s16, exec_lo, s16
	s_cbranch_execz .LBB6_4628
; %bb.3579:                             ;   in Loop: Header=BB6_3292 Depth=3
	s_mov_b32 s19, -1
	s_mov_b32 s22, exec_lo
	v_cmpx_eq_u16_e32 0x80, v5
; %bb.3580:                             ;   in Loop: Header=BB6_3292 Depth=3
	s_xor_b32 s19, exec_lo, -1
; %bb.3581:                             ;   in Loop: Header=BB6_3292 Depth=3
	s_or_b32 exec_lo, exec_lo, s22
	s_and_b32 s19, s19, exec_lo
                                        ; implicit-def: $vgpr5
	s_or_saveexec_b32 s16, s16
	v_mov_b32_e32 v4, 0x7f800001
	s_xor_b32 exec_lo, exec_lo, s16
	s_cbranch_execnz .LBB6_4629
.LBB6_3582:                             ;   in Loop: Header=BB6_3292 Depth=3
	s_or_b32 exec_lo, exec_lo, s16
	s_and_saveexec_b32 s16, s19
	s_cbranch_execz .LBB6_3584
.LBB6_3583:                             ;   in Loop: Header=BB6_3292 Depth=3
	v_bfe_u32 v4, v39, 16, 2
	v_bfe_u32 v5, v39, 18, 5
	v_ffbh_u32_e32 v28, v4
	v_cmp_eq_u32_e32 vcc_lo, 0, v5
	v_min_u32_e32 v28, 32, v28
	v_subrev_nc_u32_e32 v29, 29, v28
	v_sub_nc_u32_e32 v28, 30, v28
	v_lshlrev_b32_sdwa v29, v29, v39 dst_sel:DWORD dst_unused:UNUSED_PAD src0_sel:DWORD src1_sel:WORD_1
	v_cndmask_b32_e32 v5, v5, v28, vcc_lo
	v_lshlrev_b32_e32 v28, 8, v39
	v_and_b32_e32 v29, 3, v29
	v_lshl_add_u32 v5, v5, 23, 0x37800000
	v_and_b32_e32 v28, 0x80000000, v28
	v_cndmask_b32_e32 v4, v4, v29, vcc_lo
	v_lshlrev_b32_e32 v4, 21, v4
	v_or3_b32 v4, v28, v5, v4
.LBB6_3584:                             ;   in Loop: Header=BB6_3292 Depth=3
	s_or_b32 exec_lo, exec_lo, s16
	v_mul_f32_e32 v1, v1, v4
	v_mov_b32_e32 v55, 0x80
	s_mov_b32 s19, exec_lo
	v_and_b32_e32 v4, 0x7f800000, v1
	v_cmpx_ne_u32_e32 0x7f800000, v4
	s_cbranch_execz .LBB6_3592
; %bb.3585:                             ;   in Loop: Header=BB6_3292 Depth=3
	v_mov_b32_e32 v55, 0
	s_mov_b32 s22, exec_lo
	v_cmpx_ne_u32_e32 0, v1
	s_cbranch_execz .LBB6_3591
; %bb.3586:                             ;   in Loop: Header=BB6_3292 Depth=3
	v_bfe_u32 v5, v1, 23, 8
	v_and_b32_e32 v4, 0x7fffff, v1
	v_cmp_gt_u32_e64 s16, 0x71, v5
	v_sub_nc_u32_e32 v28, 0x70, v5
	v_cmp_eq_u32_e32 vcc_lo, 0, v5
	v_or_b32_e32 v29, 0x800000, v4
	v_cndmask_b32_e64 v28, 0, v28, s16
	v_cndmask_b32_e32 v4, v29, v4, vcc_lo
	v_cndmask_b32_e64 v28, v28, 0x6f, vcc_lo
	v_lshl_add_u32 v29, 0x200000, v28, -1
	v_lshlrev_b32_e64 v31, v28, 0x100000
	v_and_b32_e32 v29, v29, v4
	v_cmp_eq_u32_e64 s16, v29, v31
	v_lshrrev_b32_e32 v29, v28, v4
	v_add_nc_u32_e32 v4, 0xffffff91, v5
	v_lshrrev_b32_e32 v5, 23, v29
	v_cndmask_b32_e64 v4, v4, 0xffffff92, vcc_lo
	v_xor_b32_e32 v5, 1, v5
	v_add_nc_u32_e32 v4, v28, v4
	v_bfe_u32 v28, v29, 21, 1
	v_add_nc_u32_e32 v28, -1, v28
	v_cndmask_b32_e64 v28, 0, v28, s16
	s_mov_b32 s16, exec_lo
	v_add_nc_u32_e32 v28, v28, v29
	v_and_b32_e32 v28, 0x1fffff, v28
	v_add_nc_u32_e32 v28, v28, v29
                                        ; implicit-def: $vgpr29
	v_cmpx_ne_u32_e64 v4, v5
	s_xor_b32 s16, exec_lo, s16
; %bb.3587:                             ;   in Loop: Header=BB6_3292 Depth=3
	v_cmp_lt_u32_e32 vcc_lo, 0xffffff, v28
	v_sub_nc_u32_e32 v4, v4, v5
	v_cndmask_b32_e64 v5, 0, 1, vcc_lo
	v_add_co_ci_u32_e64 v29, null, 0, v4, vcc_lo
	v_lshrrev_b32_e32 v28, v5, v28
; %bb.3588:                             ;   in Loop: Header=BB6_3292 Depth=3
	s_andn2_saveexec_b32 s16, s16
; %bb.3589:                             ;   in Loop: Header=BB6_3292 Depth=3
	v_bfe_u32 v29, v28, 23, 1
; %bb.3590:                             ;   in Loop: Header=BB6_3292 Depth=3
	s_or_b32 exec_lo, exec_lo, s16
	v_lshrrev_b32_e32 v4, 21, v28
	v_min_i32_e32 v5, 31, v29
	v_cmp_gt_i32_e32 vcc_lo, 32, v29
	v_and_b32_sdwa v1, v1, v60 dst_sel:DWORD dst_unused:UNUSED_PAD src0_sel:BYTE_3 src1_sel:DWORD
	v_lshlrev_b32_e32 v5, 2, v5
	v_cndmask_b32_e32 v4, 3, v4, vcc_lo
	v_and_b32_e32 v5, 0xfc, v5
	v_or_b32_e32 v28, v29, v4
	v_and_b32_e32 v4, 3, v4
	v_cmp_ne_u32_e32 vcc_lo, 0, v28
	v_or3_b32 v1, v5, v1, v4
	v_cndmask_b32_e32 v55, 0, v1, vcc_lo
.LBB6_3591:                             ;   in Loop: Header=BB6_3292 Depth=3
	s_or_b32 exec_lo, exec_lo, s22
.LBB6_3592:                             ;   in Loop: Header=BB6_3292 Depth=3
	s_or_b32 exec_lo, exec_lo, s19
	v_cmp_gt_i16_sdwa s16, v51, v59 src0_sel:BYTE_3 src1_sel:DWORD
	s_mov_b32 s19, 0
	s_and_saveexec_b32 s22, s16
	s_xor_b32 s16, exec_lo, s22
	s_cbranch_execz .LBB6_4630
; %bb.3593:                             ;   in Loop: Header=BB6_3292 Depth=3
	v_cmp_eq_u16_sdwa s23, v51, v60 src0_sel:BYTE_3 src1_sel:DWORD
	s_mov_b32 s19, -1
	s_and_saveexec_b32 s22, s23
; %bb.3594:                             ;   in Loop: Header=BB6_3292 Depth=3
	s_xor_b32 s19, exec_lo, -1
; %bb.3595:                             ;   in Loop: Header=BB6_3292 Depth=3
	s_or_b32 exec_lo, exec_lo, s22
	s_and_b32 s19, s19, exec_lo
	s_or_saveexec_b32 s16, s16
	v_mov_b32_e32 v1, 0x7f800001
	s_xor_b32 exec_lo, exec_lo, s16
	s_cbranch_execnz .LBB6_4631
.LBB6_3596:                             ;   in Loop: Header=BB6_3292 Depth=3
	s_or_b32 exec_lo, exec_lo, s16
	s_and_saveexec_b32 s16, s19
	s_cbranch_execz .LBB6_3598
.LBB6_3597:                             ;   in Loop: Header=BB6_3292 Depth=3
	v_bfe_u32 v1, v51, 24, 2
	v_bfe_u32 v28, v51, 26, 5
	v_ffbh_u32_e32 v4, v1
	v_cmp_eq_u32_e32 vcc_lo, 0, v28
	v_min_u32_e32 v4, 32, v4
	v_subrev_nc_u32_e32 v5, 29, v4
	v_sub_nc_u32_e32 v4, 30, v4
	v_lshlrev_b32_sdwa v5, v5, v51 dst_sel:DWORD dst_unused:UNUSED_PAD src0_sel:DWORD src1_sel:BYTE_3
	v_cndmask_b32_e32 v4, v28, v4, vcc_lo
	v_and_b32_e32 v5, 3, v5
	v_lshl_add_u32 v4, v4, 23, 0x37800000
	v_cndmask_b32_e32 v1, v1, v5, vcc_lo
	v_and_b32_e32 v5, 0x80000000, v51
	v_lshlrev_b32_e32 v1, 21, v1
	v_or3_b32 v1, v5, v4, v1
.LBB6_3598:                             ;   in Loop: Header=BB6_3292 Depth=3
	s_or_b32 exec_lo, exec_lo, s16
	v_cmp_gt_i16_sdwa s16, v39, v59 src0_sel:BYTE_3 src1_sel:DWORD
	s_mov_b32 s19, 0
	s_and_saveexec_b32 s22, s16
	s_xor_b32 s16, exec_lo, s22
	s_cbranch_execz .LBB6_4632
; %bb.3599:                             ;   in Loop: Header=BB6_3292 Depth=3
	v_cmp_eq_u16_sdwa s23, v39, v60 src0_sel:BYTE_3 src1_sel:DWORD
	s_mov_b32 s19, -1
	s_and_saveexec_b32 s22, s23
; %bb.3600:                             ;   in Loop: Header=BB6_3292 Depth=3
	s_xor_b32 s19, exec_lo, -1
; %bb.3601:                             ;   in Loop: Header=BB6_3292 Depth=3
	s_or_b32 exec_lo, exec_lo, s22
	s_and_b32 s19, s19, exec_lo
	s_or_saveexec_b32 s16, s16
	v_mov_b32_e32 v4, 0x7f800001
	s_xor_b32 exec_lo, exec_lo, s16
	s_cbranch_execnz .LBB6_4633
.LBB6_3602:                             ;   in Loop: Header=BB6_3292 Depth=3
	s_or_b32 exec_lo, exec_lo, s16
	s_and_saveexec_b32 s16, s19
	s_cbranch_execz .LBB6_3604
.LBB6_3603:                             ;   in Loop: Header=BB6_3292 Depth=3
	v_bfe_u32 v4, v39, 24, 2
	v_bfe_u32 v29, v39, 26, 5
	v_ffbh_u32_e32 v5, v4
	v_cmp_eq_u32_e32 vcc_lo, 0, v29
	v_min_u32_e32 v5, 32, v5
	v_subrev_nc_u32_e32 v28, 29, v5
	v_sub_nc_u32_e32 v5, 30, v5
	v_lshlrev_b32_sdwa v28, v28, v39 dst_sel:DWORD dst_unused:UNUSED_PAD src0_sel:DWORD src1_sel:BYTE_3
	v_cndmask_b32_e32 v5, v29, v5, vcc_lo
	v_and_b32_e32 v28, 3, v28
	v_lshl_add_u32 v5, v5, 23, 0x37800000
	v_cndmask_b32_e32 v4, v4, v28, vcc_lo
	v_and_b32_e32 v28, 0x80000000, v39
	v_lshlrev_b32_e32 v4, 21, v4
	v_or3_b32 v4, v28, v5, v4
.LBB6_3604:                             ;   in Loop: Header=BB6_3292 Depth=3
	s_or_b32 exec_lo, exec_lo, s16
	v_mul_f32_e32 v1, v1, v4
	v_mov_b32_e32 v39, 0x8000
	s_mov_b32 s19, exec_lo
	v_and_b32_e32 v4, 0x7f800000, v1
	v_cmpx_ne_u32_e32 0x7f800000, v4
	s_cbranch_execz .LBB6_3612
; %bb.3605:                             ;   in Loop: Header=BB6_3292 Depth=3
	v_mov_b32_e32 v39, 0
	s_mov_b32 s22, exec_lo
	v_cmpx_ne_u32_e32 0, v1
	s_cbranch_execz .LBB6_3611
; %bb.3606:                             ;   in Loop: Header=BB6_3292 Depth=3
	v_bfe_u32 v5, v1, 23, 8
	v_and_b32_e32 v4, 0x7fffff, v1
	v_cmp_gt_u32_e64 s16, 0x71, v5
	v_sub_nc_u32_e32 v28, 0x70, v5
	v_cmp_eq_u32_e32 vcc_lo, 0, v5
	v_or_b32_e32 v29, 0x800000, v4
	v_cndmask_b32_e64 v28, 0, v28, s16
	v_cndmask_b32_e32 v4, v29, v4, vcc_lo
	v_cndmask_b32_e64 v28, v28, 0x6f, vcc_lo
	v_lshl_add_u32 v29, 0x200000, v28, -1
	v_lshlrev_b32_e64 v31, v28, 0x100000
	v_and_b32_e32 v29, v29, v4
	v_cmp_eq_u32_e64 s16, v29, v31
	v_lshrrev_b32_e32 v29, v28, v4
	v_add_nc_u32_e32 v4, 0xffffff91, v5
	v_lshrrev_b32_e32 v5, 23, v29
	v_cndmask_b32_e64 v4, v4, 0xffffff92, vcc_lo
	v_xor_b32_e32 v5, 1, v5
	v_add_nc_u32_e32 v4, v28, v4
	v_bfe_u32 v28, v29, 21, 1
	v_add_nc_u32_e32 v28, -1, v28
	v_cndmask_b32_e64 v28, 0, v28, s16
	s_mov_b32 s16, exec_lo
	v_add_nc_u32_e32 v28, v28, v29
	v_and_b32_e32 v28, 0x1fffff, v28
	v_add_nc_u32_e32 v28, v28, v29
                                        ; implicit-def: $vgpr29
	v_cmpx_ne_u32_e64 v4, v5
	s_xor_b32 s16, exec_lo, s16
; %bb.3607:                             ;   in Loop: Header=BB6_3292 Depth=3
	v_cmp_lt_u32_e32 vcc_lo, 0xffffff, v28
	v_sub_nc_u32_e32 v4, v4, v5
	v_cndmask_b32_e64 v5, 0, 1, vcc_lo
	v_add_co_ci_u32_e64 v29, null, 0, v4, vcc_lo
	v_lshrrev_b32_e32 v28, v5, v28
; %bb.3608:                             ;   in Loop: Header=BB6_3292 Depth=3
	s_andn2_saveexec_b32 s16, s16
; %bb.3609:                             ;   in Loop: Header=BB6_3292 Depth=3
	v_bfe_u32 v29, v28, 23, 1
; %bb.3610:                             ;   in Loop: Header=BB6_3292 Depth=3
	s_or_b32 exec_lo, exec_lo, s16
	v_lshrrev_b32_e32 v4, 21, v28
	v_min_i32_e32 v5, 31, v29
	v_cmp_gt_i32_e32 vcc_lo, 32, v29
	v_and_b32_sdwa v1, v1, v60 dst_sel:DWORD dst_unused:UNUSED_PAD src0_sel:BYTE_3 src1_sel:DWORD
	v_lshlrev_b32_e32 v5, 2, v5
	v_cndmask_b32_e32 v4, 3, v4, vcc_lo
	v_and_b32_e32 v5, 0xfc, v5
	v_or_b32_e32 v28, v29, v4
	v_and_b32_e32 v4, 3, v4
	v_cmp_ne_u32_e32 vcc_lo, 0, v28
	v_or3_b32 v1, v1, v5, v4
	v_lshlrev_b32_e32 v1, 8, v1
	v_cndmask_b32_e32 v39, 0, v1, vcc_lo
.LBB6_3611:                             ;   in Loop: Header=BB6_3292 Depth=3
	s_or_b32 exec_lo, exec_lo, s22
.LBB6_3612:                             ;   in Loop: Header=BB6_3292 Depth=3
	s_or_b32 exec_lo, exec_lo, s19
	v_cmp_gt_i16_sdwa s16, v32, v59 src0_sel:BYTE_0 src1_sel:DWORD
	s_mov_b32 s19, 0
	s_and_saveexec_b32 s22, s16
	s_xor_b32 s16, exec_lo, s22
	s_cbranch_execz .LBB6_4634
; %bb.3613:                             ;   in Loop: Header=BB6_3292 Depth=3
	v_cmp_eq_u16_sdwa s23, v32, v60 src0_sel:BYTE_0 src1_sel:DWORD
	s_mov_b32 s19, -1
	s_and_saveexec_b32 s22, s23
; %bb.3614:                             ;   in Loop: Header=BB6_3292 Depth=3
	s_xor_b32 s19, exec_lo, -1
; %bb.3615:                             ;   in Loop: Header=BB6_3292 Depth=3
	s_or_b32 exec_lo, exec_lo, s22
	s_and_b32 s19, s19, exec_lo
	s_or_saveexec_b32 s16, s16
	v_mov_b32_e32 v1, 0x7f800001
	s_xor_b32 exec_lo, exec_lo, s16
	s_cbranch_execnz .LBB6_4635
.LBB6_3616:                             ;   in Loop: Header=BB6_3292 Depth=3
	s_or_b32 exec_lo, exec_lo, s16
	s_and_saveexec_b32 s16, s19
	s_cbranch_execz .LBB6_3618
.LBB6_3617:                             ;   in Loop: Header=BB6_3292 Depth=3
	v_and_b32_e32 v1, 3, v32
	v_bfe_u32 v4, v32, 2, 5
	v_ffbh_u32_e32 v5, v1
	v_cmp_eq_u32_e32 vcc_lo, 0, v4
	v_min_u32_e32 v5, 32, v5
	v_subrev_nc_u32_e32 v28, 29, v5
	v_sub_nc_u32_e32 v5, 30, v5
	v_lshlrev_b32_e32 v28, v28, v32
	v_cndmask_b32_e32 v4, v4, v5, vcc_lo
	v_lshlrev_b32_e32 v5, 24, v32
	v_and_b32_e32 v28, 3, v28
	v_lshl_add_u32 v4, v4, 23, 0x37800000
	v_and_b32_e32 v5, 0x80000000, v5
	v_cndmask_b32_e32 v1, v1, v28, vcc_lo
	v_lshlrev_b32_e32 v1, 21, v1
	v_or3_b32 v1, v5, v4, v1
.LBB6_3618:                             ;   in Loop: Header=BB6_3292 Depth=3
	s_or_b32 exec_lo, exec_lo, s16
	s_waitcnt vmcnt(2)
	v_cmp_gt_i16_sdwa s16, v24, v59 src0_sel:BYTE_0 src1_sel:DWORD
	s_mov_b32 s19, 0
	s_and_saveexec_b32 s22, s16
	s_xor_b32 s16, exec_lo, s22
	s_cbranch_execz .LBB6_4636
; %bb.3619:                             ;   in Loop: Header=BB6_3292 Depth=3
	v_cmp_eq_u16_sdwa s23, v24, v60 src0_sel:BYTE_0 src1_sel:DWORD
	s_mov_b32 s19, -1
	s_and_saveexec_b32 s22, s23
; %bb.3620:                             ;   in Loop: Header=BB6_3292 Depth=3
	s_xor_b32 s19, exec_lo, -1
; %bb.3621:                             ;   in Loop: Header=BB6_3292 Depth=3
	s_or_b32 exec_lo, exec_lo, s22
	s_and_b32 s19, s19, exec_lo
	s_or_saveexec_b32 s16, s16
	v_mov_b32_e32 v4, 0x7f800001
	s_xor_b32 exec_lo, exec_lo, s16
	s_cbranch_execnz .LBB6_4637
.LBB6_3622:                             ;   in Loop: Header=BB6_3292 Depth=3
	s_or_b32 exec_lo, exec_lo, s16
	s_and_saveexec_b32 s16, s19
	s_cbranch_execz .LBB6_3624
.LBB6_3623:                             ;   in Loop: Header=BB6_3292 Depth=3
	v_and_b32_e32 v4, 3, v24
	v_bfe_u32 v5, v24, 2, 5
	v_ffbh_u32_e32 v28, v4
	v_cmp_eq_u32_e32 vcc_lo, 0, v5
	v_min_u32_e32 v28, 32, v28
	v_subrev_nc_u32_e32 v29, 29, v28
	v_sub_nc_u32_e32 v28, 30, v28
	v_lshlrev_b32_e32 v29, v29, v24
	v_cndmask_b32_e32 v5, v5, v28, vcc_lo
	v_lshlrev_b32_e32 v28, 24, v24
	v_and_b32_e32 v29, 3, v29
	v_lshl_add_u32 v5, v5, 23, 0x37800000
	v_and_b32_e32 v28, 0x80000000, v28
	v_cndmask_b32_e32 v4, v4, v29, vcc_lo
	v_lshlrev_b32_e32 v4, 21, v4
	v_or3_b32 v4, v28, v5, v4
.LBB6_3624:                             ;   in Loop: Header=BB6_3292 Depth=3
	s_or_b32 exec_lo, exec_lo, s16
	v_mul_f32_e32 v1, v1, v4
	v_mov_b32_e32 v51, 0x80
	s_mov_b32 s19, exec_lo
	v_and_b32_e32 v4, 0x7f800000, v1
	v_cmpx_ne_u32_e32 0x7f800000, v4
	s_cbranch_execz .LBB6_3632
; %bb.3625:                             ;   in Loop: Header=BB6_3292 Depth=3
	v_mov_b32_e32 v51, 0
	s_mov_b32 s22, exec_lo
	v_cmpx_ne_u32_e32 0, v1
	s_cbranch_execz .LBB6_3631
; %bb.3626:                             ;   in Loop: Header=BB6_3292 Depth=3
	v_bfe_u32 v5, v1, 23, 8
	v_and_b32_e32 v4, 0x7fffff, v1
	v_cmp_gt_u32_e64 s16, 0x71, v5
	v_sub_nc_u32_e32 v28, 0x70, v5
	v_cmp_eq_u32_e32 vcc_lo, 0, v5
	v_or_b32_e32 v29, 0x800000, v4
	v_cndmask_b32_e64 v28, 0, v28, s16
	v_cndmask_b32_e32 v4, v29, v4, vcc_lo
	v_cndmask_b32_e64 v28, v28, 0x6f, vcc_lo
	v_lshl_add_u32 v29, 0x200000, v28, -1
	v_lshlrev_b32_e64 v31, v28, 0x100000
	v_and_b32_e32 v29, v29, v4
	v_cmp_eq_u32_e64 s16, v29, v31
	v_lshrrev_b32_e32 v29, v28, v4
	v_add_nc_u32_e32 v4, 0xffffff91, v5
	v_lshrrev_b32_e32 v5, 23, v29
	v_cndmask_b32_e64 v4, v4, 0xffffff92, vcc_lo
	v_xor_b32_e32 v5, 1, v5
	v_add_nc_u32_e32 v4, v28, v4
	v_bfe_u32 v28, v29, 21, 1
	v_add_nc_u32_e32 v28, -1, v28
	v_cndmask_b32_e64 v28, 0, v28, s16
	s_mov_b32 s16, exec_lo
	v_add_nc_u32_e32 v28, v28, v29
	v_and_b32_e32 v28, 0x1fffff, v28
	v_add_nc_u32_e32 v28, v28, v29
                                        ; implicit-def: $vgpr29
	v_cmpx_ne_u32_e64 v4, v5
	s_xor_b32 s16, exec_lo, s16
; %bb.3627:                             ;   in Loop: Header=BB6_3292 Depth=3
	v_cmp_lt_u32_e32 vcc_lo, 0xffffff, v28
	v_sub_nc_u32_e32 v4, v4, v5
	v_cndmask_b32_e64 v5, 0, 1, vcc_lo
	v_add_co_ci_u32_e64 v29, null, 0, v4, vcc_lo
	v_lshrrev_b32_e32 v28, v5, v28
; %bb.3628:                             ;   in Loop: Header=BB6_3292 Depth=3
	s_andn2_saveexec_b32 s16, s16
; %bb.3629:                             ;   in Loop: Header=BB6_3292 Depth=3
	v_bfe_u32 v29, v28, 23, 1
; %bb.3630:                             ;   in Loop: Header=BB6_3292 Depth=3
	s_or_b32 exec_lo, exec_lo, s16
	v_lshrrev_b32_e32 v4, 21, v28
	v_min_i32_e32 v5, 31, v29
	v_cmp_gt_i32_e32 vcc_lo, 32, v29
	v_and_b32_sdwa v1, v1, v60 dst_sel:DWORD dst_unused:UNUSED_PAD src0_sel:BYTE_3 src1_sel:DWORD
	v_lshlrev_b32_e32 v5, 2, v5
	v_cndmask_b32_e32 v4, 3, v4, vcc_lo
	v_and_b32_e32 v5, 0xfc, v5
	v_or_b32_e32 v28, v29, v4
	v_and_b32_e32 v4, 3, v4
	v_cmp_ne_u32_e32 vcc_lo, 0, v28
	v_or3_b32 v1, v5, v1, v4
	v_cndmask_b32_e32 v51, 0, v1, vcc_lo
.LBB6_3631:                             ;   in Loop: Header=BB6_3292 Depth=3
	s_or_b32 exec_lo, exec_lo, s22
.LBB6_3632:                             ;   in Loop: Header=BB6_3292 Depth=3
	s_or_b32 exec_lo, exec_lo, s19
	v_cmp_gt_i16_sdwa s19, v32, v59 src0_sel:BYTE_1 src1_sel:DWORD
	s_mov_b32 s16, 0
	s_and_saveexec_b32 s22, s19
	s_xor_b32 s19, exec_lo, s22
	s_cbranch_execz .LBB6_4638
; %bb.3633:                             ;   in Loop: Header=BB6_3292 Depth=3
	v_cmp_eq_u16_sdwa s23, v32, v60 src0_sel:BYTE_1 src1_sel:DWORD
	s_mov_b32 s16, -1
	s_and_saveexec_b32 s22, s23
; %bb.3634:                             ;   in Loop: Header=BB6_3292 Depth=3
	s_xor_b32 s16, exec_lo, -1
; %bb.3635:                             ;   in Loop: Header=BB6_3292 Depth=3
	s_or_b32 exec_lo, exec_lo, s22
	s_and_b32 s16, s16, exec_lo
	s_or_saveexec_b32 s19, s19
	v_mov_b32_e32 v1, 0x7f800001
	s_xor_b32 exec_lo, exec_lo, s19
	s_cbranch_execnz .LBB6_4639
.LBB6_3636:                             ;   in Loop: Header=BB6_3292 Depth=3
	s_or_b32 exec_lo, exec_lo, s19
	s_and_saveexec_b32 s19, s16
	s_cbranch_execz .LBB6_3638
.LBB6_3637:                             ;   in Loop: Header=BB6_3292 Depth=3
	v_and_b32_sdwa v1, v61, v32 dst_sel:DWORD dst_unused:UNUSED_PAD src0_sel:DWORD src1_sel:BYTE_1
	v_and_b32_e32 v4, 3, v1
	v_bfe_u32 v29, v1, 2, 5
	v_ffbh_u32_e32 v5, v4
	v_cmp_eq_u32_e32 vcc_lo, 0, v29
	v_min_u32_e32 v5, 32, v5
	v_subrev_nc_u32_e32 v28, 29, v5
	v_sub_nc_u32_e32 v5, 30, v5
	v_lshlrev_b32_e32 v1, v28, v1
	v_lshlrev_b32_sdwa v28, v62, v32 dst_sel:DWORD dst_unused:UNUSED_PAD src0_sel:DWORD src1_sel:BYTE_1
	v_cndmask_b32_e32 v5, v29, v5, vcc_lo
	v_and_b32_e32 v1, 3, v1
	v_lshl_add_u32 v5, v5, 23, 0x37800000
	v_cndmask_b32_e32 v1, v4, v1, vcc_lo
	v_and_b32_e32 v4, 0x80000000, v28
	v_lshlrev_b32_e32 v1, 21, v1
	v_or3_b32 v1, v4, v5, v1
.LBB6_3638:                             ;   in Loop: Header=BB6_3292 Depth=3
	s_or_b32 exec_lo, exec_lo, s19
	v_cmp_gt_i16_sdwa s19, v24, v59 src0_sel:BYTE_1 src1_sel:DWORD
	s_mov_b32 s16, 0
	s_and_saveexec_b32 s22, s19
	s_xor_b32 s19, exec_lo, s22
	s_cbranch_execz .LBB6_4640
; %bb.3639:                             ;   in Loop: Header=BB6_3292 Depth=3
	v_cmp_eq_u16_sdwa s23, v24, v60 src0_sel:BYTE_1 src1_sel:DWORD
	s_mov_b32 s16, -1
	s_and_saveexec_b32 s22, s23
; %bb.3640:                             ;   in Loop: Header=BB6_3292 Depth=3
	s_xor_b32 s16, exec_lo, -1
; %bb.3641:                             ;   in Loop: Header=BB6_3292 Depth=3
	s_or_b32 exec_lo, exec_lo, s22
	s_and_b32 s16, s16, exec_lo
	s_or_saveexec_b32 s19, s19
	v_mov_b32_e32 v4, 0x7f800001
	s_xor_b32 exec_lo, exec_lo, s19
	s_cbranch_execnz .LBB6_4641
.LBB6_3642:                             ;   in Loop: Header=BB6_3292 Depth=3
	s_or_b32 exec_lo, exec_lo, s19
	s_and_saveexec_b32 s19, s16
	s_cbranch_execz .LBB6_3644
.LBB6_3643:                             ;   in Loop: Header=BB6_3292 Depth=3
	v_and_b32_sdwa v4, v61, v24 dst_sel:DWORD dst_unused:UNUSED_PAD src0_sel:DWORD src1_sel:BYTE_1
	v_and_b32_e32 v5, 3, v4
	v_bfe_u32 v31, v4, 2, 5
	v_ffbh_u32_e32 v28, v5
	v_cmp_eq_u32_e32 vcc_lo, 0, v31
	v_min_u32_e32 v28, 32, v28
	v_subrev_nc_u32_e32 v29, 29, v28
	v_sub_nc_u32_e32 v28, 30, v28
	v_lshlrev_b32_e32 v4, v29, v4
	v_lshlrev_b32_sdwa v29, v62, v24 dst_sel:DWORD dst_unused:UNUSED_PAD src0_sel:DWORD src1_sel:BYTE_1
	v_cndmask_b32_e32 v28, v31, v28, vcc_lo
	v_and_b32_e32 v4, 3, v4
	v_lshl_add_u32 v28, v28, 23, 0x37800000
	v_cndmask_b32_e32 v4, v5, v4, vcc_lo
	v_and_b32_e32 v5, 0x80000000, v29
	v_lshlrev_b32_e32 v4, 21, v4
	v_or3_b32 v4, v5, v28, v4
.LBB6_3644:                             ;   in Loop: Header=BB6_3292 Depth=3
	s_or_b32 exec_lo, exec_lo, s19
	v_mul_f32_e32 v1, v1, v4
	v_mov_b32_e32 v28, 0x8000
	s_mov_b32 s19, exec_lo
	v_and_b32_e32 v4, 0x7f800000, v1
	v_cmpx_ne_u32_e32 0x7f800000, v4
	s_cbranch_execz .LBB6_3652
; %bb.3645:                             ;   in Loop: Header=BB6_3292 Depth=3
	v_mov_b32_e32 v28, 0
	s_mov_b32 s22, exec_lo
	v_cmpx_ne_u32_e32 0, v1
	s_cbranch_execz .LBB6_3651
; %bb.3646:                             ;   in Loop: Header=BB6_3292 Depth=3
	v_bfe_u32 v5, v1, 23, 8
	v_and_b32_e32 v4, 0x7fffff, v1
	v_cmp_gt_u32_e64 s16, 0x71, v5
	v_sub_nc_u32_e32 v28, 0x70, v5
	v_cmp_eq_u32_e32 vcc_lo, 0, v5
	v_or_b32_e32 v29, 0x800000, v4
	v_cndmask_b32_e64 v28, 0, v28, s16
	v_cndmask_b32_e32 v4, v29, v4, vcc_lo
	v_cndmask_b32_e64 v28, v28, 0x6f, vcc_lo
	v_lshl_add_u32 v29, 0x200000, v28, -1
	v_lshlrev_b32_e64 v31, v28, 0x100000
	v_and_b32_e32 v29, v29, v4
	v_cmp_eq_u32_e64 s16, v29, v31
	v_lshrrev_b32_e32 v29, v28, v4
	v_add_nc_u32_e32 v4, 0xffffff91, v5
	v_lshrrev_b32_e32 v5, 23, v29
	v_cndmask_b32_e64 v4, v4, 0xffffff92, vcc_lo
	v_xor_b32_e32 v5, 1, v5
	v_add_nc_u32_e32 v4, v28, v4
	v_bfe_u32 v28, v29, 21, 1
	v_add_nc_u32_e32 v28, -1, v28
	v_cndmask_b32_e64 v28, 0, v28, s16
	s_mov_b32 s16, exec_lo
	v_add_nc_u32_e32 v28, v28, v29
	v_and_b32_e32 v28, 0x1fffff, v28
	v_add_nc_u32_e32 v28, v28, v29
                                        ; implicit-def: $vgpr29
	v_cmpx_ne_u32_e64 v4, v5
	s_xor_b32 s16, exec_lo, s16
; %bb.3647:                             ;   in Loop: Header=BB6_3292 Depth=3
	v_cmp_lt_u32_e32 vcc_lo, 0xffffff, v28
	v_sub_nc_u32_e32 v4, v4, v5
	v_cndmask_b32_e64 v5, 0, 1, vcc_lo
	v_add_co_ci_u32_e64 v29, null, 0, v4, vcc_lo
	v_lshrrev_b32_e32 v28, v5, v28
; %bb.3648:                             ;   in Loop: Header=BB6_3292 Depth=3
	s_andn2_saveexec_b32 s16, s16
; %bb.3649:                             ;   in Loop: Header=BB6_3292 Depth=3
	v_bfe_u32 v29, v28, 23, 1
; %bb.3650:                             ;   in Loop: Header=BB6_3292 Depth=3
	s_or_b32 exec_lo, exec_lo, s16
	v_lshrrev_b32_e32 v4, 21, v28
	v_min_i32_e32 v5, 31, v29
	v_cmp_gt_i32_e32 vcc_lo, 32, v29
	v_and_b32_sdwa v1, v1, v60 dst_sel:DWORD dst_unused:UNUSED_PAD src0_sel:BYTE_3 src1_sel:DWORD
	v_lshlrev_b32_e32 v5, 2, v5
	v_cndmask_b32_e32 v4, 3, v4, vcc_lo
	v_and_b32_e32 v5, 0xfc, v5
	v_or_b32_e32 v28, v29, v4
	v_and_b32_e32 v4, 3, v4
	v_cmp_ne_u32_e32 vcc_lo, 0, v28
	v_or3_b32 v1, v1, v5, v4
	v_lshlrev_b32_e32 v1, 8, v1
	v_cndmask_b32_e32 v28, 0, v1, vcc_lo
.LBB6_3651:                             ;   in Loop: Header=BB6_3292 Depth=3
	s_or_b32 exec_lo, exec_lo, s22
.LBB6_3652:                             ;   in Loop: Header=BB6_3292 Depth=3
	s_or_b32 exec_lo, exec_lo, s19
	v_and_b32_sdwa v4, v32, v63 dst_sel:DWORD dst_unused:UNUSED_PAD src0_sel:WORD_1 src1_sel:DWORD
	s_mov_b32 s19, 0
	s_mov_b32 s16, exec_lo
	v_cmpx_lt_i16_e32 0x7f, v4
	s_xor_b32 s16, exec_lo, s16
	s_cbranch_execz .LBB6_4642
; %bb.3653:                             ;   in Loop: Header=BB6_3292 Depth=3
	s_mov_b32 s19, -1
	s_mov_b32 s22, exec_lo
	v_cmpx_eq_u16_e32 0x80, v4
; %bb.3654:                             ;   in Loop: Header=BB6_3292 Depth=3
	s_xor_b32 s19, exec_lo, -1
; %bb.3655:                             ;   in Loop: Header=BB6_3292 Depth=3
	s_or_b32 exec_lo, exec_lo, s22
	s_and_b32 s19, s19, exec_lo
                                        ; implicit-def: $vgpr4
	s_or_saveexec_b32 s16, s16
	v_mov_b32_e32 v1, 0x7f800001
	s_xor_b32 exec_lo, exec_lo, s16
	s_cbranch_execnz .LBB6_4643
.LBB6_3656:                             ;   in Loop: Header=BB6_3292 Depth=3
	s_or_b32 exec_lo, exec_lo, s16
	s_and_saveexec_b32 s16, s19
	s_cbranch_execz .LBB6_3658
.LBB6_3657:                             ;   in Loop: Header=BB6_3292 Depth=3
	v_bfe_u32 v1, v32, 16, 2
	v_bfe_u32 v4, v32, 18, 5
	v_ffbh_u32_e32 v5, v1
	v_cmp_eq_u32_e32 vcc_lo, 0, v4
	v_min_u32_e32 v5, 32, v5
	v_subrev_nc_u32_e32 v29, 29, v5
	v_sub_nc_u32_e32 v5, 30, v5
	v_lshlrev_b32_sdwa v29, v29, v32 dst_sel:DWORD dst_unused:UNUSED_PAD src0_sel:DWORD src1_sel:WORD_1
	v_cndmask_b32_e32 v4, v4, v5, vcc_lo
	v_lshlrev_b32_e32 v5, 8, v32
	v_and_b32_e32 v29, 3, v29
	v_lshl_add_u32 v4, v4, 23, 0x37800000
	v_and_b32_e32 v5, 0x80000000, v5
	v_cndmask_b32_e32 v1, v1, v29, vcc_lo
	v_lshlrev_b32_e32 v1, 21, v1
	v_or3_b32 v1, v5, v4, v1
.LBB6_3658:                             ;   in Loop: Header=BB6_3292 Depth=3
	s_or_b32 exec_lo, exec_lo, s16
	v_and_b32_sdwa v5, v24, v63 dst_sel:DWORD dst_unused:UNUSED_PAD src0_sel:WORD_1 src1_sel:DWORD
	s_mov_b32 s19, 0
	s_mov_b32 s16, exec_lo
	v_cmpx_lt_i16_e32 0x7f, v5
	s_xor_b32 s16, exec_lo, s16
	s_cbranch_execz .LBB6_4644
; %bb.3659:                             ;   in Loop: Header=BB6_3292 Depth=3
	s_mov_b32 s19, -1
	s_mov_b32 s22, exec_lo
	v_cmpx_eq_u16_e32 0x80, v5
; %bb.3660:                             ;   in Loop: Header=BB6_3292 Depth=3
	s_xor_b32 s19, exec_lo, -1
; %bb.3661:                             ;   in Loop: Header=BB6_3292 Depth=3
	s_or_b32 exec_lo, exec_lo, s22
	s_and_b32 s19, s19, exec_lo
                                        ; implicit-def: $vgpr5
	s_or_saveexec_b32 s16, s16
	v_mov_b32_e32 v4, 0x7f800001
	s_xor_b32 exec_lo, exec_lo, s16
	s_cbranch_execnz .LBB6_4645
.LBB6_3662:                             ;   in Loop: Header=BB6_3292 Depth=3
	s_or_b32 exec_lo, exec_lo, s16
	s_and_saveexec_b32 s16, s19
	s_cbranch_execz .LBB6_3664
.LBB6_3663:                             ;   in Loop: Header=BB6_3292 Depth=3
	v_bfe_u32 v4, v24, 16, 2
	v_bfe_u32 v5, v24, 18, 5
	v_ffbh_u32_e32 v29, v4
	v_cmp_eq_u32_e32 vcc_lo, 0, v5
	v_min_u32_e32 v29, 32, v29
	v_subrev_nc_u32_e32 v31, 29, v29
	v_sub_nc_u32_e32 v29, 30, v29
	v_lshlrev_b32_sdwa v31, v31, v24 dst_sel:DWORD dst_unused:UNUSED_PAD src0_sel:DWORD src1_sel:WORD_1
	v_cndmask_b32_e32 v5, v5, v29, vcc_lo
	v_lshlrev_b32_e32 v29, 8, v24
	v_and_b32_e32 v31, 3, v31
	v_lshl_add_u32 v5, v5, 23, 0x37800000
	v_and_b32_e32 v29, 0x80000000, v29
	v_cndmask_b32_e32 v4, v4, v31, vcc_lo
	v_lshlrev_b32_e32 v4, 21, v4
	v_or3_b32 v4, v29, v5, v4
.LBB6_3664:                             ;   in Loop: Header=BB6_3292 Depth=3
	s_or_b32 exec_lo, exec_lo, s16
	v_mul_f32_e32 v1, v1, v4
	v_mov_b32_e32 v29, 0x80
	s_mov_b32 s19, exec_lo
	v_and_b32_e32 v4, 0x7f800000, v1
	v_cmpx_ne_u32_e32 0x7f800000, v4
	s_cbranch_execz .LBB6_3672
; %bb.3665:                             ;   in Loop: Header=BB6_3292 Depth=3
	v_mov_b32_e32 v29, 0
	s_mov_b32 s22, exec_lo
	v_cmpx_ne_u32_e32 0, v1
	s_cbranch_execz .LBB6_3671
; %bb.3666:                             ;   in Loop: Header=BB6_3292 Depth=3
	v_bfe_u32 v5, v1, 23, 8
	v_and_b32_e32 v4, 0x7fffff, v1
	v_cmp_gt_u32_e64 s16, 0x71, v5
	v_sub_nc_u32_e32 v29, 0x70, v5
	v_cmp_eq_u32_e32 vcc_lo, 0, v5
	v_or_b32_e32 v31, 0x800000, v4
	v_cndmask_b32_e64 v29, 0, v29, s16
	v_cndmask_b32_e32 v4, v31, v4, vcc_lo
	v_cndmask_b32_e64 v29, v29, 0x6f, vcc_lo
	v_lshl_add_u32 v31, 0x200000, v29, -1
	v_lshlrev_b32_e64 v82, v29, 0x100000
	v_and_b32_e32 v31, v31, v4
	v_cmp_eq_u32_e64 s16, v31, v82
	v_lshrrev_b32_e32 v31, v29, v4
	v_add_nc_u32_e32 v4, 0xffffff91, v5
	v_lshrrev_b32_e32 v5, 23, v31
	v_cndmask_b32_e64 v4, v4, 0xffffff92, vcc_lo
	v_xor_b32_e32 v5, 1, v5
	v_add_nc_u32_e32 v4, v29, v4
	v_bfe_u32 v29, v31, 21, 1
	v_add_nc_u32_e32 v29, -1, v29
	v_cndmask_b32_e64 v29, 0, v29, s16
	s_mov_b32 s16, exec_lo
	v_add_nc_u32_e32 v29, v29, v31
	v_and_b32_e32 v29, 0x1fffff, v29
	v_add_nc_u32_e32 v29, v29, v31
                                        ; implicit-def: $vgpr31
	v_cmpx_ne_u32_e64 v4, v5
	s_xor_b32 s16, exec_lo, s16
; %bb.3667:                             ;   in Loop: Header=BB6_3292 Depth=3
	v_cmp_lt_u32_e32 vcc_lo, 0xffffff, v29
	v_sub_nc_u32_e32 v4, v4, v5
	v_cndmask_b32_e64 v5, 0, 1, vcc_lo
	v_add_co_ci_u32_e64 v31, null, 0, v4, vcc_lo
	v_lshrrev_b32_e32 v29, v5, v29
; %bb.3668:                             ;   in Loop: Header=BB6_3292 Depth=3
	s_andn2_saveexec_b32 s16, s16
; %bb.3669:                             ;   in Loop: Header=BB6_3292 Depth=3
	v_bfe_u32 v31, v29, 23, 1
; %bb.3670:                             ;   in Loop: Header=BB6_3292 Depth=3
	s_or_b32 exec_lo, exec_lo, s16
	v_lshrrev_b32_e32 v4, 21, v29
	v_min_i32_e32 v5, 31, v31
	v_cmp_gt_i32_e32 vcc_lo, 32, v31
	v_and_b32_sdwa v1, v1, v60 dst_sel:DWORD dst_unused:UNUSED_PAD src0_sel:BYTE_3 src1_sel:DWORD
	v_lshlrev_b32_e32 v5, 2, v5
	v_cndmask_b32_e32 v4, 3, v4, vcc_lo
	v_and_b32_e32 v5, 0xfc, v5
	v_or_b32_e32 v29, v31, v4
	v_and_b32_e32 v4, 3, v4
	v_cmp_ne_u32_e32 vcc_lo, 0, v29
	v_or3_b32 v1, v5, v1, v4
	v_cndmask_b32_e32 v29, 0, v1, vcc_lo
.LBB6_3671:                             ;   in Loop: Header=BB6_3292 Depth=3
	s_or_b32 exec_lo, exec_lo, s22
.LBB6_3672:                             ;   in Loop: Header=BB6_3292 Depth=3
	s_or_b32 exec_lo, exec_lo, s19
	v_cmp_gt_i16_sdwa s19, v32, v59 src0_sel:BYTE_3 src1_sel:DWORD
	s_mov_b32 s16, 0
	s_and_saveexec_b32 s22, s19
	s_xor_b32 s19, exec_lo, s22
	s_cbranch_execz .LBB6_4646
; %bb.3673:                             ;   in Loop: Header=BB6_3292 Depth=3
	v_cmp_eq_u16_sdwa s23, v32, v60 src0_sel:BYTE_3 src1_sel:DWORD
	s_mov_b32 s16, -1
	s_and_saveexec_b32 s22, s23
; %bb.3674:                             ;   in Loop: Header=BB6_3292 Depth=3
	s_xor_b32 s16, exec_lo, -1
; %bb.3675:                             ;   in Loop: Header=BB6_3292 Depth=3
	s_or_b32 exec_lo, exec_lo, s22
	s_and_b32 s16, s16, exec_lo
	s_or_saveexec_b32 s19, s19
	v_mov_b32_e32 v1, 0x7f800001
	s_xor_b32 exec_lo, exec_lo, s19
	s_cbranch_execnz .LBB6_4647
.LBB6_3676:                             ;   in Loop: Header=BB6_3292 Depth=3
	s_or_b32 exec_lo, exec_lo, s19
	s_and_saveexec_b32 s19, s16
	s_cbranch_execz .LBB6_3678
.LBB6_3677:                             ;   in Loop: Header=BB6_3292 Depth=3
	v_bfe_u32 v1, v32, 24, 2
	v_bfe_u32 v31, v32, 26, 5
	v_ffbh_u32_e32 v4, v1
	v_cmp_eq_u32_e32 vcc_lo, 0, v31
	v_min_u32_e32 v4, 32, v4
	v_subrev_nc_u32_e32 v5, 29, v4
	v_sub_nc_u32_e32 v4, 30, v4
	v_lshlrev_b32_sdwa v5, v5, v32 dst_sel:DWORD dst_unused:UNUSED_PAD src0_sel:DWORD src1_sel:BYTE_3
	v_cndmask_b32_e32 v4, v31, v4, vcc_lo
	v_and_b32_e32 v5, 3, v5
	v_lshl_add_u32 v4, v4, 23, 0x37800000
	v_cndmask_b32_e32 v1, v1, v5, vcc_lo
	v_and_b32_e32 v5, 0x80000000, v32
	v_lshlrev_b32_e32 v1, 21, v1
	v_or3_b32 v1, v5, v4, v1
.LBB6_3678:                             ;   in Loop: Header=BB6_3292 Depth=3
	s_or_b32 exec_lo, exec_lo, s19
	v_cmp_gt_i16_sdwa s19, v24, v59 src0_sel:BYTE_3 src1_sel:DWORD
	s_mov_b32 s16, 0
	s_and_saveexec_b32 s22, s19
	s_xor_b32 s19, exec_lo, s22
	s_cbranch_execz .LBB6_4648
; %bb.3679:                             ;   in Loop: Header=BB6_3292 Depth=3
	v_cmp_eq_u16_sdwa s23, v24, v60 src0_sel:BYTE_3 src1_sel:DWORD
	s_mov_b32 s16, -1
	s_and_saveexec_b32 s22, s23
; %bb.3680:                             ;   in Loop: Header=BB6_3292 Depth=3
	s_xor_b32 s16, exec_lo, -1
; %bb.3681:                             ;   in Loop: Header=BB6_3292 Depth=3
	s_or_b32 exec_lo, exec_lo, s22
	s_and_b32 s16, s16, exec_lo
	s_or_saveexec_b32 s19, s19
	v_mov_b32_e32 v4, 0x7f800001
	s_xor_b32 exec_lo, exec_lo, s19
	s_cbranch_execnz .LBB6_4649
.LBB6_3682:                             ;   in Loop: Header=BB6_3292 Depth=3
	s_or_b32 exec_lo, exec_lo, s19
	s_and_saveexec_b32 s19, s16
	s_cbranch_execz .LBB6_3684
.LBB6_3683:                             ;   in Loop: Header=BB6_3292 Depth=3
	v_bfe_u32 v4, v24, 24, 2
	v_bfe_u32 v32, v24, 26, 5
	v_ffbh_u32_e32 v5, v4
	v_cmp_eq_u32_e32 vcc_lo, 0, v32
	v_min_u32_e32 v5, 32, v5
	v_subrev_nc_u32_e32 v31, 29, v5
	v_sub_nc_u32_e32 v5, 30, v5
	v_lshlrev_b32_sdwa v31, v31, v24 dst_sel:DWORD dst_unused:UNUSED_PAD src0_sel:DWORD src1_sel:BYTE_3
	v_cndmask_b32_e32 v5, v32, v5, vcc_lo
	v_and_b32_e32 v24, 0x80000000, v24
	v_and_b32_e32 v31, 3, v31
	v_lshl_add_u32 v5, v5, 23, 0x37800000
	v_cndmask_b32_e32 v4, v4, v31, vcc_lo
	v_lshlrev_b32_e32 v4, 21, v4
	v_or3_b32 v4, v24, v5, v4
.LBB6_3684:                             ;   in Loop: Header=BB6_3292 Depth=3
	s_or_b32 exec_lo, exec_lo, s19
	v_mul_f32_e32 v1, v1, v4
	v_mov_b32_e32 v24, 0x8000
	s_mov_b32 s19, exec_lo
	v_and_b32_e32 v4, 0x7f800000, v1
	v_cmpx_ne_u32_e32 0x7f800000, v4
	s_cbranch_execz .LBB6_3692
; %bb.3685:                             ;   in Loop: Header=BB6_3292 Depth=3
	v_mov_b32_e32 v24, 0
	s_mov_b32 s22, exec_lo
	v_cmpx_ne_u32_e32 0, v1
	s_cbranch_execz .LBB6_3691
; %bb.3686:                             ;   in Loop: Header=BB6_3292 Depth=3
	v_bfe_u32 v5, v1, 23, 8
	v_and_b32_e32 v4, 0x7fffff, v1
	v_cmp_gt_u32_e64 s16, 0x71, v5
	v_sub_nc_u32_e32 v24, 0x70, v5
	v_cmp_eq_u32_e32 vcc_lo, 0, v5
	v_or_b32_e32 v31, 0x800000, v4
	v_cndmask_b32_e64 v24, 0, v24, s16
	v_cndmask_b32_e32 v4, v31, v4, vcc_lo
	v_cndmask_b32_e64 v24, v24, 0x6f, vcc_lo
	v_lshl_add_u32 v31, 0x200000, v24, -1
	v_lshlrev_b32_e64 v32, v24, 0x100000
	v_and_b32_e32 v31, v31, v4
	v_cmp_eq_u32_e64 s16, v31, v32
	v_lshrrev_b32_e32 v31, v24, v4
	v_add_nc_u32_e32 v4, 0xffffff91, v5
	v_lshrrev_b32_e32 v5, 23, v31
	v_cndmask_b32_e64 v4, v4, 0xffffff92, vcc_lo
	v_xor_b32_e32 v5, 1, v5
	v_add_nc_u32_e32 v4, v24, v4
	v_bfe_u32 v24, v31, 21, 1
	v_add_nc_u32_e32 v24, -1, v24
	v_cndmask_b32_e64 v24, 0, v24, s16
	s_mov_b32 s16, exec_lo
	v_add_nc_u32_e32 v24, v24, v31
	v_and_b32_e32 v24, 0x1fffff, v24
	v_add_nc_u32_e32 v24, v24, v31
                                        ; implicit-def: $vgpr31
	v_cmpx_ne_u32_e64 v4, v5
	s_xor_b32 s16, exec_lo, s16
; %bb.3687:                             ;   in Loop: Header=BB6_3292 Depth=3
	v_cmp_lt_u32_e32 vcc_lo, 0xffffff, v24
	v_sub_nc_u32_e32 v4, v4, v5
	v_cndmask_b32_e64 v5, 0, 1, vcc_lo
	v_add_co_ci_u32_e64 v31, null, 0, v4, vcc_lo
	v_lshrrev_b32_e32 v24, v5, v24
; %bb.3688:                             ;   in Loop: Header=BB6_3292 Depth=3
	s_andn2_saveexec_b32 s16, s16
; %bb.3689:                             ;   in Loop: Header=BB6_3292 Depth=3
	v_bfe_u32 v31, v24, 23, 1
; %bb.3690:                             ;   in Loop: Header=BB6_3292 Depth=3
	s_or_b32 exec_lo, exec_lo, s16
	v_lshrrev_b32_e32 v4, 21, v24
	v_min_i32_e32 v5, 31, v31
	v_cmp_gt_i32_e32 vcc_lo, 32, v31
	v_and_b32_sdwa v1, v1, v60 dst_sel:DWORD dst_unused:UNUSED_PAD src0_sel:BYTE_3 src1_sel:DWORD
	v_lshlrev_b32_e32 v5, 2, v5
	v_cndmask_b32_e32 v4, 3, v4, vcc_lo
	v_and_b32_e32 v5, 0xfc, v5
	v_or_b32_e32 v24, v31, v4
	v_and_b32_e32 v4, 3, v4
	v_cmp_ne_u32_e32 vcc_lo, 0, v24
	v_or3_b32 v1, v1, v5, v4
	v_lshlrev_b32_e32 v1, 8, v1
	v_cndmask_b32_e32 v24, 0, v1, vcc_lo
.LBB6_3691:                             ;   in Loop: Header=BB6_3292 Depth=3
	s_or_b32 exec_lo, exec_lo, s22
.LBB6_3692:                             ;   in Loop: Header=BB6_3292 Depth=3
	s_or_b32 exec_lo, exec_lo, s19
	v_cmp_gt_i16_sdwa s16, v33, v59 src0_sel:BYTE_0 src1_sel:DWORD
	s_mov_b32 s19, 0
	s_and_saveexec_b32 s22, s16
	s_xor_b32 s16, exec_lo, s22
	s_cbranch_execz .LBB6_4650
; %bb.3693:                             ;   in Loop: Header=BB6_3292 Depth=3
	v_cmp_eq_u16_sdwa s23, v33, v60 src0_sel:BYTE_0 src1_sel:DWORD
	s_mov_b32 s19, -1
	s_and_saveexec_b32 s22, s23
; %bb.3694:                             ;   in Loop: Header=BB6_3292 Depth=3
	s_xor_b32 s19, exec_lo, -1
; %bb.3695:                             ;   in Loop: Header=BB6_3292 Depth=3
	s_or_b32 exec_lo, exec_lo, s22
	s_and_b32 s19, s19, exec_lo
	s_or_saveexec_b32 s16, s16
	v_mov_b32_e32 v1, 0x7f800001
	s_xor_b32 exec_lo, exec_lo, s16
	s_cbranch_execnz .LBB6_4651
.LBB6_3696:                             ;   in Loop: Header=BB6_3292 Depth=3
	s_or_b32 exec_lo, exec_lo, s16
	s_and_saveexec_b32 s16, s19
	s_cbranch_execz .LBB6_3698
.LBB6_3697:                             ;   in Loop: Header=BB6_3292 Depth=3
	v_and_b32_e32 v1, 3, v33
	v_bfe_u32 v4, v33, 2, 5
	v_ffbh_u32_e32 v5, v1
	v_cmp_eq_u32_e32 vcc_lo, 0, v4
	v_min_u32_e32 v5, 32, v5
	v_subrev_nc_u32_e32 v31, 29, v5
	v_sub_nc_u32_e32 v5, 30, v5
	v_lshlrev_b32_e32 v31, v31, v33
	v_cndmask_b32_e32 v4, v4, v5, vcc_lo
	v_lshlrev_b32_e32 v5, 24, v33
	v_and_b32_e32 v31, 3, v31
	v_lshl_add_u32 v4, v4, 23, 0x37800000
	v_and_b32_e32 v5, 0x80000000, v5
	v_cndmask_b32_e32 v1, v1, v31, vcc_lo
	v_lshlrev_b32_e32 v1, 21, v1
	v_or3_b32 v1, v5, v4, v1
.LBB6_3698:                             ;   in Loop: Header=BB6_3292 Depth=3
	s_or_b32 exec_lo, exec_lo, s16
	v_cmp_gt_i16_sdwa s16, v25, v59 src0_sel:BYTE_0 src1_sel:DWORD
	s_mov_b32 s19, 0
	s_and_saveexec_b32 s22, s16
	s_xor_b32 s16, exec_lo, s22
	s_cbranch_execz .LBB6_4652
; %bb.3699:                             ;   in Loop: Header=BB6_3292 Depth=3
	v_cmp_eq_u16_sdwa s23, v25, v60 src0_sel:BYTE_0 src1_sel:DWORD
	s_mov_b32 s19, -1
	s_and_saveexec_b32 s22, s23
; %bb.3700:                             ;   in Loop: Header=BB6_3292 Depth=3
	s_xor_b32 s19, exec_lo, -1
; %bb.3701:                             ;   in Loop: Header=BB6_3292 Depth=3
	s_or_b32 exec_lo, exec_lo, s22
	s_and_b32 s19, s19, exec_lo
	s_or_saveexec_b32 s16, s16
	v_mov_b32_e32 v4, 0x7f800001
	s_xor_b32 exec_lo, exec_lo, s16
	s_cbranch_execnz .LBB6_4653
.LBB6_3702:                             ;   in Loop: Header=BB6_3292 Depth=3
	s_or_b32 exec_lo, exec_lo, s16
	s_and_saveexec_b32 s16, s19
	s_cbranch_execz .LBB6_3704
.LBB6_3703:                             ;   in Loop: Header=BB6_3292 Depth=3
	v_and_b32_e32 v4, 3, v25
	v_bfe_u32 v5, v25, 2, 5
	v_ffbh_u32_e32 v31, v4
	v_cmp_eq_u32_e32 vcc_lo, 0, v5
	v_min_u32_e32 v31, 32, v31
	v_subrev_nc_u32_e32 v32, 29, v31
	v_sub_nc_u32_e32 v31, 30, v31
	v_lshlrev_b32_e32 v32, v32, v25
	v_cndmask_b32_e32 v5, v5, v31, vcc_lo
	v_lshlrev_b32_e32 v31, 24, v25
	v_and_b32_e32 v32, 3, v32
	v_lshl_add_u32 v5, v5, 23, 0x37800000
	v_and_b32_e32 v31, 0x80000000, v31
	v_cndmask_b32_e32 v4, v4, v32, vcc_lo
	v_lshlrev_b32_e32 v4, 21, v4
	v_or3_b32 v4, v31, v5, v4
.LBB6_3704:                             ;   in Loop: Header=BB6_3292 Depth=3
	s_or_b32 exec_lo, exec_lo, s16
	v_mul_f32_e32 v1, v1, v4
	v_mov_b32_e32 v32, 0x80
	s_mov_b32 s19, exec_lo
	v_and_b32_e32 v4, 0x7f800000, v1
	v_cmpx_ne_u32_e32 0x7f800000, v4
	s_cbranch_execz .LBB6_3712
; %bb.3705:                             ;   in Loop: Header=BB6_3292 Depth=3
	v_mov_b32_e32 v32, 0
	s_mov_b32 s22, exec_lo
	v_cmpx_ne_u32_e32 0, v1
	s_cbranch_execz .LBB6_3711
; %bb.3706:                             ;   in Loop: Header=BB6_3292 Depth=3
	v_bfe_u32 v5, v1, 23, 8
	v_and_b32_e32 v4, 0x7fffff, v1
	v_cmp_gt_u32_e64 s16, 0x71, v5
	v_sub_nc_u32_e32 v31, 0x70, v5
	v_cmp_eq_u32_e32 vcc_lo, 0, v5
	v_or_b32_e32 v32, 0x800000, v4
	v_cndmask_b32_e64 v31, 0, v31, s16
	v_cndmask_b32_e32 v4, v32, v4, vcc_lo
	v_cndmask_b32_e64 v31, v31, 0x6f, vcc_lo
	v_lshl_add_u32 v32, 0x200000, v31, -1
	v_lshlrev_b32_e64 v82, v31, 0x100000
	v_and_b32_e32 v32, v32, v4
	v_cmp_eq_u32_e64 s16, v32, v82
	v_lshrrev_b32_e32 v32, v31, v4
	v_add_nc_u32_e32 v4, 0xffffff91, v5
	v_lshrrev_b32_e32 v5, 23, v32
	v_cndmask_b32_e64 v4, v4, 0xffffff92, vcc_lo
	v_xor_b32_e32 v5, 1, v5
	v_add_nc_u32_e32 v4, v31, v4
	v_bfe_u32 v31, v32, 21, 1
	v_add_nc_u32_e32 v31, -1, v31
	v_cndmask_b32_e64 v31, 0, v31, s16
	s_mov_b32 s16, exec_lo
	v_add_nc_u32_e32 v31, v31, v32
	v_and_b32_e32 v31, 0x1fffff, v31
	v_add_nc_u32_e32 v31, v31, v32
                                        ; implicit-def: $vgpr32
	v_cmpx_ne_u32_e64 v4, v5
	s_xor_b32 s16, exec_lo, s16
; %bb.3707:                             ;   in Loop: Header=BB6_3292 Depth=3
	v_cmp_lt_u32_e32 vcc_lo, 0xffffff, v31
	v_sub_nc_u32_e32 v4, v4, v5
	v_cndmask_b32_e64 v5, 0, 1, vcc_lo
	v_add_co_ci_u32_e64 v32, null, 0, v4, vcc_lo
	v_lshrrev_b32_e32 v31, v5, v31
; %bb.3708:                             ;   in Loop: Header=BB6_3292 Depth=3
	s_andn2_saveexec_b32 s16, s16
; %bb.3709:                             ;   in Loop: Header=BB6_3292 Depth=3
	v_bfe_u32 v32, v31, 23, 1
; %bb.3710:                             ;   in Loop: Header=BB6_3292 Depth=3
	s_or_b32 exec_lo, exec_lo, s16
	v_lshrrev_b32_e32 v4, 21, v31
	v_min_i32_e32 v5, 31, v32
	v_cmp_gt_i32_e32 vcc_lo, 32, v32
	v_and_b32_sdwa v1, v1, v60 dst_sel:DWORD dst_unused:UNUSED_PAD src0_sel:BYTE_3 src1_sel:DWORD
	v_lshlrev_b32_e32 v5, 2, v5
	v_cndmask_b32_e32 v4, 3, v4, vcc_lo
	v_and_b32_e32 v5, 0xfc, v5
	v_or_b32_e32 v31, v32, v4
	v_and_b32_e32 v4, 3, v4
	v_cmp_ne_u32_e32 vcc_lo, 0, v31
	v_or3_b32 v1, v5, v1, v4
	v_cndmask_b32_e32 v32, 0, v1, vcc_lo
.LBB6_3711:                             ;   in Loop: Header=BB6_3292 Depth=3
	s_or_b32 exec_lo, exec_lo, s22
.LBB6_3712:                             ;   in Loop: Header=BB6_3292 Depth=3
	s_or_b32 exec_lo, exec_lo, s19
	v_cmp_gt_i16_sdwa s19, v33, v59 src0_sel:BYTE_1 src1_sel:DWORD
	s_mov_b32 s16, 0
	s_and_saveexec_b32 s22, s19
	s_xor_b32 s19, exec_lo, s22
	s_cbranch_execz .LBB6_4654
; %bb.3713:                             ;   in Loop: Header=BB6_3292 Depth=3
	v_cmp_eq_u16_sdwa s23, v33, v60 src0_sel:BYTE_1 src1_sel:DWORD
	s_mov_b32 s16, -1
	s_and_saveexec_b32 s22, s23
; %bb.3714:                             ;   in Loop: Header=BB6_3292 Depth=3
	s_xor_b32 s16, exec_lo, -1
; %bb.3715:                             ;   in Loop: Header=BB6_3292 Depth=3
	s_or_b32 exec_lo, exec_lo, s22
	s_and_b32 s16, s16, exec_lo
	s_or_saveexec_b32 s19, s19
	v_mov_b32_e32 v1, 0x7f800001
	s_xor_b32 exec_lo, exec_lo, s19
	s_cbranch_execnz .LBB6_4655
.LBB6_3716:                             ;   in Loop: Header=BB6_3292 Depth=3
	s_or_b32 exec_lo, exec_lo, s19
	s_and_saveexec_b32 s19, s16
	s_cbranch_execz .LBB6_3718
.LBB6_3717:                             ;   in Loop: Header=BB6_3292 Depth=3
	v_and_b32_sdwa v1, v61, v33 dst_sel:DWORD dst_unused:UNUSED_PAD src0_sel:DWORD src1_sel:BYTE_1
	v_and_b32_e32 v4, 3, v1
	v_bfe_u32 v82, v1, 2, 5
	v_ffbh_u32_e32 v5, v4
	v_cmp_eq_u32_e32 vcc_lo, 0, v82
	v_min_u32_e32 v5, 32, v5
	v_subrev_nc_u32_e32 v31, 29, v5
	v_sub_nc_u32_e32 v5, 30, v5
	v_lshlrev_b32_e32 v1, v31, v1
	v_lshlrev_b32_sdwa v31, v62, v33 dst_sel:DWORD dst_unused:UNUSED_PAD src0_sel:DWORD src1_sel:BYTE_1
	v_cndmask_b32_e32 v5, v82, v5, vcc_lo
	v_and_b32_e32 v1, 3, v1
	v_lshl_add_u32 v5, v5, 23, 0x37800000
	v_cndmask_b32_e32 v1, v4, v1, vcc_lo
	v_and_b32_e32 v4, 0x80000000, v31
	v_lshlrev_b32_e32 v1, 21, v1
	v_or3_b32 v1, v4, v5, v1
.LBB6_3718:                             ;   in Loop: Header=BB6_3292 Depth=3
	s_or_b32 exec_lo, exec_lo, s19
	v_cmp_gt_i16_sdwa s19, v25, v59 src0_sel:BYTE_1 src1_sel:DWORD
	s_mov_b32 s16, 0
	s_and_saveexec_b32 s22, s19
	s_xor_b32 s19, exec_lo, s22
	s_cbranch_execz .LBB6_4656
; %bb.3719:                             ;   in Loop: Header=BB6_3292 Depth=3
	v_cmp_eq_u16_sdwa s23, v25, v60 src0_sel:BYTE_1 src1_sel:DWORD
	s_mov_b32 s16, -1
	s_and_saveexec_b32 s22, s23
; %bb.3720:                             ;   in Loop: Header=BB6_3292 Depth=3
	s_xor_b32 s16, exec_lo, -1
; %bb.3721:                             ;   in Loop: Header=BB6_3292 Depth=3
	s_or_b32 exec_lo, exec_lo, s22
	s_and_b32 s16, s16, exec_lo
	s_or_saveexec_b32 s19, s19
	v_mov_b32_e32 v4, 0x7f800001
	s_xor_b32 exec_lo, exec_lo, s19
	s_cbranch_execnz .LBB6_4657
.LBB6_3722:                             ;   in Loop: Header=BB6_3292 Depth=3
	s_or_b32 exec_lo, exec_lo, s19
	s_and_saveexec_b32 s19, s16
	s_cbranch_execz .LBB6_3724
.LBB6_3723:                             ;   in Loop: Header=BB6_3292 Depth=3
	v_and_b32_sdwa v4, v61, v25 dst_sel:DWORD dst_unused:UNUSED_PAD src0_sel:DWORD src1_sel:BYTE_1
	v_and_b32_e32 v5, 3, v4
	v_bfe_u32 v83, v4, 2, 5
	v_ffbh_u32_e32 v31, v5
	v_cmp_eq_u32_e32 vcc_lo, 0, v83
	v_min_u32_e32 v31, 32, v31
	v_subrev_nc_u32_e32 v82, 29, v31
	v_sub_nc_u32_e32 v31, 30, v31
	v_lshlrev_b32_e32 v4, v82, v4
	v_lshlrev_b32_sdwa v82, v62, v25 dst_sel:DWORD dst_unused:UNUSED_PAD src0_sel:DWORD src1_sel:BYTE_1
	v_cndmask_b32_e32 v31, v83, v31, vcc_lo
	v_and_b32_e32 v4, 3, v4
	v_lshl_add_u32 v31, v31, 23, 0x37800000
	v_cndmask_b32_e32 v4, v5, v4, vcc_lo
	v_and_b32_e32 v5, 0x80000000, v82
	v_lshlrev_b32_e32 v4, 21, v4
	v_or3_b32 v4, v5, v31, v4
.LBB6_3724:                             ;   in Loop: Header=BB6_3292 Depth=3
	s_or_b32 exec_lo, exec_lo, s19
	v_mul_f32_e32 v1, v1, v4
	v_mov_b32_e32 v84, 0x8000
	s_mov_b32 s19, exec_lo
	v_and_b32_e32 v4, 0x7f800000, v1
	v_cmpx_ne_u32_e32 0x7f800000, v4
	s_cbranch_execz .LBB6_3732
; %bb.3725:                             ;   in Loop: Header=BB6_3292 Depth=3
	v_mov_b32_e32 v84, 0
	s_mov_b32 s22, exec_lo
	v_cmpx_ne_u32_e32 0, v1
	s_cbranch_execz .LBB6_3731
; %bb.3726:                             ;   in Loop: Header=BB6_3292 Depth=3
	v_bfe_u32 v5, v1, 23, 8
	v_and_b32_e32 v4, 0x7fffff, v1
	v_cmp_gt_u32_e64 s16, 0x71, v5
	v_sub_nc_u32_e32 v31, 0x70, v5
	v_cmp_eq_u32_e32 vcc_lo, 0, v5
	v_or_b32_e32 v82, 0x800000, v4
	v_cndmask_b32_e64 v31, 0, v31, s16
	v_cndmask_b32_e32 v4, v82, v4, vcc_lo
	v_cndmask_b32_e64 v31, v31, 0x6f, vcc_lo
	v_lshl_add_u32 v82, 0x200000, v31, -1
	v_lshlrev_b32_e64 v83, v31, 0x100000
	v_and_b32_e32 v82, v82, v4
	v_cmp_eq_u32_e64 s16, v82, v83
	v_lshrrev_b32_e32 v82, v31, v4
	v_add_nc_u32_e32 v4, 0xffffff91, v5
	v_lshrrev_b32_e32 v5, 23, v82
	v_cndmask_b32_e64 v4, v4, 0xffffff92, vcc_lo
	v_xor_b32_e32 v5, 1, v5
	v_add_nc_u32_e32 v4, v31, v4
	v_bfe_u32 v31, v82, 21, 1
	v_add_nc_u32_e32 v31, -1, v31
	v_cndmask_b32_e64 v31, 0, v31, s16
	s_mov_b32 s16, exec_lo
	v_add_nc_u32_e32 v31, v31, v82
	v_and_b32_e32 v31, 0x1fffff, v31
	v_add_nc_u32_e32 v31, v31, v82
                                        ; implicit-def: $vgpr82
	v_cmpx_ne_u32_e64 v4, v5
	s_xor_b32 s16, exec_lo, s16
; %bb.3727:                             ;   in Loop: Header=BB6_3292 Depth=3
	v_cmp_lt_u32_e32 vcc_lo, 0xffffff, v31
	v_sub_nc_u32_e32 v4, v4, v5
	v_cndmask_b32_e64 v5, 0, 1, vcc_lo
	v_add_co_ci_u32_e64 v82, null, 0, v4, vcc_lo
	v_lshrrev_b32_e32 v31, v5, v31
; %bb.3728:                             ;   in Loop: Header=BB6_3292 Depth=3
	s_andn2_saveexec_b32 s16, s16
; %bb.3729:                             ;   in Loop: Header=BB6_3292 Depth=3
	v_bfe_u32 v82, v31, 23, 1
; %bb.3730:                             ;   in Loop: Header=BB6_3292 Depth=3
	s_or_b32 exec_lo, exec_lo, s16
	v_lshrrev_b32_e32 v4, 21, v31
	v_min_i32_e32 v5, 31, v82
	v_cmp_gt_i32_e32 vcc_lo, 32, v82
	v_and_b32_sdwa v1, v1, v60 dst_sel:DWORD dst_unused:UNUSED_PAD src0_sel:BYTE_3 src1_sel:DWORD
	v_lshlrev_b32_e32 v5, 2, v5
	v_cndmask_b32_e32 v4, 3, v4, vcc_lo
	v_and_b32_e32 v5, 0xfc, v5
	v_or_b32_e32 v31, v82, v4
	v_and_b32_e32 v4, 3, v4
	v_cmp_ne_u32_e32 vcc_lo, 0, v31
	v_or3_b32 v1, v1, v5, v4
	v_lshlrev_b32_e32 v1, 8, v1
	v_cndmask_b32_e32 v84, 0, v1, vcc_lo
.LBB6_3731:                             ;   in Loop: Header=BB6_3292 Depth=3
	s_or_b32 exec_lo, exec_lo, s22
.LBB6_3732:                             ;   in Loop: Header=BB6_3292 Depth=3
	s_or_b32 exec_lo, exec_lo, s19
	v_and_b32_sdwa v4, v33, v63 dst_sel:DWORD dst_unused:UNUSED_PAD src0_sel:WORD_1 src1_sel:DWORD
	s_mov_b32 s19, 0
	s_mov_b32 s16, exec_lo
	v_cmpx_lt_i16_e32 0x7f, v4
	s_xor_b32 s16, exec_lo, s16
	s_cbranch_execz .LBB6_4658
; %bb.3733:                             ;   in Loop: Header=BB6_3292 Depth=3
	s_mov_b32 s19, -1
	s_mov_b32 s22, exec_lo
	v_cmpx_eq_u16_e32 0x80, v4
; %bb.3734:                             ;   in Loop: Header=BB6_3292 Depth=3
	s_xor_b32 s19, exec_lo, -1
; %bb.3735:                             ;   in Loop: Header=BB6_3292 Depth=3
	s_or_b32 exec_lo, exec_lo, s22
	s_and_b32 s19, s19, exec_lo
                                        ; implicit-def: $vgpr4
	s_or_saveexec_b32 s16, s16
	v_mov_b32_e32 v1, 0x7f800001
	s_xor_b32 exec_lo, exec_lo, s16
	s_cbranch_execnz .LBB6_4659
.LBB6_3736:                             ;   in Loop: Header=BB6_3292 Depth=3
	s_or_b32 exec_lo, exec_lo, s16
	s_and_saveexec_b32 s16, s19
	s_cbranch_execz .LBB6_3738
.LBB6_3737:                             ;   in Loop: Header=BB6_3292 Depth=3
	v_bfe_u32 v1, v33, 16, 2
	v_bfe_u32 v4, v33, 18, 5
	v_ffbh_u32_e32 v5, v1
	v_cmp_eq_u32_e32 vcc_lo, 0, v4
	v_min_u32_e32 v5, 32, v5
	v_subrev_nc_u32_e32 v31, 29, v5
	v_sub_nc_u32_e32 v5, 30, v5
	v_lshlrev_b32_sdwa v31, v31, v33 dst_sel:DWORD dst_unused:UNUSED_PAD src0_sel:DWORD src1_sel:WORD_1
	v_cndmask_b32_e32 v4, v4, v5, vcc_lo
	v_lshlrev_b32_e32 v5, 8, v33
	v_and_b32_e32 v31, 3, v31
	v_lshl_add_u32 v4, v4, 23, 0x37800000
	v_and_b32_e32 v5, 0x80000000, v5
	v_cndmask_b32_e32 v1, v1, v31, vcc_lo
	v_lshlrev_b32_e32 v1, 21, v1
	v_or3_b32 v1, v5, v4, v1
.LBB6_3738:                             ;   in Loop: Header=BB6_3292 Depth=3
	s_or_b32 exec_lo, exec_lo, s16
	v_and_b32_sdwa v5, v25, v63 dst_sel:DWORD dst_unused:UNUSED_PAD src0_sel:WORD_1 src1_sel:DWORD
	s_mov_b32 s19, 0
	s_mov_b32 s16, exec_lo
	v_cmpx_lt_i16_e32 0x7f, v5
	s_xor_b32 s16, exec_lo, s16
	s_cbranch_execz .LBB6_4660
; %bb.3739:                             ;   in Loop: Header=BB6_3292 Depth=3
	s_mov_b32 s19, -1
	s_mov_b32 s22, exec_lo
	v_cmpx_eq_u16_e32 0x80, v5
; %bb.3740:                             ;   in Loop: Header=BB6_3292 Depth=3
	s_xor_b32 s19, exec_lo, -1
; %bb.3741:                             ;   in Loop: Header=BB6_3292 Depth=3
	s_or_b32 exec_lo, exec_lo, s22
	s_and_b32 s19, s19, exec_lo
                                        ; implicit-def: $vgpr5
	s_or_saveexec_b32 s16, s16
	v_mov_b32_e32 v4, 0x7f800001
	s_xor_b32 exec_lo, exec_lo, s16
	s_cbranch_execnz .LBB6_4661
.LBB6_3742:                             ;   in Loop: Header=BB6_3292 Depth=3
	s_or_b32 exec_lo, exec_lo, s16
	s_and_saveexec_b32 s16, s19
	s_cbranch_execz .LBB6_3744
.LBB6_3743:                             ;   in Loop: Header=BB6_3292 Depth=3
	v_bfe_u32 v4, v25, 16, 2
	v_bfe_u32 v5, v25, 18, 5
	v_ffbh_u32_e32 v31, v4
	v_cmp_eq_u32_e32 vcc_lo, 0, v5
	v_min_u32_e32 v31, 32, v31
	v_subrev_nc_u32_e32 v82, 29, v31
	v_sub_nc_u32_e32 v31, 30, v31
	v_lshlrev_b32_sdwa v82, v82, v25 dst_sel:DWORD dst_unused:UNUSED_PAD src0_sel:DWORD src1_sel:WORD_1
	v_cndmask_b32_e32 v5, v5, v31, vcc_lo
	v_lshlrev_b32_e32 v31, 8, v25
	v_and_b32_e32 v82, 3, v82
	v_lshl_add_u32 v5, v5, 23, 0x37800000
	v_and_b32_e32 v31, 0x80000000, v31
	v_cndmask_b32_e32 v4, v4, v82, vcc_lo
	v_lshlrev_b32_e32 v4, 21, v4
	v_or3_b32 v4, v31, v5, v4
.LBB6_3744:                             ;   in Loop: Header=BB6_3292 Depth=3
	s_or_b32 exec_lo, exec_lo, s16
	v_mul_f32_e32 v1, v1, v4
	v_mov_b32_e32 v85, 0x80
	s_mov_b32 s19, exec_lo
	v_and_b32_e32 v4, 0x7f800000, v1
	v_cmpx_ne_u32_e32 0x7f800000, v4
	s_cbranch_execz .LBB6_3752
; %bb.3745:                             ;   in Loop: Header=BB6_3292 Depth=3
	v_mov_b32_e32 v85, 0
	s_mov_b32 s22, exec_lo
	v_cmpx_ne_u32_e32 0, v1
	s_cbranch_execz .LBB6_3751
; %bb.3746:                             ;   in Loop: Header=BB6_3292 Depth=3
	v_bfe_u32 v5, v1, 23, 8
	v_and_b32_e32 v4, 0x7fffff, v1
	v_cmp_gt_u32_e64 s16, 0x71, v5
	v_sub_nc_u32_e32 v31, 0x70, v5
	v_cmp_eq_u32_e32 vcc_lo, 0, v5
	v_or_b32_e32 v82, 0x800000, v4
	v_cndmask_b32_e64 v31, 0, v31, s16
	v_cndmask_b32_e32 v4, v82, v4, vcc_lo
	v_cndmask_b32_e64 v31, v31, 0x6f, vcc_lo
	v_lshl_add_u32 v82, 0x200000, v31, -1
	v_lshlrev_b32_e64 v83, v31, 0x100000
	v_and_b32_e32 v82, v82, v4
	v_cmp_eq_u32_e64 s16, v82, v83
	v_lshrrev_b32_e32 v82, v31, v4
	v_add_nc_u32_e32 v4, 0xffffff91, v5
	v_lshrrev_b32_e32 v5, 23, v82
	v_cndmask_b32_e64 v4, v4, 0xffffff92, vcc_lo
	v_xor_b32_e32 v5, 1, v5
	v_add_nc_u32_e32 v4, v31, v4
	v_bfe_u32 v31, v82, 21, 1
	v_add_nc_u32_e32 v31, -1, v31
	v_cndmask_b32_e64 v31, 0, v31, s16
	s_mov_b32 s16, exec_lo
	v_add_nc_u32_e32 v31, v31, v82
	v_and_b32_e32 v31, 0x1fffff, v31
	v_add_nc_u32_e32 v31, v31, v82
                                        ; implicit-def: $vgpr82
	v_cmpx_ne_u32_e64 v4, v5
	s_xor_b32 s16, exec_lo, s16
; %bb.3747:                             ;   in Loop: Header=BB6_3292 Depth=3
	v_cmp_lt_u32_e32 vcc_lo, 0xffffff, v31
	v_sub_nc_u32_e32 v4, v4, v5
	v_cndmask_b32_e64 v5, 0, 1, vcc_lo
	v_add_co_ci_u32_e64 v82, null, 0, v4, vcc_lo
	v_lshrrev_b32_e32 v31, v5, v31
; %bb.3748:                             ;   in Loop: Header=BB6_3292 Depth=3
	s_andn2_saveexec_b32 s16, s16
; %bb.3749:                             ;   in Loop: Header=BB6_3292 Depth=3
	v_bfe_u32 v82, v31, 23, 1
; %bb.3750:                             ;   in Loop: Header=BB6_3292 Depth=3
	s_or_b32 exec_lo, exec_lo, s16
	v_lshrrev_b32_e32 v4, 21, v31
	v_min_i32_e32 v5, 31, v82
	v_cmp_gt_i32_e32 vcc_lo, 32, v82
	v_and_b32_sdwa v1, v1, v60 dst_sel:DWORD dst_unused:UNUSED_PAD src0_sel:BYTE_3 src1_sel:DWORD
	v_lshlrev_b32_e32 v5, 2, v5
	v_cndmask_b32_e32 v4, 3, v4, vcc_lo
	v_and_b32_e32 v5, 0xfc, v5
	v_or_b32_e32 v31, v82, v4
	v_and_b32_e32 v4, 3, v4
	v_cmp_ne_u32_e32 vcc_lo, 0, v31
	v_or3_b32 v1, v5, v1, v4
	v_cndmask_b32_e32 v85, 0, v1, vcc_lo
.LBB6_3751:                             ;   in Loop: Header=BB6_3292 Depth=3
	s_or_b32 exec_lo, exec_lo, s22
.LBB6_3752:                             ;   in Loop: Header=BB6_3292 Depth=3
	s_or_b32 exec_lo, exec_lo, s19
	v_cmp_gt_i16_sdwa s19, v33, v59 src0_sel:BYTE_3 src1_sel:DWORD
	s_mov_b32 s16, 0
	s_and_saveexec_b32 s22, s19
	s_xor_b32 s19, exec_lo, s22
	s_cbranch_execz .LBB6_4662
; %bb.3753:                             ;   in Loop: Header=BB6_3292 Depth=3
	v_cmp_eq_u16_sdwa s23, v33, v60 src0_sel:BYTE_3 src1_sel:DWORD
	s_mov_b32 s16, -1
	s_and_saveexec_b32 s22, s23
; %bb.3754:                             ;   in Loop: Header=BB6_3292 Depth=3
	s_xor_b32 s16, exec_lo, -1
; %bb.3755:                             ;   in Loop: Header=BB6_3292 Depth=3
	s_or_b32 exec_lo, exec_lo, s22
	s_and_b32 s16, s16, exec_lo
	s_or_saveexec_b32 s19, s19
	v_mov_b32_e32 v1, 0x7f800001
	s_xor_b32 exec_lo, exec_lo, s19
	s_cbranch_execnz .LBB6_4663
.LBB6_3756:                             ;   in Loop: Header=BB6_3292 Depth=3
	s_or_b32 exec_lo, exec_lo, s19
	s_and_saveexec_b32 s19, s16
	s_cbranch_execz .LBB6_3758
.LBB6_3757:                             ;   in Loop: Header=BB6_3292 Depth=3
	v_bfe_u32 v1, v33, 24, 2
	v_bfe_u32 v31, v33, 26, 5
	v_ffbh_u32_e32 v4, v1
	v_cmp_eq_u32_e32 vcc_lo, 0, v31
	v_min_u32_e32 v4, 32, v4
	v_subrev_nc_u32_e32 v5, 29, v4
	v_sub_nc_u32_e32 v4, 30, v4
	v_lshlrev_b32_sdwa v5, v5, v33 dst_sel:DWORD dst_unused:UNUSED_PAD src0_sel:DWORD src1_sel:BYTE_3
	v_cndmask_b32_e32 v4, v31, v4, vcc_lo
	v_and_b32_e32 v5, 3, v5
	v_lshl_add_u32 v4, v4, 23, 0x37800000
	v_cndmask_b32_e32 v1, v1, v5, vcc_lo
	v_and_b32_e32 v5, 0x80000000, v33
	v_lshlrev_b32_e32 v1, 21, v1
	v_or3_b32 v1, v5, v4, v1
.LBB6_3758:                             ;   in Loop: Header=BB6_3292 Depth=3
	s_or_b32 exec_lo, exec_lo, s19
	v_cmp_gt_i16_sdwa s19, v25, v59 src0_sel:BYTE_3 src1_sel:DWORD
	s_mov_b32 s16, 0
	s_and_saveexec_b32 s22, s19
	s_xor_b32 s19, exec_lo, s22
	s_cbranch_execz .LBB6_4664
; %bb.3759:                             ;   in Loop: Header=BB6_3292 Depth=3
	v_cmp_eq_u16_sdwa s23, v25, v60 src0_sel:BYTE_3 src1_sel:DWORD
	s_mov_b32 s16, -1
	s_and_saveexec_b32 s22, s23
; %bb.3760:                             ;   in Loop: Header=BB6_3292 Depth=3
	s_xor_b32 s16, exec_lo, -1
; %bb.3761:                             ;   in Loop: Header=BB6_3292 Depth=3
	s_or_b32 exec_lo, exec_lo, s22
	s_and_b32 s16, s16, exec_lo
	s_or_saveexec_b32 s19, s19
	v_mov_b32_e32 v4, 0x7f800001
	s_xor_b32 exec_lo, exec_lo, s19
	s_cbranch_execnz .LBB6_4665
.LBB6_3762:                             ;   in Loop: Header=BB6_3292 Depth=3
	s_or_b32 exec_lo, exec_lo, s19
	s_and_saveexec_b32 s19, s16
	s_cbranch_execz .LBB6_3764
.LBB6_3763:                             ;   in Loop: Header=BB6_3292 Depth=3
	v_bfe_u32 v4, v25, 24, 2
	v_bfe_u32 v33, v25, 26, 5
	v_ffbh_u32_e32 v5, v4
	v_cmp_eq_u32_e32 vcc_lo, 0, v33
	v_min_u32_e32 v5, 32, v5
	v_subrev_nc_u32_e32 v31, 29, v5
	v_sub_nc_u32_e32 v5, 30, v5
	v_lshlrev_b32_sdwa v31, v31, v25 dst_sel:DWORD dst_unused:UNUSED_PAD src0_sel:DWORD src1_sel:BYTE_3
	v_cndmask_b32_e32 v5, v33, v5, vcc_lo
	v_and_b32_e32 v25, 0x80000000, v25
	v_and_b32_e32 v31, 3, v31
	v_lshl_add_u32 v5, v5, 23, 0x37800000
	v_cndmask_b32_e32 v4, v4, v31, vcc_lo
	v_lshlrev_b32_e32 v4, 21, v4
	v_or3_b32 v4, v25, v5, v4
.LBB6_3764:                             ;   in Loop: Header=BB6_3292 Depth=3
	s_or_b32 exec_lo, exec_lo, s19
	v_mul_f32_e32 v1, v1, v4
	v_mov_b32_e32 v25, 0x8000
	s_mov_b32 s19, exec_lo
	v_and_b32_e32 v4, 0x7f800000, v1
	v_cmpx_ne_u32_e32 0x7f800000, v4
	s_cbranch_execz .LBB6_3772
; %bb.3765:                             ;   in Loop: Header=BB6_3292 Depth=3
	v_mov_b32_e32 v25, 0
	s_mov_b32 s22, exec_lo
	v_cmpx_ne_u32_e32 0, v1
	s_cbranch_execz .LBB6_3771
; %bb.3766:                             ;   in Loop: Header=BB6_3292 Depth=3
	v_bfe_u32 v5, v1, 23, 8
	v_and_b32_e32 v4, 0x7fffff, v1
	v_cmp_gt_u32_e64 s16, 0x71, v5
	v_sub_nc_u32_e32 v25, 0x70, v5
	v_cmp_eq_u32_e32 vcc_lo, 0, v5
	v_or_b32_e32 v31, 0x800000, v4
	v_cndmask_b32_e64 v25, 0, v25, s16
	v_cndmask_b32_e32 v4, v31, v4, vcc_lo
	v_cndmask_b32_e64 v25, v25, 0x6f, vcc_lo
	v_lshl_add_u32 v31, 0x200000, v25, -1
	v_lshlrev_b32_e64 v33, v25, 0x100000
	v_and_b32_e32 v31, v31, v4
	v_cmp_eq_u32_e64 s16, v31, v33
	v_lshrrev_b32_e32 v31, v25, v4
	v_add_nc_u32_e32 v4, 0xffffff91, v5
	v_lshrrev_b32_e32 v5, 23, v31
	v_cndmask_b32_e64 v4, v4, 0xffffff92, vcc_lo
	v_xor_b32_e32 v5, 1, v5
	v_add_nc_u32_e32 v4, v25, v4
	v_bfe_u32 v25, v31, 21, 1
	v_add_nc_u32_e32 v25, -1, v25
	v_cndmask_b32_e64 v25, 0, v25, s16
	s_mov_b32 s16, exec_lo
	v_add_nc_u32_e32 v25, v25, v31
	v_and_b32_e32 v25, 0x1fffff, v25
	v_add_nc_u32_e32 v25, v25, v31
                                        ; implicit-def: $vgpr31
	v_cmpx_ne_u32_e64 v4, v5
	s_xor_b32 s16, exec_lo, s16
; %bb.3767:                             ;   in Loop: Header=BB6_3292 Depth=3
	v_cmp_lt_u32_e32 vcc_lo, 0xffffff, v25
	v_sub_nc_u32_e32 v4, v4, v5
	v_cndmask_b32_e64 v5, 0, 1, vcc_lo
	v_add_co_ci_u32_e64 v31, null, 0, v4, vcc_lo
	v_lshrrev_b32_e32 v25, v5, v25
; %bb.3768:                             ;   in Loop: Header=BB6_3292 Depth=3
	s_andn2_saveexec_b32 s16, s16
; %bb.3769:                             ;   in Loop: Header=BB6_3292 Depth=3
	v_bfe_u32 v31, v25, 23, 1
; %bb.3770:                             ;   in Loop: Header=BB6_3292 Depth=3
	s_or_b32 exec_lo, exec_lo, s16
	v_lshrrev_b32_e32 v4, 21, v25
	v_min_i32_e32 v5, 31, v31
	v_cmp_gt_i32_e32 vcc_lo, 32, v31
	v_and_b32_sdwa v1, v1, v60 dst_sel:DWORD dst_unused:UNUSED_PAD src0_sel:BYTE_3 src1_sel:DWORD
	v_lshlrev_b32_e32 v5, 2, v5
	v_cndmask_b32_e32 v4, 3, v4, vcc_lo
	v_and_b32_e32 v5, 0xfc, v5
	v_or_b32_e32 v25, v31, v4
	v_and_b32_e32 v4, 3, v4
	v_cmp_ne_u32_e32 vcc_lo, 0, v25
	v_or3_b32 v1, v1, v5, v4
	v_lshlrev_b32_e32 v1, 8, v1
	v_cndmask_b32_e32 v25, 0, v1, vcc_lo
.LBB6_3771:                             ;   in Loop: Header=BB6_3292 Depth=3
	s_or_b32 exec_lo, exec_lo, s22
.LBB6_3772:                             ;   in Loop: Header=BB6_3292 Depth=3
	s_or_b32 exec_lo, exec_lo, s19
	v_cmp_gt_i16_sdwa s16, v34, v59 src0_sel:BYTE_0 src1_sel:DWORD
	s_mov_b32 s19, 0
	s_and_saveexec_b32 s22, s16
	s_xor_b32 s16, exec_lo, s22
	s_cbranch_execz .LBB6_4666
; %bb.3773:                             ;   in Loop: Header=BB6_3292 Depth=3
	v_cmp_eq_u16_sdwa s23, v34, v60 src0_sel:BYTE_0 src1_sel:DWORD
	s_mov_b32 s19, -1
	s_and_saveexec_b32 s22, s23
; %bb.3774:                             ;   in Loop: Header=BB6_3292 Depth=3
	s_xor_b32 s19, exec_lo, -1
; %bb.3775:                             ;   in Loop: Header=BB6_3292 Depth=3
	s_or_b32 exec_lo, exec_lo, s22
	s_and_b32 s19, s19, exec_lo
	s_or_saveexec_b32 s16, s16
	v_mov_b32_e32 v1, 0x7f800001
	s_xor_b32 exec_lo, exec_lo, s16
	s_cbranch_execnz .LBB6_4667
.LBB6_3776:                             ;   in Loop: Header=BB6_3292 Depth=3
	s_or_b32 exec_lo, exec_lo, s16
	s_and_saveexec_b32 s16, s19
	s_cbranch_execz .LBB6_3778
.LBB6_3777:                             ;   in Loop: Header=BB6_3292 Depth=3
	v_and_b32_e32 v1, 3, v34
	v_bfe_u32 v4, v34, 2, 5
	v_ffbh_u32_e32 v5, v1
	v_cmp_eq_u32_e32 vcc_lo, 0, v4
	v_min_u32_e32 v5, 32, v5
	v_subrev_nc_u32_e32 v31, 29, v5
	v_sub_nc_u32_e32 v5, 30, v5
	v_lshlrev_b32_e32 v31, v31, v34
	v_cndmask_b32_e32 v4, v4, v5, vcc_lo
	v_lshlrev_b32_e32 v5, 24, v34
	v_and_b32_e32 v31, 3, v31
	v_lshl_add_u32 v4, v4, 23, 0x37800000
	v_and_b32_e32 v5, 0x80000000, v5
	v_cndmask_b32_e32 v1, v1, v31, vcc_lo
	v_lshlrev_b32_e32 v1, 21, v1
	v_or3_b32 v1, v5, v4, v1
.LBB6_3778:                             ;   in Loop: Header=BB6_3292 Depth=3
	s_or_b32 exec_lo, exec_lo, s16
	v_cmp_gt_i16_sdwa s16, v26, v59 src0_sel:BYTE_0 src1_sel:DWORD
	s_mov_b32 s19, 0
	s_and_saveexec_b32 s22, s16
	s_xor_b32 s16, exec_lo, s22
	s_cbranch_execz .LBB6_4668
; %bb.3779:                             ;   in Loop: Header=BB6_3292 Depth=3
	v_cmp_eq_u16_sdwa s23, v26, v60 src0_sel:BYTE_0 src1_sel:DWORD
	s_mov_b32 s19, -1
	s_and_saveexec_b32 s22, s23
; %bb.3780:                             ;   in Loop: Header=BB6_3292 Depth=3
	s_xor_b32 s19, exec_lo, -1
; %bb.3781:                             ;   in Loop: Header=BB6_3292 Depth=3
	s_or_b32 exec_lo, exec_lo, s22
	s_and_b32 s19, s19, exec_lo
	s_or_saveexec_b32 s16, s16
	v_mov_b32_e32 v4, 0x7f800001
	s_xor_b32 exec_lo, exec_lo, s16
	s_cbranch_execnz .LBB6_4669
.LBB6_3782:                             ;   in Loop: Header=BB6_3292 Depth=3
	s_or_b32 exec_lo, exec_lo, s16
	s_and_saveexec_b32 s16, s19
	s_cbranch_execz .LBB6_3784
.LBB6_3783:                             ;   in Loop: Header=BB6_3292 Depth=3
	v_and_b32_e32 v4, 3, v26
	v_bfe_u32 v5, v26, 2, 5
	v_ffbh_u32_e32 v31, v4
	v_cmp_eq_u32_e32 vcc_lo, 0, v5
	v_min_u32_e32 v31, 32, v31
	v_subrev_nc_u32_e32 v33, 29, v31
	v_sub_nc_u32_e32 v31, 30, v31
	v_lshlrev_b32_e32 v33, v33, v26
	v_cndmask_b32_e32 v5, v5, v31, vcc_lo
	v_lshlrev_b32_e32 v31, 24, v26
	v_and_b32_e32 v33, 3, v33
	v_lshl_add_u32 v5, v5, 23, 0x37800000
	v_and_b32_e32 v31, 0x80000000, v31
	v_cndmask_b32_e32 v4, v4, v33, vcc_lo
	v_lshlrev_b32_e32 v4, 21, v4
	v_or3_b32 v4, v31, v5, v4
.LBB6_3784:                             ;   in Loop: Header=BB6_3292 Depth=3
	s_or_b32 exec_lo, exec_lo, s16
	v_mul_f32_e32 v1, v1, v4
	v_mov_b32_e32 v33, 0x80
	s_mov_b32 s19, exec_lo
	v_and_b32_e32 v4, 0x7f800000, v1
	v_cmpx_ne_u32_e32 0x7f800000, v4
	s_cbranch_execz .LBB6_3792
; %bb.3785:                             ;   in Loop: Header=BB6_3292 Depth=3
	v_mov_b32_e32 v33, 0
	s_mov_b32 s22, exec_lo
	v_cmpx_ne_u32_e32 0, v1
	s_cbranch_execz .LBB6_3791
; %bb.3786:                             ;   in Loop: Header=BB6_3292 Depth=3
	v_bfe_u32 v5, v1, 23, 8
	v_and_b32_e32 v4, 0x7fffff, v1
	v_cmp_gt_u32_e64 s16, 0x71, v5
	v_sub_nc_u32_e32 v31, 0x70, v5
	v_cmp_eq_u32_e32 vcc_lo, 0, v5
	v_or_b32_e32 v33, 0x800000, v4
	v_cndmask_b32_e64 v31, 0, v31, s16
	v_cndmask_b32_e32 v4, v33, v4, vcc_lo
	v_cndmask_b32_e64 v31, v31, 0x6f, vcc_lo
	v_lshl_add_u32 v33, 0x200000, v31, -1
	v_lshlrev_b32_e64 v82, v31, 0x100000
	v_and_b32_e32 v33, v33, v4
	v_cmp_eq_u32_e64 s16, v33, v82
	v_lshrrev_b32_e32 v33, v31, v4
	v_add_nc_u32_e32 v4, 0xffffff91, v5
	v_lshrrev_b32_e32 v5, 23, v33
	v_cndmask_b32_e64 v4, v4, 0xffffff92, vcc_lo
	v_xor_b32_e32 v5, 1, v5
	v_add_nc_u32_e32 v4, v31, v4
	v_bfe_u32 v31, v33, 21, 1
	v_add_nc_u32_e32 v31, -1, v31
	v_cndmask_b32_e64 v31, 0, v31, s16
	s_mov_b32 s16, exec_lo
	v_add_nc_u32_e32 v31, v31, v33
	v_and_b32_e32 v31, 0x1fffff, v31
	v_add_nc_u32_e32 v31, v31, v33
                                        ; implicit-def: $vgpr33
	v_cmpx_ne_u32_e64 v4, v5
	s_xor_b32 s16, exec_lo, s16
; %bb.3787:                             ;   in Loop: Header=BB6_3292 Depth=3
	v_cmp_lt_u32_e32 vcc_lo, 0xffffff, v31
	v_sub_nc_u32_e32 v4, v4, v5
	v_cndmask_b32_e64 v5, 0, 1, vcc_lo
	v_add_co_ci_u32_e64 v33, null, 0, v4, vcc_lo
	v_lshrrev_b32_e32 v31, v5, v31
; %bb.3788:                             ;   in Loop: Header=BB6_3292 Depth=3
	s_andn2_saveexec_b32 s16, s16
; %bb.3789:                             ;   in Loop: Header=BB6_3292 Depth=3
	v_bfe_u32 v33, v31, 23, 1
; %bb.3790:                             ;   in Loop: Header=BB6_3292 Depth=3
	s_or_b32 exec_lo, exec_lo, s16
	v_lshrrev_b32_e32 v4, 21, v31
	v_min_i32_e32 v5, 31, v33
	v_cmp_gt_i32_e32 vcc_lo, 32, v33
	v_and_b32_sdwa v1, v1, v60 dst_sel:DWORD dst_unused:UNUSED_PAD src0_sel:BYTE_3 src1_sel:DWORD
	v_lshlrev_b32_e32 v5, 2, v5
	v_cndmask_b32_e32 v4, 3, v4, vcc_lo
	v_and_b32_e32 v5, 0xfc, v5
	v_or_b32_e32 v31, v33, v4
	v_and_b32_e32 v4, 3, v4
	v_cmp_ne_u32_e32 vcc_lo, 0, v31
	v_or3_b32 v1, v5, v1, v4
	v_cndmask_b32_e32 v33, 0, v1, vcc_lo
.LBB6_3791:                             ;   in Loop: Header=BB6_3292 Depth=3
	s_or_b32 exec_lo, exec_lo, s22
.LBB6_3792:                             ;   in Loop: Header=BB6_3292 Depth=3
	s_or_b32 exec_lo, exec_lo, s19
	v_cmp_gt_i16_sdwa s19, v34, v59 src0_sel:BYTE_1 src1_sel:DWORD
	s_mov_b32 s16, 0
	s_and_saveexec_b32 s22, s19
	s_xor_b32 s19, exec_lo, s22
	s_cbranch_execz .LBB6_4670
; %bb.3793:                             ;   in Loop: Header=BB6_3292 Depth=3
	v_cmp_eq_u16_sdwa s23, v34, v60 src0_sel:BYTE_1 src1_sel:DWORD
	s_mov_b32 s16, -1
	s_and_saveexec_b32 s22, s23
; %bb.3794:                             ;   in Loop: Header=BB6_3292 Depth=3
	s_xor_b32 s16, exec_lo, -1
; %bb.3795:                             ;   in Loop: Header=BB6_3292 Depth=3
	s_or_b32 exec_lo, exec_lo, s22
	s_and_b32 s16, s16, exec_lo
	s_or_saveexec_b32 s19, s19
	v_mov_b32_e32 v1, 0x7f800001
	s_xor_b32 exec_lo, exec_lo, s19
	s_cbranch_execnz .LBB6_4671
.LBB6_3796:                             ;   in Loop: Header=BB6_3292 Depth=3
	s_or_b32 exec_lo, exec_lo, s19
	s_and_saveexec_b32 s19, s16
	s_cbranch_execz .LBB6_3798
.LBB6_3797:                             ;   in Loop: Header=BB6_3292 Depth=3
	v_and_b32_sdwa v1, v61, v34 dst_sel:DWORD dst_unused:UNUSED_PAD src0_sel:DWORD src1_sel:BYTE_1
	v_and_b32_e32 v4, 3, v1
	v_bfe_u32 v82, v1, 2, 5
	v_ffbh_u32_e32 v5, v4
	v_cmp_eq_u32_e32 vcc_lo, 0, v82
	v_min_u32_e32 v5, 32, v5
	v_subrev_nc_u32_e32 v31, 29, v5
	v_sub_nc_u32_e32 v5, 30, v5
	v_lshlrev_b32_e32 v1, v31, v1
	v_lshlrev_b32_sdwa v31, v62, v34 dst_sel:DWORD dst_unused:UNUSED_PAD src0_sel:DWORD src1_sel:BYTE_1
	v_cndmask_b32_e32 v5, v82, v5, vcc_lo
	v_and_b32_e32 v1, 3, v1
	v_lshl_add_u32 v5, v5, 23, 0x37800000
	v_cndmask_b32_e32 v1, v4, v1, vcc_lo
	v_and_b32_e32 v4, 0x80000000, v31
	v_lshlrev_b32_e32 v1, 21, v1
	v_or3_b32 v1, v4, v5, v1
.LBB6_3798:                             ;   in Loop: Header=BB6_3292 Depth=3
	s_or_b32 exec_lo, exec_lo, s19
	v_cmp_gt_i16_sdwa s19, v26, v59 src0_sel:BYTE_1 src1_sel:DWORD
	s_mov_b32 s16, 0
	s_and_saveexec_b32 s22, s19
	s_xor_b32 s19, exec_lo, s22
	s_cbranch_execz .LBB6_4672
; %bb.3799:                             ;   in Loop: Header=BB6_3292 Depth=3
	v_cmp_eq_u16_sdwa s23, v26, v60 src0_sel:BYTE_1 src1_sel:DWORD
	s_mov_b32 s16, -1
	s_and_saveexec_b32 s22, s23
; %bb.3800:                             ;   in Loop: Header=BB6_3292 Depth=3
	s_xor_b32 s16, exec_lo, -1
; %bb.3801:                             ;   in Loop: Header=BB6_3292 Depth=3
	s_or_b32 exec_lo, exec_lo, s22
	s_and_b32 s16, s16, exec_lo
	s_or_saveexec_b32 s19, s19
	v_mov_b32_e32 v4, 0x7f800001
	s_xor_b32 exec_lo, exec_lo, s19
	s_cbranch_execnz .LBB6_4673
.LBB6_3802:                             ;   in Loop: Header=BB6_3292 Depth=3
	s_or_b32 exec_lo, exec_lo, s19
	s_and_saveexec_b32 s19, s16
	s_cbranch_execz .LBB6_3804
.LBB6_3803:                             ;   in Loop: Header=BB6_3292 Depth=3
	v_and_b32_sdwa v4, v61, v26 dst_sel:DWORD dst_unused:UNUSED_PAD src0_sel:DWORD src1_sel:BYTE_1
	v_and_b32_e32 v5, 3, v4
	v_bfe_u32 v83, v4, 2, 5
	v_ffbh_u32_e32 v31, v5
	v_cmp_eq_u32_e32 vcc_lo, 0, v83
	v_min_u32_e32 v31, 32, v31
	v_subrev_nc_u32_e32 v82, 29, v31
	v_sub_nc_u32_e32 v31, 30, v31
	v_lshlrev_b32_e32 v4, v82, v4
	v_lshlrev_b32_sdwa v82, v62, v26 dst_sel:DWORD dst_unused:UNUSED_PAD src0_sel:DWORD src1_sel:BYTE_1
	v_cndmask_b32_e32 v31, v83, v31, vcc_lo
	v_and_b32_e32 v4, 3, v4
	v_lshl_add_u32 v31, v31, 23, 0x37800000
	v_cndmask_b32_e32 v4, v5, v4, vcc_lo
	v_and_b32_e32 v5, 0x80000000, v82
	v_lshlrev_b32_e32 v4, 21, v4
	v_or3_b32 v4, v5, v31, v4
.LBB6_3804:                             ;   in Loop: Header=BB6_3292 Depth=3
	s_or_b32 exec_lo, exec_lo, s19
	v_mul_f32_e32 v1, v1, v4
	v_and_b32_e32 v4, 0x7f800000, v1
	v_cmp_ne_u32_e32 vcc_lo, 0x7f800000, v4
	v_mov_b32_e32 v4, 0x8000
	s_and_saveexec_b32 s19, vcc_lo
	s_cbranch_execz .LBB6_3812
; %bb.3805:                             ;   in Loop: Header=BB6_3292 Depth=3
	v_mov_b32_e32 v4, 0
	s_mov_b32 s22, exec_lo
	v_cmpx_ne_u32_e32 0, v1
	s_cbranch_execz .LBB6_3811
; %bb.3806:                             ;   in Loop: Header=BB6_3292 Depth=3
	v_bfe_u32 v5, v1, 23, 8
	v_and_b32_e32 v4, 0x7fffff, v1
	v_cmp_gt_u32_e64 s16, 0x71, v5
	v_sub_nc_u32_e32 v31, 0x70, v5
	v_cmp_eq_u32_e32 vcc_lo, 0, v5
	v_or_b32_e32 v82, 0x800000, v4
	v_cndmask_b32_e64 v31, 0, v31, s16
	v_cndmask_b32_e32 v4, v82, v4, vcc_lo
	v_cndmask_b32_e64 v31, v31, 0x6f, vcc_lo
	v_lshl_add_u32 v82, 0x200000, v31, -1
	v_lshlrev_b32_e64 v83, v31, 0x100000
	v_and_b32_e32 v82, v82, v4
	v_cmp_eq_u32_e64 s16, v82, v83
	v_lshrrev_b32_e32 v82, v31, v4
	v_add_nc_u32_e32 v4, 0xffffff91, v5
	v_lshrrev_b32_e32 v5, 23, v82
	v_cndmask_b32_e64 v4, v4, 0xffffff92, vcc_lo
	v_xor_b32_e32 v5, 1, v5
	v_add_nc_u32_e32 v4, v31, v4
	v_bfe_u32 v31, v82, 21, 1
	v_add_nc_u32_e32 v31, -1, v31
	v_cndmask_b32_e64 v31, 0, v31, s16
	s_mov_b32 s16, exec_lo
	v_add_nc_u32_e32 v31, v31, v82
	v_and_b32_e32 v31, 0x1fffff, v31
	v_add_nc_u32_e32 v31, v31, v82
                                        ; implicit-def: $vgpr82
	v_cmpx_ne_u32_e64 v4, v5
	s_xor_b32 s16, exec_lo, s16
; %bb.3807:                             ;   in Loop: Header=BB6_3292 Depth=3
	v_cmp_lt_u32_e32 vcc_lo, 0xffffff, v31
	v_sub_nc_u32_e32 v4, v4, v5
	v_cndmask_b32_e64 v5, 0, 1, vcc_lo
	v_add_co_ci_u32_e64 v82, null, 0, v4, vcc_lo
	v_lshrrev_b32_e32 v31, v5, v31
; %bb.3808:                             ;   in Loop: Header=BB6_3292 Depth=3
	s_andn2_saveexec_b32 s16, s16
; %bb.3809:                             ;   in Loop: Header=BB6_3292 Depth=3
	v_bfe_u32 v82, v31, 23, 1
; %bb.3810:                             ;   in Loop: Header=BB6_3292 Depth=3
	s_or_b32 exec_lo, exec_lo, s16
	v_lshrrev_b32_e32 v4, 21, v31
	v_min_i32_e32 v5, 31, v82
	v_cmp_gt_i32_e32 vcc_lo, 32, v82
	v_and_b32_sdwa v1, v1, v60 dst_sel:DWORD dst_unused:UNUSED_PAD src0_sel:BYTE_3 src1_sel:DWORD
	v_lshlrev_b32_e32 v5, 2, v5
	v_cndmask_b32_e32 v4, 3, v4, vcc_lo
	v_and_b32_e32 v5, 0xfc, v5
	v_or_b32_e32 v31, v82, v4
	v_and_b32_e32 v4, 3, v4
	v_cmp_ne_u32_e32 vcc_lo, 0, v31
	v_or3_b32 v1, v1, v5, v4
	v_lshlrev_b32_e32 v1, 8, v1
	v_cndmask_b32_e32 v4, 0, v1, vcc_lo
.LBB6_3811:                             ;   in Loop: Header=BB6_3292 Depth=3
	s_or_b32 exec_lo, exec_lo, s22
.LBB6_3812:                             ;   in Loop: Header=BB6_3292 Depth=3
	s_or_b32 exec_lo, exec_lo, s19
	v_and_b32_sdwa v5, v34, v63 dst_sel:DWORD dst_unused:UNUSED_PAD src0_sel:WORD_1 src1_sel:DWORD
	s_mov_b32 s19, 0
	s_mov_b32 s16, exec_lo
	v_cmpx_lt_i16_e32 0x7f, v5
	s_xor_b32 s16, exec_lo, s16
	s_cbranch_execz .LBB6_4674
; %bb.3813:                             ;   in Loop: Header=BB6_3292 Depth=3
	s_mov_b32 s19, -1
	s_mov_b32 s22, exec_lo
	v_cmpx_eq_u16_e32 0x80, v5
; %bb.3814:                             ;   in Loop: Header=BB6_3292 Depth=3
	s_xor_b32 s19, exec_lo, -1
; %bb.3815:                             ;   in Loop: Header=BB6_3292 Depth=3
	s_or_b32 exec_lo, exec_lo, s22
	s_and_b32 s19, s19, exec_lo
                                        ; implicit-def: $vgpr5
	s_or_saveexec_b32 s16, s16
	v_mov_b32_e32 v1, 0x7f800001
	s_xor_b32 exec_lo, exec_lo, s16
	s_cbranch_execnz .LBB6_4675
.LBB6_3816:                             ;   in Loop: Header=BB6_3292 Depth=3
	s_or_b32 exec_lo, exec_lo, s16
	s_and_saveexec_b32 s16, s19
	s_cbranch_execz .LBB6_3818
.LBB6_3817:                             ;   in Loop: Header=BB6_3292 Depth=3
	v_bfe_u32 v1, v34, 16, 2
	v_bfe_u32 v5, v34, 18, 5
	v_ffbh_u32_e32 v31, v1
	v_cmp_eq_u32_e32 vcc_lo, 0, v5
	v_min_u32_e32 v31, 32, v31
	v_subrev_nc_u32_e32 v82, 29, v31
	v_sub_nc_u32_e32 v31, 30, v31
	v_lshlrev_b32_sdwa v82, v82, v34 dst_sel:DWORD dst_unused:UNUSED_PAD src0_sel:DWORD src1_sel:WORD_1
	v_cndmask_b32_e32 v5, v5, v31, vcc_lo
	v_lshlrev_b32_e32 v31, 8, v34
	v_and_b32_e32 v82, 3, v82
	v_lshl_add_u32 v5, v5, 23, 0x37800000
	v_and_b32_e32 v31, 0x80000000, v31
	v_cndmask_b32_e32 v1, v1, v82, vcc_lo
	v_lshlrev_b32_e32 v1, 21, v1
	v_or3_b32 v1, v31, v5, v1
.LBB6_3818:                             ;   in Loop: Header=BB6_3292 Depth=3
	s_or_b32 exec_lo, exec_lo, s16
	v_and_b32_sdwa v31, v26, v63 dst_sel:DWORD dst_unused:UNUSED_PAD src0_sel:WORD_1 src1_sel:DWORD
	s_mov_b32 s19, 0
	s_mov_b32 s16, exec_lo
	v_cmpx_lt_i16_e32 0x7f, v31
	s_xor_b32 s16, exec_lo, s16
	s_cbranch_execz .LBB6_4676
; %bb.3819:                             ;   in Loop: Header=BB6_3292 Depth=3
	s_mov_b32 s19, -1
	s_mov_b32 s22, exec_lo
	v_cmpx_eq_u16_e32 0x80, v31
; %bb.3820:                             ;   in Loop: Header=BB6_3292 Depth=3
	s_xor_b32 s19, exec_lo, -1
; %bb.3821:                             ;   in Loop: Header=BB6_3292 Depth=3
	s_or_b32 exec_lo, exec_lo, s22
	s_and_b32 s19, s19, exec_lo
                                        ; implicit-def: $vgpr31
	s_or_saveexec_b32 s16, s16
	v_mov_b32_e32 v5, 0x7f800001
	s_xor_b32 exec_lo, exec_lo, s16
	s_cbranch_execnz .LBB6_4677
.LBB6_3822:                             ;   in Loop: Header=BB6_3292 Depth=3
	s_or_b32 exec_lo, exec_lo, s16
	s_and_saveexec_b32 s16, s19
	s_cbranch_execz .LBB6_3824
.LBB6_3823:                             ;   in Loop: Header=BB6_3292 Depth=3
	v_bfe_u32 v5, v26, 16, 2
	v_bfe_u32 v31, v26, 18, 5
	v_ffbh_u32_e32 v82, v5
	v_cmp_eq_u32_e32 vcc_lo, 0, v31
	v_min_u32_e32 v82, 32, v82
	v_subrev_nc_u32_e32 v83, 29, v82
	v_sub_nc_u32_e32 v82, 30, v82
	v_lshlrev_b32_sdwa v83, v83, v26 dst_sel:DWORD dst_unused:UNUSED_PAD src0_sel:DWORD src1_sel:WORD_1
	v_cndmask_b32_e32 v31, v31, v82, vcc_lo
	v_lshlrev_b32_e32 v82, 8, v26
	v_and_b32_e32 v83, 3, v83
	v_lshl_add_u32 v31, v31, 23, 0x37800000
	v_and_b32_e32 v82, 0x80000000, v82
	v_cndmask_b32_e32 v5, v5, v83, vcc_lo
	v_lshlrev_b32_e32 v5, 21, v5
	v_or3_b32 v5, v82, v31, v5
.LBB6_3824:                             ;   in Loop: Header=BB6_3292 Depth=3
	s_or_b32 exec_lo, exec_lo, s16
	v_mul_f32_e32 v1, v1, v5
	v_and_b32_e32 v5, 0x7f800000, v1
	v_cmp_ne_u32_e32 vcc_lo, 0x7f800000, v5
	v_mov_b32_e32 v5, 0x80
	s_and_saveexec_b32 s19, vcc_lo
	s_cbranch_execz .LBB6_3832
; %bb.3825:                             ;   in Loop: Header=BB6_3292 Depth=3
	v_mov_b32_e32 v5, 0
	s_mov_b32 s22, exec_lo
	v_cmpx_ne_u32_e32 0, v1
	s_cbranch_execz .LBB6_3831
; %bb.3826:                             ;   in Loop: Header=BB6_3292 Depth=3
	v_bfe_u32 v31, v1, 23, 8
	v_and_b32_e32 v5, 0x7fffff, v1
	v_cmp_gt_u32_e64 s16, 0x71, v31
	v_sub_nc_u32_e32 v82, 0x70, v31
	v_cmp_eq_u32_e32 vcc_lo, 0, v31
	v_or_b32_e32 v83, 0x800000, v5
	v_cndmask_b32_e64 v82, 0, v82, s16
	v_cndmask_b32_e32 v5, v83, v5, vcc_lo
	v_cndmask_b32_e64 v82, v82, 0x6f, vcc_lo
	v_lshl_add_u32 v83, 0x200000, v82, -1
	v_lshlrev_b32_e64 v86, v82, 0x100000
	v_and_b32_e32 v83, v83, v5
	v_cmp_eq_u32_e64 s16, v83, v86
	v_lshrrev_b32_e32 v83, v82, v5
	v_add_nc_u32_e32 v5, 0xffffff91, v31
	v_lshrrev_b32_e32 v31, 23, v83
	v_cndmask_b32_e64 v5, v5, 0xffffff92, vcc_lo
	v_xor_b32_e32 v31, 1, v31
	v_add_nc_u32_e32 v5, v82, v5
	v_bfe_u32 v82, v83, 21, 1
	v_add_nc_u32_e32 v82, -1, v82
	v_cndmask_b32_e64 v82, 0, v82, s16
	s_mov_b32 s16, exec_lo
	v_add_nc_u32_e32 v82, v82, v83
	v_and_b32_e32 v82, 0x1fffff, v82
	v_add_nc_u32_e32 v82, v82, v83
                                        ; implicit-def: $vgpr83
	v_cmpx_ne_u32_e64 v5, v31
	s_xor_b32 s16, exec_lo, s16
; %bb.3827:                             ;   in Loop: Header=BB6_3292 Depth=3
	v_cmp_lt_u32_e32 vcc_lo, 0xffffff, v82
	v_sub_nc_u32_e32 v5, v5, v31
	v_cndmask_b32_e64 v31, 0, 1, vcc_lo
	v_add_co_ci_u32_e64 v83, null, 0, v5, vcc_lo
	v_lshrrev_b32_e32 v82, v31, v82
; %bb.3828:                             ;   in Loop: Header=BB6_3292 Depth=3
	s_andn2_saveexec_b32 s16, s16
; %bb.3829:                             ;   in Loop: Header=BB6_3292 Depth=3
	v_bfe_u32 v83, v82, 23, 1
; %bb.3830:                             ;   in Loop: Header=BB6_3292 Depth=3
	s_or_b32 exec_lo, exec_lo, s16
	v_lshrrev_b32_e32 v5, 21, v82
	v_min_i32_e32 v31, 31, v83
	v_cmp_gt_i32_e32 vcc_lo, 32, v83
	v_and_b32_sdwa v1, v1, v60 dst_sel:DWORD dst_unused:UNUSED_PAD src0_sel:BYTE_3 src1_sel:DWORD
	v_lshlrev_b32_e32 v31, 2, v31
	v_cndmask_b32_e32 v5, 3, v5, vcc_lo
	v_and_b32_e32 v31, 0xfc, v31
	v_or_b32_e32 v82, v83, v5
	v_and_b32_e32 v5, 3, v5
	v_cmp_ne_u32_e32 vcc_lo, 0, v82
	v_or3_b32 v1, v31, v1, v5
	v_cndmask_b32_e32 v5, 0, v1, vcc_lo
.LBB6_3831:                             ;   in Loop: Header=BB6_3292 Depth=3
	s_or_b32 exec_lo, exec_lo, s22
.LBB6_3832:                             ;   in Loop: Header=BB6_3292 Depth=3
	s_or_b32 exec_lo, exec_lo, s19
	v_cmp_gt_i16_sdwa s19, v34, v59 src0_sel:BYTE_3 src1_sel:DWORD
	s_mov_b32 s16, 0
	s_and_saveexec_b32 s22, s19
	s_xor_b32 s19, exec_lo, s22
	s_cbranch_execz .LBB6_4678
; %bb.3833:                             ;   in Loop: Header=BB6_3292 Depth=3
	v_cmp_eq_u16_sdwa s23, v34, v60 src0_sel:BYTE_3 src1_sel:DWORD
	s_mov_b32 s16, -1
	s_and_saveexec_b32 s22, s23
; %bb.3834:                             ;   in Loop: Header=BB6_3292 Depth=3
	s_xor_b32 s16, exec_lo, -1
; %bb.3835:                             ;   in Loop: Header=BB6_3292 Depth=3
	s_or_b32 exec_lo, exec_lo, s22
	s_and_b32 s16, s16, exec_lo
	s_or_saveexec_b32 s19, s19
	v_mov_b32_e32 v1, 0x7f800001
	s_xor_b32 exec_lo, exec_lo, s19
	s_cbranch_execnz .LBB6_4679
.LBB6_3836:                             ;   in Loop: Header=BB6_3292 Depth=3
	s_or_b32 exec_lo, exec_lo, s19
	s_and_saveexec_b32 s19, s16
	s_cbranch_execz .LBB6_3838
.LBB6_3837:                             ;   in Loop: Header=BB6_3292 Depth=3
	v_bfe_u32 v1, v34, 24, 2
	v_bfe_u32 v83, v34, 26, 5
	v_ffbh_u32_e32 v31, v1
	v_cmp_eq_u32_e32 vcc_lo, 0, v83
	v_min_u32_e32 v31, 32, v31
	v_subrev_nc_u32_e32 v82, 29, v31
	v_sub_nc_u32_e32 v31, 30, v31
	v_lshlrev_b32_sdwa v82, v82, v34 dst_sel:DWORD dst_unused:UNUSED_PAD src0_sel:DWORD src1_sel:BYTE_3
	v_cndmask_b32_e32 v31, v83, v31, vcc_lo
	v_and_b32_e32 v34, 0x80000000, v34
	v_and_b32_e32 v82, 3, v82
	v_lshl_add_u32 v31, v31, 23, 0x37800000
	v_cndmask_b32_e32 v1, v1, v82, vcc_lo
	v_lshlrev_b32_e32 v1, 21, v1
	v_or3_b32 v1, v34, v31, v1
.LBB6_3838:                             ;   in Loop: Header=BB6_3292 Depth=3
	s_or_b32 exec_lo, exec_lo, s19
	v_cmp_gt_i16_sdwa s19, v26, v59 src0_sel:BYTE_3 src1_sel:DWORD
	s_mov_b32 s16, 0
	s_and_saveexec_b32 s22, s19
	s_xor_b32 s19, exec_lo, s22
	s_cbranch_execz .LBB6_4680
; %bb.3839:                             ;   in Loop: Header=BB6_3292 Depth=3
	v_cmp_eq_u16_sdwa s23, v26, v60 src0_sel:BYTE_3 src1_sel:DWORD
	s_mov_b32 s16, -1
	s_and_saveexec_b32 s22, s23
; %bb.3840:                             ;   in Loop: Header=BB6_3292 Depth=3
	s_xor_b32 s16, exec_lo, -1
; %bb.3841:                             ;   in Loop: Header=BB6_3292 Depth=3
	s_or_b32 exec_lo, exec_lo, s22
	s_and_b32 s16, s16, exec_lo
	s_or_saveexec_b32 s19, s19
	v_mov_b32_e32 v31, 0x7f800001
	s_xor_b32 exec_lo, exec_lo, s19
	s_cbranch_execnz .LBB6_4681
.LBB6_3842:                             ;   in Loop: Header=BB6_3292 Depth=3
	s_or_b32 exec_lo, exec_lo, s19
	s_and_saveexec_b32 s19, s16
	s_cbranch_execz .LBB6_3844
.LBB6_3843:                             ;   in Loop: Header=BB6_3292 Depth=3
	v_bfe_u32 v31, v26, 24, 2
	v_bfe_u32 v83, v26, 26, 5
	v_ffbh_u32_e32 v34, v31
	v_cmp_eq_u32_e32 vcc_lo, 0, v83
	v_min_u32_e32 v34, 32, v34
	v_subrev_nc_u32_e32 v82, 29, v34
	v_sub_nc_u32_e32 v34, 30, v34
	v_lshlrev_b32_sdwa v82, v82, v26 dst_sel:DWORD dst_unused:UNUSED_PAD src0_sel:DWORD src1_sel:BYTE_3
	v_cndmask_b32_e32 v34, v83, v34, vcc_lo
	v_and_b32_e32 v26, 0x80000000, v26
	v_and_b32_e32 v82, 3, v82
	v_lshl_add_u32 v34, v34, 23, 0x37800000
	v_cndmask_b32_e32 v31, v31, v82, vcc_lo
	v_lshlrev_b32_e32 v31, 21, v31
	v_or3_b32 v31, v26, v34, v31
.LBB6_3844:                             ;   in Loop: Header=BB6_3292 Depth=3
	s_or_b32 exec_lo, exec_lo, s19
	v_mul_f32_e32 v1, v1, v31
	v_and_b32_e32 v26, 0x7f800000, v1
	v_cmp_ne_u32_e32 vcc_lo, 0x7f800000, v26
	v_mov_b32_e32 v26, 0x8000
	s_and_saveexec_b32 s19, vcc_lo
	s_cbranch_execz .LBB6_3852
; %bb.3845:                             ;   in Loop: Header=BB6_3292 Depth=3
	v_mov_b32_e32 v26, 0
	s_mov_b32 s22, exec_lo
	v_cmpx_ne_u32_e32 0, v1
	s_cbranch_execz .LBB6_3851
; %bb.3846:                             ;   in Loop: Header=BB6_3292 Depth=3
	v_bfe_u32 v31, v1, 23, 8
	v_and_b32_e32 v26, 0x7fffff, v1
	v_cmp_gt_u32_e64 s16, 0x71, v31
	v_sub_nc_u32_e32 v34, 0x70, v31
	v_cmp_eq_u32_e32 vcc_lo, 0, v31
	v_or_b32_e32 v82, 0x800000, v26
	v_cndmask_b32_e64 v34, 0, v34, s16
	v_cndmask_b32_e32 v26, v82, v26, vcc_lo
	v_cndmask_b32_e64 v34, v34, 0x6f, vcc_lo
	v_lshl_add_u32 v82, 0x200000, v34, -1
	v_lshlrev_b32_e64 v83, v34, 0x100000
	v_and_b32_e32 v82, v82, v26
	v_cmp_eq_u32_e64 s16, v82, v83
	v_lshrrev_b32_e32 v82, v34, v26
	v_add_nc_u32_e32 v26, 0xffffff91, v31
	v_lshrrev_b32_e32 v31, 23, v82
	v_cndmask_b32_e64 v26, v26, 0xffffff92, vcc_lo
	v_xor_b32_e32 v31, 1, v31
	v_add_nc_u32_e32 v26, v34, v26
	v_bfe_u32 v34, v82, 21, 1
	v_add_nc_u32_e32 v34, -1, v34
	v_cndmask_b32_e64 v34, 0, v34, s16
	s_mov_b32 s16, exec_lo
	v_add_nc_u32_e32 v34, v34, v82
	v_and_b32_e32 v34, 0x1fffff, v34
	v_add_nc_u32_e32 v34, v34, v82
                                        ; implicit-def: $vgpr82
	v_cmpx_ne_u32_e64 v26, v31
	s_xor_b32 s16, exec_lo, s16
; %bb.3847:                             ;   in Loop: Header=BB6_3292 Depth=3
	v_cmp_lt_u32_e32 vcc_lo, 0xffffff, v34
	v_sub_nc_u32_e32 v26, v26, v31
	v_cndmask_b32_e64 v31, 0, 1, vcc_lo
	v_add_co_ci_u32_e64 v82, null, 0, v26, vcc_lo
	v_lshrrev_b32_e32 v34, v31, v34
; %bb.3848:                             ;   in Loop: Header=BB6_3292 Depth=3
	s_andn2_saveexec_b32 s16, s16
; %bb.3849:                             ;   in Loop: Header=BB6_3292 Depth=3
	v_bfe_u32 v82, v34, 23, 1
; %bb.3850:                             ;   in Loop: Header=BB6_3292 Depth=3
	s_or_b32 exec_lo, exec_lo, s16
	v_lshrrev_b32_e32 v26, 21, v34
	v_min_i32_e32 v31, 31, v82
	v_cmp_gt_i32_e32 vcc_lo, 32, v82
	v_and_b32_sdwa v1, v1, v60 dst_sel:DWORD dst_unused:UNUSED_PAD src0_sel:BYTE_3 src1_sel:DWORD
	v_lshlrev_b32_e32 v31, 2, v31
	v_cndmask_b32_e32 v26, 3, v26, vcc_lo
	v_and_b32_e32 v31, 0xfc, v31
	v_or_b32_e32 v34, v82, v26
	v_and_b32_e32 v26, 3, v26
	v_cmp_ne_u32_e32 vcc_lo, 0, v34
	v_or3_b32 v1, v1, v31, v26
	v_lshlrev_b32_e32 v1, 8, v1
	v_cndmask_b32_e32 v26, 0, v1, vcc_lo
.LBB6_3851:                             ;   in Loop: Header=BB6_3292 Depth=3
	s_or_b32 exec_lo, exec_lo, s22
.LBB6_3852:                             ;   in Loop: Header=BB6_3292 Depth=3
	s_or_b32 exec_lo, exec_lo, s19
	v_cmp_gt_i16_sdwa s16, v35, v59 src0_sel:BYTE_0 src1_sel:DWORD
	s_mov_b32 s19, 0
	s_and_saveexec_b32 s22, s16
	s_xor_b32 s16, exec_lo, s22
	s_cbranch_execz .LBB6_4682
; %bb.3853:                             ;   in Loop: Header=BB6_3292 Depth=3
	v_cmp_eq_u16_sdwa s23, v35, v60 src0_sel:BYTE_0 src1_sel:DWORD
	s_mov_b32 s19, -1
	s_and_saveexec_b32 s22, s23
; %bb.3854:                             ;   in Loop: Header=BB6_3292 Depth=3
	s_xor_b32 s19, exec_lo, -1
; %bb.3855:                             ;   in Loop: Header=BB6_3292 Depth=3
	s_or_b32 exec_lo, exec_lo, s22
	s_and_b32 s19, s19, exec_lo
	s_or_saveexec_b32 s16, s16
	v_mov_b32_e32 v1, 0x7f800001
	s_xor_b32 exec_lo, exec_lo, s16
	s_cbranch_execnz .LBB6_4683
.LBB6_3856:                             ;   in Loop: Header=BB6_3292 Depth=3
	s_or_b32 exec_lo, exec_lo, s16
	s_and_saveexec_b32 s16, s19
	s_cbranch_execz .LBB6_3858
.LBB6_3857:                             ;   in Loop: Header=BB6_3292 Depth=3
	v_and_b32_e32 v1, 3, v35
	v_bfe_u32 v31, v35, 2, 5
	v_ffbh_u32_e32 v34, v1
	v_cmp_eq_u32_e32 vcc_lo, 0, v31
	v_min_u32_e32 v34, 32, v34
	v_subrev_nc_u32_e32 v82, 29, v34
	v_sub_nc_u32_e32 v34, 30, v34
	v_lshlrev_b32_e32 v82, v82, v35
	v_cndmask_b32_e32 v31, v31, v34, vcc_lo
	v_lshlrev_b32_e32 v34, 24, v35
	v_and_b32_e32 v82, 3, v82
	v_lshl_add_u32 v31, v31, 23, 0x37800000
	v_and_b32_e32 v34, 0x80000000, v34
	v_cndmask_b32_e32 v1, v1, v82, vcc_lo
	v_lshlrev_b32_e32 v1, 21, v1
	v_or3_b32 v1, v34, v31, v1
.LBB6_3858:                             ;   in Loop: Header=BB6_3292 Depth=3
	s_or_b32 exec_lo, exec_lo, s16
	v_cmp_gt_i16_sdwa s16, v27, v59 src0_sel:BYTE_0 src1_sel:DWORD
	s_mov_b32 s19, 0
	s_and_saveexec_b32 s22, s16
	s_xor_b32 s16, exec_lo, s22
	s_cbranch_execz .LBB6_4684
; %bb.3859:                             ;   in Loop: Header=BB6_3292 Depth=3
	v_cmp_eq_u16_sdwa s23, v27, v60 src0_sel:BYTE_0 src1_sel:DWORD
	s_mov_b32 s19, -1
	s_and_saveexec_b32 s22, s23
; %bb.3860:                             ;   in Loop: Header=BB6_3292 Depth=3
	s_xor_b32 s19, exec_lo, -1
; %bb.3861:                             ;   in Loop: Header=BB6_3292 Depth=3
	s_or_b32 exec_lo, exec_lo, s22
	s_and_b32 s19, s19, exec_lo
	s_or_saveexec_b32 s16, s16
	v_mov_b32_e32 v31, 0x7f800001
	s_xor_b32 exec_lo, exec_lo, s16
	s_cbranch_execnz .LBB6_4685
.LBB6_3862:                             ;   in Loop: Header=BB6_3292 Depth=3
	s_or_b32 exec_lo, exec_lo, s16
	s_and_saveexec_b32 s16, s19
	s_cbranch_execz .LBB6_3864
.LBB6_3863:                             ;   in Loop: Header=BB6_3292 Depth=3
	v_and_b32_e32 v31, 3, v27
	v_bfe_u32 v34, v27, 2, 5
	v_ffbh_u32_e32 v82, v31
	v_cmp_eq_u32_e32 vcc_lo, 0, v34
	v_min_u32_e32 v82, 32, v82
	v_subrev_nc_u32_e32 v83, 29, v82
	v_sub_nc_u32_e32 v82, 30, v82
	v_lshlrev_b32_e32 v83, v83, v27
	v_cndmask_b32_e32 v34, v34, v82, vcc_lo
	v_lshlrev_b32_e32 v82, 24, v27
	v_and_b32_e32 v83, 3, v83
	v_lshl_add_u32 v34, v34, 23, 0x37800000
	v_and_b32_e32 v82, 0x80000000, v82
	v_cndmask_b32_e32 v31, v31, v83, vcc_lo
	v_lshlrev_b32_e32 v31, 21, v31
	v_or3_b32 v31, v82, v34, v31
.LBB6_3864:                             ;   in Loop: Header=BB6_3292 Depth=3
	s_or_b32 exec_lo, exec_lo, s16
	v_mul_f32_e32 v1, v1, v31
	v_mov_b32_e32 v34, 0x80
	s_mov_b32 s19, exec_lo
	v_and_b32_e32 v31, 0x7f800000, v1
	v_cmpx_ne_u32_e32 0x7f800000, v31
	s_cbranch_execz .LBB6_3872
; %bb.3865:                             ;   in Loop: Header=BB6_3292 Depth=3
	v_mov_b32_e32 v34, 0
	s_mov_b32 s22, exec_lo
	v_cmpx_ne_u32_e32 0, v1
	s_cbranch_execz .LBB6_3871
; %bb.3866:                             ;   in Loop: Header=BB6_3292 Depth=3
	v_bfe_u32 v34, v1, 23, 8
	v_and_b32_e32 v31, 0x7fffff, v1
	v_cmp_gt_u32_e64 s16, 0x71, v34
	v_sub_nc_u32_e32 v82, 0x70, v34
	v_cmp_eq_u32_e32 vcc_lo, 0, v34
	v_or_b32_e32 v83, 0x800000, v31
	v_cndmask_b32_e64 v82, 0, v82, s16
	v_cndmask_b32_e32 v31, v83, v31, vcc_lo
	v_cndmask_b32_e64 v82, v82, 0x6f, vcc_lo
	v_lshl_add_u32 v83, 0x200000, v82, -1
	v_lshlrev_b32_e64 v86, v82, 0x100000
	v_and_b32_e32 v83, v83, v31
	v_cmp_eq_u32_e64 s16, v83, v86
	v_lshrrev_b32_e32 v83, v82, v31
	v_add_nc_u32_e32 v31, 0xffffff91, v34
	v_lshrrev_b32_e32 v34, 23, v83
	v_cndmask_b32_e64 v31, v31, 0xffffff92, vcc_lo
	v_xor_b32_e32 v34, 1, v34
	v_add_nc_u32_e32 v31, v82, v31
	v_bfe_u32 v82, v83, 21, 1
	v_add_nc_u32_e32 v82, -1, v82
	v_cndmask_b32_e64 v82, 0, v82, s16
	s_mov_b32 s16, exec_lo
	v_add_nc_u32_e32 v82, v82, v83
	v_and_b32_e32 v82, 0x1fffff, v82
	v_add_nc_u32_e32 v82, v82, v83
                                        ; implicit-def: $vgpr83
	v_cmpx_ne_u32_e64 v31, v34
	s_xor_b32 s16, exec_lo, s16
; %bb.3867:                             ;   in Loop: Header=BB6_3292 Depth=3
	v_cmp_lt_u32_e32 vcc_lo, 0xffffff, v82
	v_sub_nc_u32_e32 v31, v31, v34
	v_cndmask_b32_e64 v34, 0, 1, vcc_lo
	v_add_co_ci_u32_e64 v83, null, 0, v31, vcc_lo
	v_lshrrev_b32_e32 v82, v34, v82
; %bb.3868:                             ;   in Loop: Header=BB6_3292 Depth=3
	s_andn2_saveexec_b32 s16, s16
; %bb.3869:                             ;   in Loop: Header=BB6_3292 Depth=3
	v_bfe_u32 v83, v82, 23, 1
; %bb.3870:                             ;   in Loop: Header=BB6_3292 Depth=3
	s_or_b32 exec_lo, exec_lo, s16
	v_lshrrev_b32_e32 v31, 21, v82
	v_min_i32_e32 v34, 31, v83
	v_cmp_gt_i32_e32 vcc_lo, 32, v83
	v_and_b32_sdwa v1, v1, v60 dst_sel:DWORD dst_unused:UNUSED_PAD src0_sel:BYTE_3 src1_sel:DWORD
	v_lshlrev_b32_e32 v34, 2, v34
	v_cndmask_b32_e32 v31, 3, v31, vcc_lo
	v_and_b32_e32 v34, 0xfc, v34
	v_or_b32_e32 v82, v83, v31
	v_and_b32_e32 v31, 3, v31
	v_cmp_ne_u32_e32 vcc_lo, 0, v82
	v_or3_b32 v1, v34, v1, v31
	v_cndmask_b32_e32 v34, 0, v1, vcc_lo
.LBB6_3871:                             ;   in Loop: Header=BB6_3292 Depth=3
	s_or_b32 exec_lo, exec_lo, s22
.LBB6_3872:                             ;   in Loop: Header=BB6_3292 Depth=3
	s_or_b32 exec_lo, exec_lo, s19
	v_cmp_gt_i16_sdwa s19, v35, v59 src0_sel:BYTE_1 src1_sel:DWORD
	s_mov_b32 s16, 0
	s_and_saveexec_b32 s22, s19
	s_xor_b32 s19, exec_lo, s22
	s_cbranch_execz .LBB6_4686
; %bb.3873:                             ;   in Loop: Header=BB6_3292 Depth=3
	v_cmp_eq_u16_sdwa s23, v35, v60 src0_sel:BYTE_1 src1_sel:DWORD
	s_mov_b32 s16, -1
	s_and_saveexec_b32 s22, s23
; %bb.3874:                             ;   in Loop: Header=BB6_3292 Depth=3
	s_xor_b32 s16, exec_lo, -1
; %bb.3875:                             ;   in Loop: Header=BB6_3292 Depth=3
	s_or_b32 exec_lo, exec_lo, s22
	s_and_b32 s16, s16, exec_lo
	s_or_saveexec_b32 s19, s19
	v_mov_b32_e32 v1, 0x7f800001
	s_xor_b32 exec_lo, exec_lo, s19
	s_cbranch_execnz .LBB6_4687
.LBB6_3876:                             ;   in Loop: Header=BB6_3292 Depth=3
	s_or_b32 exec_lo, exec_lo, s19
	s_and_saveexec_b32 s19, s16
	s_cbranch_execz .LBB6_3878
.LBB6_3877:                             ;   in Loop: Header=BB6_3292 Depth=3
	v_and_b32_sdwa v1, v61, v35 dst_sel:DWORD dst_unused:UNUSED_PAD src0_sel:DWORD src1_sel:BYTE_1
	v_and_b32_e32 v31, 3, v1
	v_bfe_u32 v86, v1, 2, 5
	v_ffbh_u32_e32 v82, v31
	v_cmp_eq_u32_e32 vcc_lo, 0, v86
	v_min_u32_e32 v82, 32, v82
	v_subrev_nc_u32_e32 v83, 29, v82
	v_sub_nc_u32_e32 v82, 30, v82
	v_lshlrev_b32_e32 v1, v83, v1
	v_lshlrev_b32_sdwa v83, v62, v35 dst_sel:DWORD dst_unused:UNUSED_PAD src0_sel:DWORD src1_sel:BYTE_1
	v_cndmask_b32_e32 v82, v86, v82, vcc_lo
	v_and_b32_e32 v1, 3, v1
	v_lshl_add_u32 v82, v82, 23, 0x37800000
	v_cndmask_b32_e32 v1, v31, v1, vcc_lo
	v_and_b32_e32 v31, 0x80000000, v83
	v_lshlrev_b32_e32 v1, 21, v1
	v_or3_b32 v1, v31, v82, v1
.LBB6_3878:                             ;   in Loop: Header=BB6_3292 Depth=3
	s_or_b32 exec_lo, exec_lo, s19
	v_cmp_gt_i16_sdwa s19, v27, v59 src0_sel:BYTE_1 src1_sel:DWORD
	s_mov_b32 s16, 0
	s_and_saveexec_b32 s22, s19
	s_xor_b32 s19, exec_lo, s22
	s_cbranch_execz .LBB6_4688
; %bb.3879:                             ;   in Loop: Header=BB6_3292 Depth=3
	v_cmp_eq_u16_sdwa s23, v27, v60 src0_sel:BYTE_1 src1_sel:DWORD
	s_mov_b32 s16, -1
	s_and_saveexec_b32 s22, s23
; %bb.3880:                             ;   in Loop: Header=BB6_3292 Depth=3
	s_xor_b32 s16, exec_lo, -1
; %bb.3881:                             ;   in Loop: Header=BB6_3292 Depth=3
	s_or_b32 exec_lo, exec_lo, s22
	s_and_b32 s16, s16, exec_lo
	s_or_saveexec_b32 s19, s19
	v_mov_b32_e32 v31, 0x7f800001
	s_xor_b32 exec_lo, exec_lo, s19
	s_cbranch_execnz .LBB6_4689
.LBB6_3882:                             ;   in Loop: Header=BB6_3292 Depth=3
	s_or_b32 exec_lo, exec_lo, s19
	s_and_saveexec_b32 s19, s16
	s_cbranch_execz .LBB6_3884
.LBB6_3883:                             ;   in Loop: Header=BB6_3292 Depth=3
	v_and_b32_sdwa v31, v61, v27 dst_sel:DWORD dst_unused:UNUSED_PAD src0_sel:DWORD src1_sel:BYTE_1
	v_and_b32_e32 v82, 3, v31
	v_bfe_u32 v87, v31, 2, 5
	v_ffbh_u32_e32 v83, v82
	v_cmp_eq_u32_e32 vcc_lo, 0, v87
	v_min_u32_e32 v83, 32, v83
	v_subrev_nc_u32_e32 v86, 29, v83
	v_sub_nc_u32_e32 v83, 30, v83
	v_lshlrev_b32_e32 v31, v86, v31
	v_lshlrev_b32_sdwa v86, v62, v27 dst_sel:DWORD dst_unused:UNUSED_PAD src0_sel:DWORD src1_sel:BYTE_1
	v_cndmask_b32_e32 v83, v87, v83, vcc_lo
	v_and_b32_e32 v31, 3, v31
	v_lshl_add_u32 v83, v83, 23, 0x37800000
	v_cndmask_b32_e32 v31, v82, v31, vcc_lo
	v_and_b32_e32 v82, 0x80000000, v86
	v_lshlrev_b32_e32 v31, 21, v31
	v_or3_b32 v31, v82, v83, v31
.LBB6_3884:                             ;   in Loop: Header=BB6_3292 Depth=3
	s_or_b32 exec_lo, exec_lo, s19
	v_mul_f32_e32 v1, v1, v31
	v_mov_b32_e32 v82, 0x8000
	s_mov_b32 s19, exec_lo
	v_and_b32_e32 v31, 0x7f800000, v1
	v_cmpx_ne_u32_e32 0x7f800000, v31
	s_cbranch_execz .LBB6_3892
; %bb.3885:                             ;   in Loop: Header=BB6_3292 Depth=3
	v_mov_b32_e32 v82, 0
	s_mov_b32 s22, exec_lo
	v_cmpx_ne_u32_e32 0, v1
	s_cbranch_execz .LBB6_3891
; %bb.3886:                             ;   in Loop: Header=BB6_3292 Depth=3
	v_bfe_u32 v82, v1, 23, 8
	v_and_b32_e32 v31, 0x7fffff, v1
	v_cmp_gt_u32_e64 s16, 0x71, v82
	v_sub_nc_u32_e32 v83, 0x70, v82
	v_cmp_eq_u32_e32 vcc_lo, 0, v82
	v_or_b32_e32 v86, 0x800000, v31
	v_cndmask_b32_e64 v83, 0, v83, s16
	v_cndmask_b32_e32 v31, v86, v31, vcc_lo
	v_cndmask_b32_e64 v83, v83, 0x6f, vcc_lo
	v_lshl_add_u32 v86, 0x200000, v83, -1
	v_lshlrev_b32_e64 v87, v83, 0x100000
	v_and_b32_e32 v86, v86, v31
	v_cmp_eq_u32_e64 s16, v86, v87
	v_lshrrev_b32_e32 v86, v83, v31
	v_add_nc_u32_e32 v31, 0xffffff91, v82
	v_lshrrev_b32_e32 v82, 23, v86
	v_cndmask_b32_e64 v31, v31, 0xffffff92, vcc_lo
	v_xor_b32_e32 v82, 1, v82
	v_add_nc_u32_e32 v31, v83, v31
	v_bfe_u32 v83, v86, 21, 1
	v_add_nc_u32_e32 v83, -1, v83
	v_cndmask_b32_e64 v83, 0, v83, s16
	s_mov_b32 s16, exec_lo
	v_add_nc_u32_e32 v83, v83, v86
	v_and_b32_e32 v83, 0x1fffff, v83
	v_add_nc_u32_e32 v83, v83, v86
                                        ; implicit-def: $vgpr86
	v_cmpx_ne_u32_e64 v31, v82
	s_xor_b32 s16, exec_lo, s16
; %bb.3887:                             ;   in Loop: Header=BB6_3292 Depth=3
	v_cmp_lt_u32_e32 vcc_lo, 0xffffff, v83
	v_sub_nc_u32_e32 v31, v31, v82
	v_cndmask_b32_e64 v82, 0, 1, vcc_lo
	v_add_co_ci_u32_e64 v86, null, 0, v31, vcc_lo
	v_lshrrev_b32_e32 v83, v82, v83
; %bb.3888:                             ;   in Loop: Header=BB6_3292 Depth=3
	s_andn2_saveexec_b32 s16, s16
; %bb.3889:                             ;   in Loop: Header=BB6_3292 Depth=3
	v_bfe_u32 v86, v83, 23, 1
; %bb.3890:                             ;   in Loop: Header=BB6_3292 Depth=3
	s_or_b32 exec_lo, exec_lo, s16
	v_lshrrev_b32_e32 v31, 21, v83
	v_min_i32_e32 v82, 31, v86
	v_cmp_gt_i32_e32 vcc_lo, 32, v86
	v_and_b32_sdwa v1, v1, v60 dst_sel:DWORD dst_unused:UNUSED_PAD src0_sel:BYTE_3 src1_sel:DWORD
	v_lshlrev_b32_e32 v82, 2, v82
	v_cndmask_b32_e32 v31, 3, v31, vcc_lo
	v_and_b32_e32 v82, 0xfc, v82
	v_or_b32_e32 v83, v86, v31
	v_and_b32_e32 v31, 3, v31
	v_cmp_ne_u32_e32 vcc_lo, 0, v83
	v_or3_b32 v1, v1, v82, v31
	v_lshlrev_b32_e32 v1, 8, v1
	v_cndmask_b32_e32 v82, 0, v1, vcc_lo
.LBB6_3891:                             ;   in Loop: Header=BB6_3292 Depth=3
	s_or_b32 exec_lo, exec_lo, s22
.LBB6_3892:                             ;   in Loop: Header=BB6_3292 Depth=3
	s_or_b32 exec_lo, exec_lo, s19
	v_and_b32_sdwa v31, v35, v63 dst_sel:DWORD dst_unused:UNUSED_PAD src0_sel:WORD_1 src1_sel:DWORD
	s_mov_b32 s19, 0
	s_mov_b32 s16, exec_lo
	v_cmpx_lt_i16_e32 0x7f, v31
	s_xor_b32 s16, exec_lo, s16
	s_cbranch_execz .LBB6_4690
; %bb.3893:                             ;   in Loop: Header=BB6_3292 Depth=3
	s_mov_b32 s19, -1
	s_mov_b32 s22, exec_lo
	v_cmpx_eq_u16_e32 0x80, v31
; %bb.3894:                             ;   in Loop: Header=BB6_3292 Depth=3
	s_xor_b32 s19, exec_lo, -1
; %bb.3895:                             ;   in Loop: Header=BB6_3292 Depth=3
	s_or_b32 exec_lo, exec_lo, s22
	s_and_b32 s19, s19, exec_lo
                                        ; implicit-def: $vgpr31
	s_or_saveexec_b32 s16, s16
	v_mov_b32_e32 v1, 0x7f800001
	s_xor_b32 exec_lo, exec_lo, s16
	s_cbranch_execnz .LBB6_4691
.LBB6_3896:                             ;   in Loop: Header=BB6_3292 Depth=3
	s_or_b32 exec_lo, exec_lo, s16
	s_and_saveexec_b32 s16, s19
	s_cbranch_execz .LBB6_3898
.LBB6_3897:                             ;   in Loop: Header=BB6_3292 Depth=3
	v_bfe_u32 v1, v35, 16, 2
	v_bfe_u32 v31, v35, 18, 5
	v_ffbh_u32_e32 v83, v1
	v_cmp_eq_u32_e32 vcc_lo, 0, v31
	v_min_u32_e32 v83, 32, v83
	v_subrev_nc_u32_e32 v86, 29, v83
	v_sub_nc_u32_e32 v83, 30, v83
	v_lshlrev_b32_sdwa v86, v86, v35 dst_sel:DWORD dst_unused:UNUSED_PAD src0_sel:DWORD src1_sel:WORD_1
	v_cndmask_b32_e32 v31, v31, v83, vcc_lo
	v_lshlrev_b32_e32 v83, 8, v35
	v_and_b32_e32 v86, 3, v86
	v_lshl_add_u32 v31, v31, 23, 0x37800000
	v_and_b32_e32 v83, 0x80000000, v83
	v_cndmask_b32_e32 v1, v1, v86, vcc_lo
	v_lshlrev_b32_e32 v1, 21, v1
	v_or3_b32 v1, v83, v31, v1
.LBB6_3898:                             ;   in Loop: Header=BB6_3292 Depth=3
	s_or_b32 exec_lo, exec_lo, s16
	v_and_b32_sdwa v83, v27, v63 dst_sel:DWORD dst_unused:UNUSED_PAD src0_sel:WORD_1 src1_sel:DWORD
	s_mov_b32 s19, 0
	s_mov_b32 s16, exec_lo
	v_cmpx_lt_i16_e32 0x7f, v83
	s_xor_b32 s16, exec_lo, s16
	s_cbranch_execz .LBB6_4692
; %bb.3899:                             ;   in Loop: Header=BB6_3292 Depth=3
	s_mov_b32 s19, -1
	s_mov_b32 s22, exec_lo
	v_cmpx_eq_u16_e32 0x80, v83
; %bb.3900:                             ;   in Loop: Header=BB6_3292 Depth=3
	s_xor_b32 s19, exec_lo, -1
; %bb.3901:                             ;   in Loop: Header=BB6_3292 Depth=3
	s_or_b32 exec_lo, exec_lo, s22
	s_and_b32 s19, s19, exec_lo
                                        ; implicit-def: $vgpr83
	s_or_saveexec_b32 s16, s16
	v_mov_b32_e32 v31, 0x7f800001
	s_xor_b32 exec_lo, exec_lo, s16
	s_cbranch_execnz .LBB6_4693
.LBB6_3902:                             ;   in Loop: Header=BB6_3292 Depth=3
	s_or_b32 exec_lo, exec_lo, s16
	s_and_saveexec_b32 s16, s19
	s_cbranch_execz .LBB6_3904
.LBB6_3903:                             ;   in Loop: Header=BB6_3292 Depth=3
	v_bfe_u32 v31, v27, 16, 2
	v_bfe_u32 v83, v27, 18, 5
	v_ffbh_u32_e32 v86, v31
	v_cmp_eq_u32_e32 vcc_lo, 0, v83
	v_min_u32_e32 v86, 32, v86
	v_subrev_nc_u32_e32 v87, 29, v86
	v_sub_nc_u32_e32 v86, 30, v86
	v_lshlrev_b32_sdwa v87, v87, v27 dst_sel:DWORD dst_unused:UNUSED_PAD src0_sel:DWORD src1_sel:WORD_1
	v_cndmask_b32_e32 v83, v83, v86, vcc_lo
	v_lshlrev_b32_e32 v86, 8, v27
	v_and_b32_e32 v87, 3, v87
	v_lshl_add_u32 v83, v83, 23, 0x37800000
	v_and_b32_e32 v86, 0x80000000, v86
	v_cndmask_b32_e32 v31, v31, v87, vcc_lo
	v_lshlrev_b32_e32 v31, 21, v31
	v_or3_b32 v31, v86, v83, v31
.LBB6_3904:                             ;   in Loop: Header=BB6_3292 Depth=3
	s_or_b32 exec_lo, exec_lo, s16
	v_mul_f32_e32 v1, v1, v31
	v_mov_b32_e32 v83, 0x80
	s_mov_b32 s19, exec_lo
	v_and_b32_e32 v31, 0x7f800000, v1
	v_cmpx_ne_u32_e32 0x7f800000, v31
	s_cbranch_execz .LBB6_3912
; %bb.3905:                             ;   in Loop: Header=BB6_3292 Depth=3
	v_mov_b32_e32 v83, 0
	s_mov_b32 s22, exec_lo
	v_cmpx_ne_u32_e32 0, v1
	s_cbranch_execz .LBB6_3911
; %bb.3906:                             ;   in Loop: Header=BB6_3292 Depth=3
	v_bfe_u32 v83, v1, 23, 8
	v_and_b32_e32 v31, 0x7fffff, v1
	v_cmp_gt_u32_e64 s16, 0x71, v83
	v_sub_nc_u32_e32 v86, 0x70, v83
	v_cmp_eq_u32_e32 vcc_lo, 0, v83
	v_or_b32_e32 v87, 0x800000, v31
	v_cndmask_b32_e64 v86, 0, v86, s16
	v_cndmask_b32_e32 v31, v87, v31, vcc_lo
	v_cndmask_b32_e64 v86, v86, 0x6f, vcc_lo
	v_lshl_add_u32 v87, 0x200000, v86, -1
	v_lshlrev_b32_e64 v98, v86, 0x100000
	v_and_b32_e32 v87, v87, v31
	v_cmp_eq_u32_e64 s16, v87, v98
	v_lshrrev_b32_e32 v87, v86, v31
	v_add_nc_u32_e32 v31, 0xffffff91, v83
	v_lshrrev_b32_e32 v83, 23, v87
	v_cndmask_b32_e64 v31, v31, 0xffffff92, vcc_lo
	v_xor_b32_e32 v83, 1, v83
	v_add_nc_u32_e32 v31, v86, v31
	v_bfe_u32 v86, v87, 21, 1
	v_add_nc_u32_e32 v86, -1, v86
	v_cndmask_b32_e64 v86, 0, v86, s16
	s_mov_b32 s16, exec_lo
	v_add_nc_u32_e32 v86, v86, v87
	v_and_b32_e32 v86, 0x1fffff, v86
	v_add_nc_u32_e32 v86, v86, v87
                                        ; implicit-def: $vgpr87
	v_cmpx_ne_u32_e64 v31, v83
	s_xor_b32 s16, exec_lo, s16
; %bb.3907:                             ;   in Loop: Header=BB6_3292 Depth=3
	v_cmp_lt_u32_e32 vcc_lo, 0xffffff, v86
	v_sub_nc_u32_e32 v31, v31, v83
	v_cndmask_b32_e64 v83, 0, 1, vcc_lo
	v_add_co_ci_u32_e64 v87, null, 0, v31, vcc_lo
	v_lshrrev_b32_e32 v86, v83, v86
; %bb.3908:                             ;   in Loop: Header=BB6_3292 Depth=3
	s_andn2_saveexec_b32 s16, s16
; %bb.3909:                             ;   in Loop: Header=BB6_3292 Depth=3
	v_bfe_u32 v87, v86, 23, 1
; %bb.3910:                             ;   in Loop: Header=BB6_3292 Depth=3
	s_or_b32 exec_lo, exec_lo, s16
	v_lshrrev_b32_e32 v31, 21, v86
	v_min_i32_e32 v83, 31, v87
	v_cmp_gt_i32_e32 vcc_lo, 32, v87
	v_and_b32_sdwa v1, v1, v60 dst_sel:DWORD dst_unused:UNUSED_PAD src0_sel:BYTE_3 src1_sel:DWORD
	v_lshlrev_b32_e32 v83, 2, v83
	v_cndmask_b32_e32 v31, 3, v31, vcc_lo
	v_and_b32_e32 v83, 0xfc, v83
	v_or_b32_e32 v86, v87, v31
	v_and_b32_e32 v31, 3, v31
	v_cmp_ne_u32_e32 vcc_lo, 0, v86
	v_or3_b32 v1, v83, v1, v31
	v_cndmask_b32_e32 v83, 0, v1, vcc_lo
.LBB6_3911:                             ;   in Loop: Header=BB6_3292 Depth=3
	s_or_b32 exec_lo, exec_lo, s22
.LBB6_3912:                             ;   in Loop: Header=BB6_3292 Depth=3
	s_or_b32 exec_lo, exec_lo, s19
	v_cmp_gt_i16_sdwa s19, v35, v59 src0_sel:BYTE_3 src1_sel:DWORD
	s_mov_b32 s16, 0
	s_and_saveexec_b32 s22, s19
	s_xor_b32 s19, exec_lo, s22
	s_cbranch_execz .LBB6_4694
; %bb.3913:                             ;   in Loop: Header=BB6_3292 Depth=3
	v_cmp_eq_u16_sdwa s23, v35, v60 src0_sel:BYTE_3 src1_sel:DWORD
	s_mov_b32 s16, -1
	s_and_saveexec_b32 s22, s23
; %bb.3914:                             ;   in Loop: Header=BB6_3292 Depth=3
	s_xor_b32 s16, exec_lo, -1
; %bb.3915:                             ;   in Loop: Header=BB6_3292 Depth=3
	s_or_b32 exec_lo, exec_lo, s22
	s_and_b32 s16, s16, exec_lo
	s_or_saveexec_b32 s19, s19
	v_mov_b32_e32 v1, 0x7f800001
	s_xor_b32 exec_lo, exec_lo, s19
	s_cbranch_execnz .LBB6_4695
.LBB6_3916:                             ;   in Loop: Header=BB6_3292 Depth=3
	s_or_b32 exec_lo, exec_lo, s19
	s_and_saveexec_b32 s19, s16
	s_cbranch_execz .LBB6_3918
.LBB6_3917:                             ;   in Loop: Header=BB6_3292 Depth=3
	v_bfe_u32 v1, v35, 24, 2
	v_bfe_u32 v87, v35, 26, 5
	v_ffbh_u32_e32 v31, v1
	v_cmp_eq_u32_e32 vcc_lo, 0, v87
	v_min_u32_e32 v31, 32, v31
	v_subrev_nc_u32_e32 v86, 29, v31
	v_sub_nc_u32_e32 v31, 30, v31
	v_lshlrev_b32_sdwa v86, v86, v35 dst_sel:DWORD dst_unused:UNUSED_PAD src0_sel:DWORD src1_sel:BYTE_3
	v_cndmask_b32_e32 v31, v87, v31, vcc_lo
	v_and_b32_e32 v35, 0x80000000, v35
	v_and_b32_e32 v86, 3, v86
	v_lshl_add_u32 v31, v31, 23, 0x37800000
	v_cndmask_b32_e32 v1, v1, v86, vcc_lo
	v_lshlrev_b32_e32 v1, 21, v1
	v_or3_b32 v1, v35, v31, v1
.LBB6_3918:                             ;   in Loop: Header=BB6_3292 Depth=3
	s_or_b32 exec_lo, exec_lo, s19
	v_cmp_gt_i16_sdwa s19, v27, v59 src0_sel:BYTE_3 src1_sel:DWORD
	s_mov_b32 s16, 0
	s_and_saveexec_b32 s22, s19
	s_xor_b32 s19, exec_lo, s22
	s_cbranch_execz .LBB6_4696
; %bb.3919:                             ;   in Loop: Header=BB6_3292 Depth=3
	v_cmp_eq_u16_sdwa s23, v27, v60 src0_sel:BYTE_3 src1_sel:DWORD
	s_mov_b32 s16, -1
	s_and_saveexec_b32 s22, s23
; %bb.3920:                             ;   in Loop: Header=BB6_3292 Depth=3
	s_xor_b32 s16, exec_lo, -1
; %bb.3921:                             ;   in Loop: Header=BB6_3292 Depth=3
	s_or_b32 exec_lo, exec_lo, s22
	s_and_b32 s16, s16, exec_lo
	s_or_saveexec_b32 s19, s19
	v_mov_b32_e32 v31, 0x7f800001
	s_xor_b32 exec_lo, exec_lo, s19
	s_cbranch_execnz .LBB6_4697
.LBB6_3922:                             ;   in Loop: Header=BB6_3292 Depth=3
	s_or_b32 exec_lo, exec_lo, s19
	s_and_saveexec_b32 s19, s16
	s_cbranch_execz .LBB6_3924
.LBB6_3923:                             ;   in Loop: Header=BB6_3292 Depth=3
	v_bfe_u32 v31, v27, 24, 2
	v_bfe_u32 v87, v27, 26, 5
	v_ffbh_u32_e32 v35, v31
	v_cmp_eq_u32_e32 vcc_lo, 0, v87
	v_min_u32_e32 v35, 32, v35
	v_subrev_nc_u32_e32 v86, 29, v35
	v_sub_nc_u32_e32 v35, 30, v35
	v_lshlrev_b32_sdwa v86, v86, v27 dst_sel:DWORD dst_unused:UNUSED_PAD src0_sel:DWORD src1_sel:BYTE_3
	v_cndmask_b32_e32 v35, v87, v35, vcc_lo
	v_and_b32_e32 v27, 0x80000000, v27
	v_and_b32_e32 v86, 3, v86
	v_lshl_add_u32 v35, v35, 23, 0x37800000
	v_cndmask_b32_e32 v31, v31, v86, vcc_lo
	v_lshlrev_b32_e32 v31, 21, v31
	v_or3_b32 v31, v27, v35, v31
.LBB6_3924:                             ;   in Loop: Header=BB6_3292 Depth=3
	s_or_b32 exec_lo, exec_lo, s19
	v_mul_f32_e32 v1, v1, v31
	v_and_b32_e32 v27, 0x7f800000, v1
	v_cmp_ne_u32_e32 vcc_lo, 0x7f800000, v27
	v_mov_b32_e32 v27, 0x8000
	s_and_saveexec_b32 s19, vcc_lo
	s_cbranch_execz .LBB6_3932
; %bb.3925:                             ;   in Loop: Header=BB6_3292 Depth=3
	v_mov_b32_e32 v27, 0
	s_mov_b32 s22, exec_lo
	v_cmpx_ne_u32_e32 0, v1
	s_cbranch_execz .LBB6_3931
; %bb.3926:                             ;   in Loop: Header=BB6_3292 Depth=3
	v_bfe_u32 v31, v1, 23, 8
	v_and_b32_e32 v27, 0x7fffff, v1
	v_cmp_gt_u32_e64 s16, 0x71, v31
	v_sub_nc_u32_e32 v35, 0x70, v31
	v_cmp_eq_u32_e32 vcc_lo, 0, v31
	v_or_b32_e32 v86, 0x800000, v27
	v_cndmask_b32_e64 v35, 0, v35, s16
	v_cndmask_b32_e32 v27, v86, v27, vcc_lo
	v_cndmask_b32_e64 v35, v35, 0x6f, vcc_lo
	v_lshl_add_u32 v86, 0x200000, v35, -1
	v_lshlrev_b32_e64 v87, v35, 0x100000
	v_and_b32_e32 v86, v86, v27
	v_cmp_eq_u32_e64 s16, v86, v87
	v_lshrrev_b32_e32 v86, v35, v27
	v_add_nc_u32_e32 v27, 0xffffff91, v31
	v_lshrrev_b32_e32 v31, 23, v86
	v_cndmask_b32_e64 v27, v27, 0xffffff92, vcc_lo
	v_xor_b32_e32 v31, 1, v31
	v_add_nc_u32_e32 v27, v35, v27
	v_bfe_u32 v35, v86, 21, 1
	v_add_nc_u32_e32 v35, -1, v35
	v_cndmask_b32_e64 v35, 0, v35, s16
	s_mov_b32 s16, exec_lo
	v_add_nc_u32_e32 v35, v35, v86
	v_and_b32_e32 v35, 0x1fffff, v35
	v_add_nc_u32_e32 v35, v35, v86
                                        ; implicit-def: $vgpr86
	v_cmpx_ne_u32_e64 v27, v31
	s_xor_b32 s16, exec_lo, s16
; %bb.3927:                             ;   in Loop: Header=BB6_3292 Depth=3
	v_cmp_lt_u32_e32 vcc_lo, 0xffffff, v35
	v_sub_nc_u32_e32 v27, v27, v31
	v_cndmask_b32_e64 v31, 0, 1, vcc_lo
	v_add_co_ci_u32_e64 v86, null, 0, v27, vcc_lo
	v_lshrrev_b32_e32 v35, v31, v35
; %bb.3928:                             ;   in Loop: Header=BB6_3292 Depth=3
	s_andn2_saveexec_b32 s16, s16
; %bb.3929:                             ;   in Loop: Header=BB6_3292 Depth=3
	v_bfe_u32 v86, v35, 23, 1
; %bb.3930:                             ;   in Loop: Header=BB6_3292 Depth=3
	s_or_b32 exec_lo, exec_lo, s16
	v_lshrrev_b32_e32 v27, 21, v35
	v_min_i32_e32 v31, 31, v86
	v_cmp_gt_i32_e32 vcc_lo, 32, v86
	v_and_b32_sdwa v1, v1, v60 dst_sel:DWORD dst_unused:UNUSED_PAD src0_sel:BYTE_3 src1_sel:DWORD
	v_lshlrev_b32_e32 v31, 2, v31
	v_cndmask_b32_e32 v27, 3, v27, vcc_lo
	v_and_b32_e32 v31, 0xfc, v31
	v_or_b32_e32 v35, v86, v27
	v_and_b32_e32 v27, 3, v27
	v_cmp_ne_u32_e32 vcc_lo, 0, v35
	v_or3_b32 v1, v1, v31, v27
	v_lshlrev_b32_e32 v1, 8, v1
	v_cndmask_b32_e32 v27, 0, v1, vcc_lo
.LBB6_3931:                             ;   in Loop: Header=BB6_3292 Depth=3
	s_or_b32 exec_lo, exec_lo, s22
.LBB6_3932:                             ;   in Loop: Header=BB6_3292 Depth=3
	s_or_b32 exec_lo, exec_lo, s19
	v_cmp_gt_i16_sdwa s16, v20, v59 src0_sel:BYTE_0 src1_sel:DWORD
	s_mov_b32 s19, 0
	s_and_saveexec_b32 s22, s16
	s_xor_b32 s16, exec_lo, s22
	s_cbranch_execz .LBB6_4698
; %bb.3933:                             ;   in Loop: Header=BB6_3292 Depth=3
	v_cmp_eq_u16_sdwa s23, v20, v60 src0_sel:BYTE_0 src1_sel:DWORD
	s_mov_b32 s19, -1
	s_and_saveexec_b32 s22, s23
; %bb.3934:                             ;   in Loop: Header=BB6_3292 Depth=3
	s_xor_b32 s19, exec_lo, -1
; %bb.3935:                             ;   in Loop: Header=BB6_3292 Depth=3
	s_or_b32 exec_lo, exec_lo, s22
	s_and_b32 s19, s19, exec_lo
	s_or_saveexec_b32 s16, s16
	v_mov_b32_e32 v1, 0x7f800001
	s_xor_b32 exec_lo, exec_lo, s16
	s_cbranch_execnz .LBB6_4699
.LBB6_3936:                             ;   in Loop: Header=BB6_3292 Depth=3
	s_or_b32 exec_lo, exec_lo, s16
	s_and_saveexec_b32 s16, s19
	s_cbranch_execz .LBB6_3938
.LBB6_3937:                             ;   in Loop: Header=BB6_3292 Depth=3
	v_and_b32_e32 v1, 3, v20
	v_bfe_u32 v31, v20, 2, 5
	v_ffbh_u32_e32 v35, v1
	v_cmp_eq_u32_e32 vcc_lo, 0, v31
	v_min_u32_e32 v35, 32, v35
	v_subrev_nc_u32_e32 v86, 29, v35
	v_sub_nc_u32_e32 v35, 30, v35
	v_lshlrev_b32_e32 v86, v86, v20
	v_cndmask_b32_e32 v31, v31, v35, vcc_lo
	v_lshlrev_b32_e32 v35, 24, v20
	v_and_b32_e32 v86, 3, v86
	v_lshl_add_u32 v31, v31, 23, 0x37800000
	v_and_b32_e32 v35, 0x80000000, v35
	v_cndmask_b32_e32 v1, v1, v86, vcc_lo
	v_lshlrev_b32_e32 v1, 21, v1
	v_or3_b32 v1, v35, v31, v1
.LBB6_3938:                             ;   in Loop: Header=BB6_3292 Depth=3
	s_or_b32 exec_lo, exec_lo, s16
	s_waitcnt vmcnt(1)
	v_cmp_gt_i16_sdwa s16, v16, v59 src0_sel:BYTE_0 src1_sel:DWORD
	s_mov_b32 s19, 0
	s_and_saveexec_b32 s22, s16
	s_xor_b32 s16, exec_lo, s22
	s_cbranch_execz .LBB6_4700
; %bb.3939:                             ;   in Loop: Header=BB6_3292 Depth=3
	v_cmp_eq_u16_sdwa s23, v16, v60 src0_sel:BYTE_0 src1_sel:DWORD
	s_mov_b32 s19, -1
	s_and_saveexec_b32 s22, s23
; %bb.3940:                             ;   in Loop: Header=BB6_3292 Depth=3
	s_xor_b32 s19, exec_lo, -1
; %bb.3941:                             ;   in Loop: Header=BB6_3292 Depth=3
	s_or_b32 exec_lo, exec_lo, s22
	s_and_b32 s19, s19, exec_lo
	s_or_saveexec_b32 s16, s16
	v_mov_b32_e32 v31, 0x7f800001
	s_xor_b32 exec_lo, exec_lo, s16
	s_cbranch_execnz .LBB6_4701
.LBB6_3942:                             ;   in Loop: Header=BB6_3292 Depth=3
	s_or_b32 exec_lo, exec_lo, s16
	s_and_saveexec_b32 s16, s19
	s_cbranch_execz .LBB6_3944
.LBB6_3943:                             ;   in Loop: Header=BB6_3292 Depth=3
	v_and_b32_e32 v31, 3, v16
	v_bfe_u32 v35, v16, 2, 5
	v_ffbh_u32_e32 v86, v31
	v_cmp_eq_u32_e32 vcc_lo, 0, v35
	v_min_u32_e32 v86, 32, v86
	v_subrev_nc_u32_e32 v87, 29, v86
	v_sub_nc_u32_e32 v86, 30, v86
	v_lshlrev_b32_e32 v87, v87, v16
	v_cndmask_b32_e32 v35, v35, v86, vcc_lo
	v_lshlrev_b32_e32 v86, 24, v16
	v_and_b32_e32 v87, 3, v87
	v_lshl_add_u32 v35, v35, 23, 0x37800000
	v_and_b32_e32 v86, 0x80000000, v86
	v_cndmask_b32_e32 v31, v31, v87, vcc_lo
	v_lshlrev_b32_e32 v31, 21, v31
	v_or3_b32 v31, v86, v35, v31
.LBB6_3944:                             ;   in Loop: Header=BB6_3292 Depth=3
	s_or_b32 exec_lo, exec_lo, s16
	v_mul_f32_e32 v1, v1, v31
	v_mov_b32_e32 v35, 0x80
	s_mov_b32 s19, exec_lo
	v_and_b32_e32 v31, 0x7f800000, v1
	v_cmpx_ne_u32_e32 0x7f800000, v31
	s_cbranch_execz .LBB6_3952
; %bb.3945:                             ;   in Loop: Header=BB6_3292 Depth=3
	v_mov_b32_e32 v35, 0
	s_mov_b32 s22, exec_lo
	v_cmpx_ne_u32_e32 0, v1
	s_cbranch_execz .LBB6_3951
; %bb.3946:                             ;   in Loop: Header=BB6_3292 Depth=3
	v_bfe_u32 v35, v1, 23, 8
	v_and_b32_e32 v31, 0x7fffff, v1
	v_cmp_gt_u32_e64 s16, 0x71, v35
	v_sub_nc_u32_e32 v86, 0x70, v35
	v_cmp_eq_u32_e32 vcc_lo, 0, v35
	v_or_b32_e32 v87, 0x800000, v31
	v_cndmask_b32_e64 v86, 0, v86, s16
	v_cndmask_b32_e32 v31, v87, v31, vcc_lo
	v_cndmask_b32_e64 v86, v86, 0x6f, vcc_lo
	v_lshl_add_u32 v87, 0x200000, v86, -1
	v_lshlrev_b32_e64 v98, v86, 0x100000
	v_and_b32_e32 v87, v87, v31
	v_cmp_eq_u32_e64 s16, v87, v98
	v_lshrrev_b32_e32 v87, v86, v31
	v_add_nc_u32_e32 v31, 0xffffff91, v35
	v_lshrrev_b32_e32 v35, 23, v87
	v_cndmask_b32_e64 v31, v31, 0xffffff92, vcc_lo
	v_xor_b32_e32 v35, 1, v35
	v_add_nc_u32_e32 v31, v86, v31
	v_bfe_u32 v86, v87, 21, 1
	v_add_nc_u32_e32 v86, -1, v86
	v_cndmask_b32_e64 v86, 0, v86, s16
	s_mov_b32 s16, exec_lo
	v_add_nc_u32_e32 v86, v86, v87
	v_and_b32_e32 v86, 0x1fffff, v86
	v_add_nc_u32_e32 v86, v86, v87
                                        ; implicit-def: $vgpr87
	v_cmpx_ne_u32_e64 v31, v35
	s_xor_b32 s16, exec_lo, s16
; %bb.3947:                             ;   in Loop: Header=BB6_3292 Depth=3
	v_cmp_lt_u32_e32 vcc_lo, 0xffffff, v86
	v_sub_nc_u32_e32 v31, v31, v35
	v_cndmask_b32_e64 v35, 0, 1, vcc_lo
	v_add_co_ci_u32_e64 v87, null, 0, v31, vcc_lo
	v_lshrrev_b32_e32 v86, v35, v86
; %bb.3948:                             ;   in Loop: Header=BB6_3292 Depth=3
	s_andn2_saveexec_b32 s16, s16
; %bb.3949:                             ;   in Loop: Header=BB6_3292 Depth=3
	v_bfe_u32 v87, v86, 23, 1
; %bb.3950:                             ;   in Loop: Header=BB6_3292 Depth=3
	s_or_b32 exec_lo, exec_lo, s16
	v_lshrrev_b32_e32 v31, 21, v86
	v_min_i32_e32 v35, 31, v87
	v_cmp_gt_i32_e32 vcc_lo, 32, v87
	v_and_b32_sdwa v1, v1, v60 dst_sel:DWORD dst_unused:UNUSED_PAD src0_sel:BYTE_3 src1_sel:DWORD
	v_lshlrev_b32_e32 v35, 2, v35
	v_cndmask_b32_e32 v31, 3, v31, vcc_lo
	v_and_b32_e32 v35, 0xfc, v35
	v_or_b32_e32 v86, v87, v31
	v_and_b32_e32 v31, 3, v31
	v_cmp_ne_u32_e32 vcc_lo, 0, v86
	v_or3_b32 v1, v35, v1, v31
	v_cndmask_b32_e32 v35, 0, v1, vcc_lo
.LBB6_3951:                             ;   in Loop: Header=BB6_3292 Depth=3
	s_or_b32 exec_lo, exec_lo, s22
.LBB6_3952:                             ;   in Loop: Header=BB6_3292 Depth=3
	s_or_b32 exec_lo, exec_lo, s19
	v_cmp_gt_i16_sdwa s19, v20, v59 src0_sel:BYTE_1 src1_sel:DWORD
	s_mov_b32 s16, 0
	s_and_saveexec_b32 s22, s19
	s_xor_b32 s19, exec_lo, s22
	s_cbranch_execz .LBB6_4702
; %bb.3953:                             ;   in Loop: Header=BB6_3292 Depth=3
	v_cmp_eq_u16_sdwa s23, v20, v60 src0_sel:BYTE_1 src1_sel:DWORD
	s_mov_b32 s16, -1
	s_and_saveexec_b32 s22, s23
; %bb.3954:                             ;   in Loop: Header=BB6_3292 Depth=3
	s_xor_b32 s16, exec_lo, -1
; %bb.3955:                             ;   in Loop: Header=BB6_3292 Depth=3
	s_or_b32 exec_lo, exec_lo, s22
	s_and_b32 s16, s16, exec_lo
	s_or_saveexec_b32 s19, s19
	v_mov_b32_e32 v1, 0x7f800001
	s_xor_b32 exec_lo, exec_lo, s19
	s_cbranch_execnz .LBB6_4703
.LBB6_3956:                             ;   in Loop: Header=BB6_3292 Depth=3
	s_or_b32 exec_lo, exec_lo, s19
	s_and_saveexec_b32 s19, s16
	s_cbranch_execz .LBB6_3958
.LBB6_3957:                             ;   in Loop: Header=BB6_3292 Depth=3
	v_and_b32_sdwa v1, v61, v20 dst_sel:DWORD dst_unused:UNUSED_PAD src0_sel:DWORD src1_sel:BYTE_1
	v_and_b32_e32 v31, 3, v1
	v_bfe_u32 v98, v1, 2, 5
	v_ffbh_u32_e32 v86, v31
	v_cmp_eq_u32_e32 vcc_lo, 0, v98
	v_min_u32_e32 v86, 32, v86
	v_subrev_nc_u32_e32 v87, 29, v86
	v_sub_nc_u32_e32 v86, 30, v86
	v_lshlrev_b32_e32 v1, v87, v1
	v_lshlrev_b32_sdwa v87, v62, v20 dst_sel:DWORD dst_unused:UNUSED_PAD src0_sel:DWORD src1_sel:BYTE_1
	v_cndmask_b32_e32 v86, v98, v86, vcc_lo
	v_and_b32_e32 v1, 3, v1
	v_lshl_add_u32 v86, v86, 23, 0x37800000
	v_cndmask_b32_e32 v1, v31, v1, vcc_lo
	v_and_b32_e32 v31, 0x80000000, v87
	v_lshlrev_b32_e32 v1, 21, v1
	v_or3_b32 v1, v31, v86, v1
.LBB6_3958:                             ;   in Loop: Header=BB6_3292 Depth=3
	s_or_b32 exec_lo, exec_lo, s19
	v_cmp_gt_i16_sdwa s19, v16, v59 src0_sel:BYTE_1 src1_sel:DWORD
	s_mov_b32 s16, 0
	s_and_saveexec_b32 s22, s19
	s_xor_b32 s19, exec_lo, s22
	s_cbranch_execz .LBB6_4704
; %bb.3959:                             ;   in Loop: Header=BB6_3292 Depth=3
	v_cmp_eq_u16_sdwa s23, v16, v60 src0_sel:BYTE_1 src1_sel:DWORD
	s_mov_b32 s16, -1
	s_and_saveexec_b32 s22, s23
; %bb.3960:                             ;   in Loop: Header=BB6_3292 Depth=3
	s_xor_b32 s16, exec_lo, -1
; %bb.3961:                             ;   in Loop: Header=BB6_3292 Depth=3
	s_or_b32 exec_lo, exec_lo, s22
	s_and_b32 s16, s16, exec_lo
	s_or_saveexec_b32 s19, s19
	v_mov_b32_e32 v31, 0x7f800001
	s_xor_b32 exec_lo, exec_lo, s19
	s_cbranch_execnz .LBB6_4705
.LBB6_3962:                             ;   in Loop: Header=BB6_3292 Depth=3
	s_or_b32 exec_lo, exec_lo, s19
	s_and_saveexec_b32 s19, s16
	s_cbranch_execz .LBB6_3964
.LBB6_3963:                             ;   in Loop: Header=BB6_3292 Depth=3
	v_and_b32_sdwa v31, v61, v16 dst_sel:DWORD dst_unused:UNUSED_PAD src0_sel:DWORD src1_sel:BYTE_1
	v_and_b32_e32 v86, 3, v31
	v_bfe_u32 v99, v31, 2, 5
	v_ffbh_u32_e32 v87, v86
	v_cmp_eq_u32_e32 vcc_lo, 0, v99
	v_min_u32_e32 v87, 32, v87
	v_subrev_nc_u32_e32 v98, 29, v87
	v_sub_nc_u32_e32 v87, 30, v87
	v_lshlrev_b32_e32 v31, v98, v31
	v_lshlrev_b32_sdwa v98, v62, v16 dst_sel:DWORD dst_unused:UNUSED_PAD src0_sel:DWORD src1_sel:BYTE_1
	v_cndmask_b32_e32 v87, v99, v87, vcc_lo
	v_and_b32_e32 v31, 3, v31
	v_lshl_add_u32 v87, v87, 23, 0x37800000
	v_cndmask_b32_e32 v31, v86, v31, vcc_lo
	v_and_b32_e32 v86, 0x80000000, v98
	v_lshlrev_b32_e32 v31, 21, v31
	v_or3_b32 v31, v86, v87, v31
.LBB6_3964:                             ;   in Loop: Header=BB6_3292 Depth=3
	s_or_b32 exec_lo, exec_lo, s19
	v_mul_f32_e32 v1, v1, v31
	v_mov_b32_e32 v122, 0x8000
	s_mov_b32 s19, exec_lo
	v_and_b32_e32 v31, 0x7f800000, v1
	v_cmpx_ne_u32_e32 0x7f800000, v31
	s_cbranch_execz .LBB6_3972
; %bb.3965:                             ;   in Loop: Header=BB6_3292 Depth=3
	v_mov_b32_e32 v122, 0
	s_mov_b32 s22, exec_lo
	v_cmpx_ne_u32_e32 0, v1
	s_cbranch_execz .LBB6_3971
; %bb.3966:                             ;   in Loop: Header=BB6_3292 Depth=3
	v_bfe_u32 v86, v1, 23, 8
	v_and_b32_e32 v31, 0x7fffff, v1
	v_cmp_gt_u32_e64 s16, 0x71, v86
	v_sub_nc_u32_e32 v87, 0x70, v86
	v_cmp_eq_u32_e32 vcc_lo, 0, v86
	v_or_b32_e32 v98, 0x800000, v31
	v_cndmask_b32_e64 v87, 0, v87, s16
	v_cndmask_b32_e32 v31, v98, v31, vcc_lo
	v_cndmask_b32_e64 v87, v87, 0x6f, vcc_lo
	v_lshl_add_u32 v98, 0x200000, v87, -1
	v_lshlrev_b32_e64 v99, v87, 0x100000
	v_and_b32_e32 v98, v98, v31
	v_cmp_eq_u32_e64 s16, v98, v99
	v_lshrrev_b32_e32 v98, v87, v31
	v_add_nc_u32_e32 v31, 0xffffff91, v86
	v_lshrrev_b32_e32 v86, 23, v98
	v_cndmask_b32_e64 v31, v31, 0xffffff92, vcc_lo
	v_xor_b32_e32 v86, 1, v86
	v_add_nc_u32_e32 v31, v87, v31
	v_bfe_u32 v87, v98, 21, 1
	v_add_nc_u32_e32 v87, -1, v87
	v_cndmask_b32_e64 v87, 0, v87, s16
	s_mov_b32 s16, exec_lo
	v_add_nc_u32_e32 v87, v87, v98
	v_and_b32_e32 v87, 0x1fffff, v87
	v_add_nc_u32_e32 v87, v87, v98
                                        ; implicit-def: $vgpr98
	v_cmpx_ne_u32_e64 v31, v86
	s_xor_b32 s16, exec_lo, s16
; %bb.3967:                             ;   in Loop: Header=BB6_3292 Depth=3
	v_cmp_lt_u32_e32 vcc_lo, 0xffffff, v87
	v_sub_nc_u32_e32 v31, v31, v86
	v_cndmask_b32_e64 v86, 0, 1, vcc_lo
	v_add_co_ci_u32_e64 v98, null, 0, v31, vcc_lo
	v_lshrrev_b32_e32 v87, v86, v87
; %bb.3968:                             ;   in Loop: Header=BB6_3292 Depth=3
	s_andn2_saveexec_b32 s16, s16
; %bb.3969:                             ;   in Loop: Header=BB6_3292 Depth=3
	v_bfe_u32 v98, v87, 23, 1
; %bb.3970:                             ;   in Loop: Header=BB6_3292 Depth=3
	s_or_b32 exec_lo, exec_lo, s16
	v_lshrrev_b32_e32 v31, 21, v87
	v_min_i32_e32 v86, 31, v98
	v_cmp_gt_i32_e32 vcc_lo, 32, v98
	v_and_b32_sdwa v1, v1, v60 dst_sel:DWORD dst_unused:UNUSED_PAD src0_sel:BYTE_3 src1_sel:DWORD
	v_lshlrev_b32_e32 v86, 2, v86
	v_cndmask_b32_e32 v31, 3, v31, vcc_lo
	v_and_b32_e32 v86, 0xfc, v86
	v_or_b32_e32 v87, v98, v31
	v_and_b32_e32 v31, 3, v31
	v_cmp_ne_u32_e32 vcc_lo, 0, v87
	v_or3_b32 v1, v1, v86, v31
	v_lshlrev_b32_e32 v1, 8, v1
	v_cndmask_b32_e32 v122, 0, v1, vcc_lo
.LBB6_3971:                             ;   in Loop: Header=BB6_3292 Depth=3
	s_or_b32 exec_lo, exec_lo, s22
.LBB6_3972:                             ;   in Loop: Header=BB6_3292 Depth=3
	s_or_b32 exec_lo, exec_lo, s19
	v_and_b32_sdwa v31, v20, v63 dst_sel:DWORD dst_unused:UNUSED_PAD src0_sel:WORD_1 src1_sel:DWORD
	s_mov_b32 s19, 0
	s_mov_b32 s16, exec_lo
	v_cmpx_lt_i16_e32 0x7f, v31
	s_xor_b32 s16, exec_lo, s16
	s_cbranch_execz .LBB6_4706
; %bb.3973:                             ;   in Loop: Header=BB6_3292 Depth=3
	s_mov_b32 s19, -1
	s_mov_b32 s22, exec_lo
	v_cmpx_eq_u16_e32 0x80, v31
; %bb.3974:                             ;   in Loop: Header=BB6_3292 Depth=3
	s_xor_b32 s19, exec_lo, -1
; %bb.3975:                             ;   in Loop: Header=BB6_3292 Depth=3
	s_or_b32 exec_lo, exec_lo, s22
	s_and_b32 s19, s19, exec_lo
                                        ; implicit-def: $vgpr31
	s_or_saveexec_b32 s16, s16
	v_mov_b32_e32 v1, 0x7f800001
	s_xor_b32 exec_lo, exec_lo, s16
	s_cbranch_execnz .LBB6_4707
.LBB6_3976:                             ;   in Loop: Header=BB6_3292 Depth=3
	s_or_b32 exec_lo, exec_lo, s16
	s_and_saveexec_b32 s16, s19
	s_cbranch_execz .LBB6_3978
.LBB6_3977:                             ;   in Loop: Header=BB6_3292 Depth=3
	v_bfe_u32 v1, v20, 16, 2
	v_bfe_u32 v31, v20, 18, 5
	v_ffbh_u32_e32 v86, v1
	v_cmp_eq_u32_e32 vcc_lo, 0, v31
	v_min_u32_e32 v86, 32, v86
	v_subrev_nc_u32_e32 v87, 29, v86
	v_sub_nc_u32_e32 v86, 30, v86
	v_lshlrev_b32_sdwa v87, v87, v20 dst_sel:DWORD dst_unused:UNUSED_PAD src0_sel:DWORD src1_sel:WORD_1
	v_cndmask_b32_e32 v31, v31, v86, vcc_lo
	v_lshlrev_b32_e32 v86, 8, v20
	v_and_b32_e32 v87, 3, v87
	v_lshl_add_u32 v31, v31, 23, 0x37800000
	v_and_b32_e32 v86, 0x80000000, v86
	v_cndmask_b32_e32 v1, v1, v87, vcc_lo
	v_lshlrev_b32_e32 v1, 21, v1
	v_or3_b32 v1, v86, v31, v1
.LBB6_3978:                             ;   in Loop: Header=BB6_3292 Depth=3
	s_or_b32 exec_lo, exec_lo, s16
	v_and_b32_sdwa v86, v16, v63 dst_sel:DWORD dst_unused:UNUSED_PAD src0_sel:WORD_1 src1_sel:DWORD
	s_mov_b32 s19, 0
	s_mov_b32 s16, exec_lo
	v_cmpx_lt_i16_e32 0x7f, v86
	s_xor_b32 s16, exec_lo, s16
	s_cbranch_execz .LBB6_4708
; %bb.3979:                             ;   in Loop: Header=BB6_3292 Depth=3
	s_mov_b32 s19, -1
	s_mov_b32 s22, exec_lo
	v_cmpx_eq_u16_e32 0x80, v86
; %bb.3980:                             ;   in Loop: Header=BB6_3292 Depth=3
	s_xor_b32 s19, exec_lo, -1
; %bb.3981:                             ;   in Loop: Header=BB6_3292 Depth=3
	s_or_b32 exec_lo, exec_lo, s22
	s_and_b32 s19, s19, exec_lo
                                        ; implicit-def: $vgpr86
	s_or_saveexec_b32 s16, s16
	v_mov_b32_e32 v31, 0x7f800001
	s_xor_b32 exec_lo, exec_lo, s16
	s_cbranch_execnz .LBB6_4709
.LBB6_3982:                             ;   in Loop: Header=BB6_3292 Depth=3
	s_or_b32 exec_lo, exec_lo, s16
	s_and_saveexec_b32 s16, s19
	s_cbranch_execz .LBB6_3984
.LBB6_3983:                             ;   in Loop: Header=BB6_3292 Depth=3
	v_bfe_u32 v31, v16, 16, 2
	v_bfe_u32 v86, v16, 18, 5
	v_ffbh_u32_e32 v87, v31
	v_cmp_eq_u32_e32 vcc_lo, 0, v86
	v_min_u32_e32 v87, 32, v87
	v_subrev_nc_u32_e32 v98, 29, v87
	v_sub_nc_u32_e32 v87, 30, v87
	v_lshlrev_b32_sdwa v98, v98, v16 dst_sel:DWORD dst_unused:UNUSED_PAD src0_sel:DWORD src1_sel:WORD_1
	v_cndmask_b32_e32 v86, v86, v87, vcc_lo
	v_lshlrev_b32_e32 v87, 8, v16
	v_and_b32_e32 v98, 3, v98
	v_lshl_add_u32 v86, v86, 23, 0x37800000
	v_and_b32_e32 v87, 0x80000000, v87
	v_cndmask_b32_e32 v31, v31, v98, vcc_lo
	v_lshlrev_b32_e32 v31, 21, v31
	v_or3_b32 v31, v87, v86, v31
.LBB6_3984:                             ;   in Loop: Header=BB6_3292 Depth=3
	s_or_b32 exec_lo, exec_lo, s16
	v_mul_f32_e32 v1, v1, v31
	v_and_b32_e32 v31, 0x7f800000, v1
	v_cmp_ne_u32_e32 vcc_lo, 0x7f800000, v31
	v_mov_b32_e32 v31, 0x80
	s_and_saveexec_b32 s19, vcc_lo
	s_cbranch_execz .LBB6_3992
; %bb.3985:                             ;   in Loop: Header=BB6_3292 Depth=3
	v_mov_b32_e32 v31, 0
	s_mov_b32 s22, exec_lo
	v_cmpx_ne_u32_e32 0, v1
	s_cbranch_execz .LBB6_3991
; %bb.3986:                             ;   in Loop: Header=BB6_3292 Depth=3
	v_bfe_u32 v86, v1, 23, 8
	v_and_b32_e32 v31, 0x7fffff, v1
	v_cmp_gt_u32_e64 s16, 0x71, v86
	v_sub_nc_u32_e32 v87, 0x70, v86
	v_cmp_eq_u32_e32 vcc_lo, 0, v86
	v_or_b32_e32 v98, 0x800000, v31
	v_cndmask_b32_e64 v87, 0, v87, s16
	v_cndmask_b32_e32 v31, v98, v31, vcc_lo
	v_cndmask_b32_e64 v87, v87, 0x6f, vcc_lo
	v_lshl_add_u32 v98, 0x200000, v87, -1
	v_lshlrev_b32_e64 v99, v87, 0x100000
	v_and_b32_e32 v98, v98, v31
	v_cmp_eq_u32_e64 s16, v98, v99
	v_lshrrev_b32_e32 v98, v87, v31
	v_add_nc_u32_e32 v31, 0xffffff91, v86
	v_lshrrev_b32_e32 v86, 23, v98
	v_cndmask_b32_e64 v31, v31, 0xffffff92, vcc_lo
	v_xor_b32_e32 v86, 1, v86
	v_add_nc_u32_e32 v31, v87, v31
	v_bfe_u32 v87, v98, 21, 1
	v_add_nc_u32_e32 v87, -1, v87
	v_cndmask_b32_e64 v87, 0, v87, s16
	s_mov_b32 s16, exec_lo
	v_add_nc_u32_e32 v87, v87, v98
	v_and_b32_e32 v87, 0x1fffff, v87
	v_add_nc_u32_e32 v87, v87, v98
                                        ; implicit-def: $vgpr98
	v_cmpx_ne_u32_e64 v31, v86
	s_xor_b32 s16, exec_lo, s16
; %bb.3987:                             ;   in Loop: Header=BB6_3292 Depth=3
	v_cmp_lt_u32_e32 vcc_lo, 0xffffff, v87
	v_sub_nc_u32_e32 v31, v31, v86
	v_cndmask_b32_e64 v86, 0, 1, vcc_lo
	v_add_co_ci_u32_e64 v98, null, 0, v31, vcc_lo
	v_lshrrev_b32_e32 v87, v86, v87
; %bb.3988:                             ;   in Loop: Header=BB6_3292 Depth=3
	s_andn2_saveexec_b32 s16, s16
; %bb.3989:                             ;   in Loop: Header=BB6_3292 Depth=3
	v_bfe_u32 v98, v87, 23, 1
; %bb.3990:                             ;   in Loop: Header=BB6_3292 Depth=3
	s_or_b32 exec_lo, exec_lo, s16
	v_lshrrev_b32_e32 v31, 21, v87
	v_min_i32_e32 v86, 31, v98
	v_cmp_gt_i32_e32 vcc_lo, 32, v98
	v_and_b32_sdwa v1, v1, v60 dst_sel:DWORD dst_unused:UNUSED_PAD src0_sel:BYTE_3 src1_sel:DWORD
	v_lshlrev_b32_e32 v86, 2, v86
	v_cndmask_b32_e32 v31, 3, v31, vcc_lo
	v_and_b32_e32 v86, 0xfc, v86
	v_or_b32_e32 v87, v98, v31
	v_and_b32_e32 v31, 3, v31
	v_cmp_ne_u32_e32 vcc_lo, 0, v87
	v_or3_b32 v1, v86, v1, v31
	v_cndmask_b32_e32 v31, 0, v1, vcc_lo
.LBB6_3991:                             ;   in Loop: Header=BB6_3292 Depth=3
	s_or_b32 exec_lo, exec_lo, s22
.LBB6_3992:                             ;   in Loop: Header=BB6_3292 Depth=3
	s_or_b32 exec_lo, exec_lo, s19
	v_cmp_gt_i16_sdwa s19, v20, v59 src0_sel:BYTE_3 src1_sel:DWORD
	s_mov_b32 s16, 0
	s_and_saveexec_b32 s22, s19
	s_xor_b32 s19, exec_lo, s22
	s_cbranch_execz .LBB6_4710
; %bb.3993:                             ;   in Loop: Header=BB6_3292 Depth=3
	v_cmp_eq_u16_sdwa s23, v20, v60 src0_sel:BYTE_3 src1_sel:DWORD
	s_mov_b32 s16, -1
	s_and_saveexec_b32 s22, s23
; %bb.3994:                             ;   in Loop: Header=BB6_3292 Depth=3
	s_xor_b32 s16, exec_lo, -1
; %bb.3995:                             ;   in Loop: Header=BB6_3292 Depth=3
	s_or_b32 exec_lo, exec_lo, s22
	s_and_b32 s16, s16, exec_lo
	s_or_saveexec_b32 s19, s19
	v_mov_b32_e32 v1, 0x7f800001
	s_xor_b32 exec_lo, exec_lo, s19
	s_cbranch_execnz .LBB6_4711
.LBB6_3996:                             ;   in Loop: Header=BB6_3292 Depth=3
	s_or_b32 exec_lo, exec_lo, s19
	s_and_saveexec_b32 s19, s16
	s_cbranch_execz .LBB6_3998
.LBB6_3997:                             ;   in Loop: Header=BB6_3292 Depth=3
	v_bfe_u32 v1, v20, 24, 2
	v_bfe_u32 v98, v20, 26, 5
	v_ffbh_u32_e32 v86, v1
	v_cmp_eq_u32_e32 vcc_lo, 0, v98
	v_min_u32_e32 v86, 32, v86
	v_subrev_nc_u32_e32 v87, 29, v86
	v_sub_nc_u32_e32 v86, 30, v86
	v_lshlrev_b32_sdwa v87, v87, v20 dst_sel:DWORD dst_unused:UNUSED_PAD src0_sel:DWORD src1_sel:BYTE_3
	v_cndmask_b32_e32 v86, v98, v86, vcc_lo
	v_and_b32_e32 v20, 0x80000000, v20
	v_and_b32_e32 v87, 3, v87
	v_lshl_add_u32 v86, v86, 23, 0x37800000
	v_cndmask_b32_e32 v1, v1, v87, vcc_lo
	v_lshlrev_b32_e32 v1, 21, v1
	v_or3_b32 v1, v20, v86, v1
.LBB6_3998:                             ;   in Loop: Header=BB6_3292 Depth=3
	s_or_b32 exec_lo, exec_lo, s19
	v_cmp_gt_i16_sdwa s19, v16, v59 src0_sel:BYTE_3 src1_sel:DWORD
	s_mov_b32 s16, 0
	s_and_saveexec_b32 s22, s19
	s_xor_b32 s19, exec_lo, s22
	s_cbranch_execz .LBB6_4712
; %bb.3999:                             ;   in Loop: Header=BB6_3292 Depth=3
	v_cmp_eq_u16_sdwa s23, v16, v60 src0_sel:BYTE_3 src1_sel:DWORD
	s_mov_b32 s16, -1
	s_and_saveexec_b32 s22, s23
; %bb.4000:                             ;   in Loop: Header=BB6_3292 Depth=3
	s_xor_b32 s16, exec_lo, -1
; %bb.4001:                             ;   in Loop: Header=BB6_3292 Depth=3
	s_or_b32 exec_lo, exec_lo, s22
	s_and_b32 s16, s16, exec_lo
	s_or_saveexec_b32 s19, s19
	v_mov_b32_e32 v20, 0x7f800001
	s_xor_b32 exec_lo, exec_lo, s19
	s_cbranch_execnz .LBB6_4713
.LBB6_4002:                             ;   in Loop: Header=BB6_3292 Depth=3
	s_or_b32 exec_lo, exec_lo, s19
	s_and_saveexec_b32 s19, s16
	s_cbranch_execz .LBB6_4004
.LBB6_4003:                             ;   in Loop: Header=BB6_3292 Depth=3
	v_bfe_u32 v20, v16, 24, 2
	v_bfe_u32 v98, v16, 26, 5
	v_ffbh_u32_e32 v86, v20
	v_cmp_eq_u32_e32 vcc_lo, 0, v98
	v_min_u32_e32 v86, 32, v86
	v_subrev_nc_u32_e32 v87, 29, v86
	v_sub_nc_u32_e32 v86, 30, v86
	v_lshlrev_b32_sdwa v87, v87, v16 dst_sel:DWORD dst_unused:UNUSED_PAD src0_sel:DWORD src1_sel:BYTE_3
	v_cndmask_b32_e32 v86, v98, v86, vcc_lo
	v_and_b32_e32 v16, 0x80000000, v16
	v_and_b32_e32 v87, 3, v87
	v_lshl_add_u32 v86, v86, 23, 0x37800000
	v_cndmask_b32_e32 v20, v20, v87, vcc_lo
	v_lshlrev_b32_e32 v20, 21, v20
	v_or3_b32 v20, v16, v86, v20
.LBB6_4004:                             ;   in Loop: Header=BB6_3292 Depth=3
	s_or_b32 exec_lo, exec_lo, s19
	v_mul_f32_e32 v1, v1, v20
	v_and_b32_e32 v16, 0x7f800000, v1
	v_cmp_ne_u32_e32 vcc_lo, 0x7f800000, v16
	v_mov_b32_e32 v16, 0x8000
	s_and_saveexec_b32 s19, vcc_lo
	s_cbranch_execz .LBB6_4012
; %bb.4005:                             ;   in Loop: Header=BB6_3292 Depth=3
	v_mov_b32_e32 v16, 0
	s_mov_b32 s22, exec_lo
	v_cmpx_ne_u32_e32 0, v1
	s_cbranch_execz .LBB6_4011
; %bb.4006:                             ;   in Loop: Header=BB6_3292 Depth=3
	v_bfe_u32 v20, v1, 23, 8
	v_and_b32_e32 v16, 0x7fffff, v1
	v_cmp_gt_u32_e64 s16, 0x71, v20
	v_sub_nc_u32_e32 v86, 0x70, v20
	v_cmp_eq_u32_e32 vcc_lo, 0, v20
	v_or_b32_e32 v87, 0x800000, v16
	v_cndmask_b32_e64 v86, 0, v86, s16
	v_cndmask_b32_e32 v16, v87, v16, vcc_lo
	v_cndmask_b32_e64 v86, v86, 0x6f, vcc_lo
	v_lshl_add_u32 v87, 0x200000, v86, -1
	v_lshlrev_b32_e64 v98, v86, 0x100000
	v_and_b32_e32 v87, v87, v16
	v_cmp_eq_u32_e64 s16, v87, v98
	v_lshrrev_b32_e32 v87, v86, v16
	v_add_nc_u32_e32 v16, 0xffffff91, v20
	v_lshrrev_b32_e32 v20, 23, v87
	v_cndmask_b32_e64 v16, v16, 0xffffff92, vcc_lo
	v_xor_b32_e32 v20, 1, v20
	v_add_nc_u32_e32 v16, v86, v16
	v_bfe_u32 v86, v87, 21, 1
	v_add_nc_u32_e32 v86, -1, v86
	v_cndmask_b32_e64 v86, 0, v86, s16
	s_mov_b32 s16, exec_lo
	v_add_nc_u32_e32 v86, v86, v87
	v_and_b32_e32 v86, 0x1fffff, v86
	v_add_nc_u32_e32 v86, v86, v87
                                        ; implicit-def: $vgpr87
	v_cmpx_ne_u32_e64 v16, v20
	s_xor_b32 s16, exec_lo, s16
; %bb.4007:                             ;   in Loop: Header=BB6_3292 Depth=3
	v_cmp_lt_u32_e32 vcc_lo, 0xffffff, v86
	v_sub_nc_u32_e32 v16, v16, v20
	v_cndmask_b32_e64 v20, 0, 1, vcc_lo
	v_add_co_ci_u32_e64 v87, null, 0, v16, vcc_lo
	v_lshrrev_b32_e32 v86, v20, v86
; %bb.4008:                             ;   in Loop: Header=BB6_3292 Depth=3
	s_andn2_saveexec_b32 s16, s16
; %bb.4009:                             ;   in Loop: Header=BB6_3292 Depth=3
	v_bfe_u32 v87, v86, 23, 1
; %bb.4010:                             ;   in Loop: Header=BB6_3292 Depth=3
	s_or_b32 exec_lo, exec_lo, s16
	v_lshrrev_b32_e32 v16, 21, v86
	v_min_i32_e32 v20, 31, v87
	v_cmp_gt_i32_e32 vcc_lo, 32, v87
	v_and_b32_sdwa v1, v1, v60 dst_sel:DWORD dst_unused:UNUSED_PAD src0_sel:BYTE_3 src1_sel:DWORD
	v_lshlrev_b32_e32 v20, 2, v20
	v_cndmask_b32_e32 v16, 3, v16, vcc_lo
	v_and_b32_e32 v20, 0xfc, v20
	v_or_b32_e32 v86, v87, v16
	v_and_b32_e32 v16, 3, v16
	v_cmp_ne_u32_e32 vcc_lo, 0, v86
	v_or3_b32 v1, v1, v20, v16
	v_lshlrev_b32_e32 v1, 8, v1
	v_cndmask_b32_e32 v16, 0, v1, vcc_lo
.LBB6_4011:                             ;   in Loop: Header=BB6_3292 Depth=3
	s_or_b32 exec_lo, exec_lo, s22
.LBB6_4012:                             ;   in Loop: Header=BB6_3292 Depth=3
	s_or_b32 exec_lo, exec_lo, s19
	v_cmp_gt_i16_sdwa s16, v21, v59 src0_sel:BYTE_0 src1_sel:DWORD
	s_mov_b32 s19, 0
	s_and_saveexec_b32 s22, s16
	s_xor_b32 s16, exec_lo, s22
	s_cbranch_execz .LBB6_4714
; %bb.4013:                             ;   in Loop: Header=BB6_3292 Depth=3
	v_cmp_eq_u16_sdwa s23, v21, v60 src0_sel:BYTE_0 src1_sel:DWORD
	s_mov_b32 s19, -1
	s_and_saveexec_b32 s22, s23
; %bb.4014:                             ;   in Loop: Header=BB6_3292 Depth=3
	s_xor_b32 s19, exec_lo, -1
; %bb.4015:                             ;   in Loop: Header=BB6_3292 Depth=3
	s_or_b32 exec_lo, exec_lo, s22
	s_and_b32 s19, s19, exec_lo
	s_or_saveexec_b32 s16, s16
	v_mov_b32_e32 v1, 0x7f800001
	s_xor_b32 exec_lo, exec_lo, s16
	s_cbranch_execnz .LBB6_4715
.LBB6_4016:                             ;   in Loop: Header=BB6_3292 Depth=3
	s_or_b32 exec_lo, exec_lo, s16
	s_and_saveexec_b32 s16, s19
	s_cbranch_execz .LBB6_4018
.LBB6_4017:                             ;   in Loop: Header=BB6_3292 Depth=3
	v_and_b32_e32 v1, 3, v21
	v_bfe_u32 v20, v21, 2, 5
	v_ffbh_u32_e32 v86, v1
	v_cmp_eq_u32_e32 vcc_lo, 0, v20
	v_min_u32_e32 v86, 32, v86
	v_subrev_nc_u32_e32 v87, 29, v86
	v_sub_nc_u32_e32 v86, 30, v86
	v_lshlrev_b32_e32 v87, v87, v21
	v_cndmask_b32_e32 v20, v20, v86, vcc_lo
	v_lshlrev_b32_e32 v86, 24, v21
	v_and_b32_e32 v87, 3, v87
	v_lshl_add_u32 v20, v20, 23, 0x37800000
	v_and_b32_e32 v86, 0x80000000, v86
	v_cndmask_b32_e32 v1, v1, v87, vcc_lo
	v_lshlrev_b32_e32 v1, 21, v1
	v_or3_b32 v1, v86, v20, v1
.LBB6_4018:                             ;   in Loop: Header=BB6_3292 Depth=3
	s_or_b32 exec_lo, exec_lo, s16
	v_cmp_gt_i16_sdwa s16, v17, v59 src0_sel:BYTE_0 src1_sel:DWORD
	s_mov_b32 s19, 0
	s_and_saveexec_b32 s22, s16
	s_xor_b32 s16, exec_lo, s22
	s_cbranch_execz .LBB6_4716
; %bb.4019:                             ;   in Loop: Header=BB6_3292 Depth=3
	v_cmp_eq_u16_sdwa s23, v17, v60 src0_sel:BYTE_0 src1_sel:DWORD
	s_mov_b32 s19, -1
	s_and_saveexec_b32 s22, s23
; %bb.4020:                             ;   in Loop: Header=BB6_3292 Depth=3
	s_xor_b32 s19, exec_lo, -1
; %bb.4021:                             ;   in Loop: Header=BB6_3292 Depth=3
	s_or_b32 exec_lo, exec_lo, s22
	s_and_b32 s19, s19, exec_lo
	s_or_saveexec_b32 s16, s16
	v_mov_b32_e32 v20, 0x7f800001
	s_xor_b32 exec_lo, exec_lo, s16
	s_cbranch_execnz .LBB6_4717
.LBB6_4022:                             ;   in Loop: Header=BB6_3292 Depth=3
	s_or_b32 exec_lo, exec_lo, s16
	s_and_saveexec_b32 s16, s19
	s_cbranch_execz .LBB6_4024
.LBB6_4023:                             ;   in Loop: Header=BB6_3292 Depth=3
	v_and_b32_e32 v20, 3, v17
	v_bfe_u32 v86, v17, 2, 5
	v_ffbh_u32_e32 v87, v20
	v_cmp_eq_u32_e32 vcc_lo, 0, v86
	v_min_u32_e32 v87, 32, v87
	v_subrev_nc_u32_e32 v98, 29, v87
	v_sub_nc_u32_e32 v87, 30, v87
	v_lshlrev_b32_e32 v98, v98, v17
	v_cndmask_b32_e32 v86, v86, v87, vcc_lo
	v_lshlrev_b32_e32 v87, 24, v17
	v_and_b32_e32 v98, 3, v98
	v_lshl_add_u32 v86, v86, 23, 0x37800000
	v_and_b32_e32 v87, 0x80000000, v87
	v_cndmask_b32_e32 v20, v20, v98, vcc_lo
	v_lshlrev_b32_e32 v20, 21, v20
	v_or3_b32 v20, v87, v86, v20
.LBB6_4024:                             ;   in Loop: Header=BB6_3292 Depth=3
	s_or_b32 exec_lo, exec_lo, s16
	v_mul_f32_e32 v1, v1, v20
	v_and_b32_e32 v20, 0x7f800000, v1
	v_cmp_ne_u32_e32 vcc_lo, 0x7f800000, v20
	v_mov_b32_e32 v20, 0x80
	s_and_saveexec_b32 s19, vcc_lo
	s_cbranch_execz .LBB6_4032
; %bb.4025:                             ;   in Loop: Header=BB6_3292 Depth=3
	v_mov_b32_e32 v20, 0
	s_mov_b32 s22, exec_lo
	v_cmpx_ne_u32_e32 0, v1
	s_cbranch_execz .LBB6_4031
; %bb.4026:                             ;   in Loop: Header=BB6_3292 Depth=3
	v_bfe_u32 v86, v1, 23, 8
	v_and_b32_e32 v20, 0x7fffff, v1
	v_cmp_gt_u32_e64 s16, 0x71, v86
	v_sub_nc_u32_e32 v87, 0x70, v86
	v_cmp_eq_u32_e32 vcc_lo, 0, v86
	v_or_b32_e32 v98, 0x800000, v20
	v_cndmask_b32_e64 v87, 0, v87, s16
	v_cndmask_b32_e32 v20, v98, v20, vcc_lo
	v_cndmask_b32_e64 v87, v87, 0x6f, vcc_lo
	v_lshl_add_u32 v98, 0x200000, v87, -1
	v_lshlrev_b32_e64 v99, v87, 0x100000
	v_and_b32_e32 v98, v98, v20
	v_cmp_eq_u32_e64 s16, v98, v99
	v_lshrrev_b32_e32 v98, v87, v20
	v_add_nc_u32_e32 v20, 0xffffff91, v86
	v_lshrrev_b32_e32 v86, 23, v98
	v_cndmask_b32_e64 v20, v20, 0xffffff92, vcc_lo
	v_xor_b32_e32 v86, 1, v86
	v_add_nc_u32_e32 v20, v87, v20
	v_bfe_u32 v87, v98, 21, 1
	v_add_nc_u32_e32 v87, -1, v87
	v_cndmask_b32_e64 v87, 0, v87, s16
	s_mov_b32 s16, exec_lo
	v_add_nc_u32_e32 v87, v87, v98
	v_and_b32_e32 v87, 0x1fffff, v87
	v_add_nc_u32_e32 v87, v87, v98
                                        ; implicit-def: $vgpr98
	v_cmpx_ne_u32_e64 v20, v86
	s_xor_b32 s16, exec_lo, s16
; %bb.4027:                             ;   in Loop: Header=BB6_3292 Depth=3
	v_cmp_lt_u32_e32 vcc_lo, 0xffffff, v87
	v_sub_nc_u32_e32 v20, v20, v86
	v_cndmask_b32_e64 v86, 0, 1, vcc_lo
	v_add_co_ci_u32_e64 v98, null, 0, v20, vcc_lo
	v_lshrrev_b32_e32 v87, v86, v87
; %bb.4028:                             ;   in Loop: Header=BB6_3292 Depth=3
	s_andn2_saveexec_b32 s16, s16
; %bb.4029:                             ;   in Loop: Header=BB6_3292 Depth=3
	v_bfe_u32 v98, v87, 23, 1
; %bb.4030:                             ;   in Loop: Header=BB6_3292 Depth=3
	s_or_b32 exec_lo, exec_lo, s16
	v_lshrrev_b32_e32 v20, 21, v87
	v_min_i32_e32 v86, 31, v98
	v_cmp_gt_i32_e32 vcc_lo, 32, v98
	v_and_b32_sdwa v1, v1, v60 dst_sel:DWORD dst_unused:UNUSED_PAD src0_sel:BYTE_3 src1_sel:DWORD
	v_lshlrev_b32_e32 v86, 2, v86
	v_cndmask_b32_e32 v20, 3, v20, vcc_lo
	v_and_b32_e32 v86, 0xfc, v86
	v_or_b32_e32 v87, v98, v20
	v_and_b32_e32 v20, 3, v20
	v_cmp_ne_u32_e32 vcc_lo, 0, v87
	v_or3_b32 v1, v86, v1, v20
	v_cndmask_b32_e32 v20, 0, v1, vcc_lo
.LBB6_4031:                             ;   in Loop: Header=BB6_3292 Depth=3
	s_or_b32 exec_lo, exec_lo, s22
.LBB6_4032:                             ;   in Loop: Header=BB6_3292 Depth=3
	s_or_b32 exec_lo, exec_lo, s19
	v_cmp_gt_i16_sdwa s19, v21, v59 src0_sel:BYTE_1 src1_sel:DWORD
	s_mov_b32 s16, 0
	s_and_saveexec_b32 s22, s19
	s_xor_b32 s19, exec_lo, s22
	s_cbranch_execz .LBB6_4718
; %bb.4033:                             ;   in Loop: Header=BB6_3292 Depth=3
	v_cmp_eq_u16_sdwa s23, v21, v60 src0_sel:BYTE_1 src1_sel:DWORD
	s_mov_b32 s16, -1
	s_and_saveexec_b32 s22, s23
; %bb.4034:                             ;   in Loop: Header=BB6_3292 Depth=3
	s_xor_b32 s16, exec_lo, -1
; %bb.4035:                             ;   in Loop: Header=BB6_3292 Depth=3
	s_or_b32 exec_lo, exec_lo, s22
	s_and_b32 s16, s16, exec_lo
	s_or_saveexec_b32 s19, s19
	v_mov_b32_e32 v1, 0x7f800001
	s_xor_b32 exec_lo, exec_lo, s19
	s_cbranch_execnz .LBB6_4719
.LBB6_4036:                             ;   in Loop: Header=BB6_3292 Depth=3
	s_or_b32 exec_lo, exec_lo, s19
	s_and_saveexec_b32 s19, s16
	s_cbranch_execz .LBB6_4038
.LBB6_4037:                             ;   in Loop: Header=BB6_3292 Depth=3
	v_and_b32_sdwa v1, v61, v21 dst_sel:DWORD dst_unused:UNUSED_PAD src0_sel:DWORD src1_sel:BYTE_1
	v_and_b32_e32 v86, 3, v1
	v_bfe_u32 v99, v1, 2, 5
	v_ffbh_u32_e32 v87, v86
	v_cmp_eq_u32_e32 vcc_lo, 0, v99
	v_min_u32_e32 v87, 32, v87
	v_subrev_nc_u32_e32 v98, 29, v87
	v_sub_nc_u32_e32 v87, 30, v87
	v_lshlrev_b32_e32 v1, v98, v1
	v_lshlrev_b32_sdwa v98, v62, v21 dst_sel:DWORD dst_unused:UNUSED_PAD src0_sel:DWORD src1_sel:BYTE_1
	v_cndmask_b32_e32 v87, v99, v87, vcc_lo
	v_and_b32_e32 v1, 3, v1
	v_lshl_add_u32 v87, v87, 23, 0x37800000
	v_cndmask_b32_e32 v1, v86, v1, vcc_lo
	v_and_b32_e32 v86, 0x80000000, v98
	v_lshlrev_b32_e32 v1, 21, v1
	v_or3_b32 v1, v86, v87, v1
.LBB6_4038:                             ;   in Loop: Header=BB6_3292 Depth=3
	s_or_b32 exec_lo, exec_lo, s19
	v_cmp_gt_i16_sdwa s19, v17, v59 src0_sel:BYTE_1 src1_sel:DWORD
	s_mov_b32 s16, 0
	s_and_saveexec_b32 s22, s19
	s_xor_b32 s19, exec_lo, s22
	s_cbranch_execz .LBB6_4720
; %bb.4039:                             ;   in Loop: Header=BB6_3292 Depth=3
	v_cmp_eq_u16_sdwa s23, v17, v60 src0_sel:BYTE_1 src1_sel:DWORD
	s_mov_b32 s16, -1
	s_and_saveexec_b32 s22, s23
; %bb.4040:                             ;   in Loop: Header=BB6_3292 Depth=3
	s_xor_b32 s16, exec_lo, -1
; %bb.4041:                             ;   in Loop: Header=BB6_3292 Depth=3
	s_or_b32 exec_lo, exec_lo, s22
	s_and_b32 s16, s16, exec_lo
	s_or_saveexec_b32 s19, s19
	v_mov_b32_e32 v86, 0x7f800001
	s_xor_b32 exec_lo, exec_lo, s19
	s_cbranch_execnz .LBB6_4721
.LBB6_4042:                             ;   in Loop: Header=BB6_3292 Depth=3
	s_or_b32 exec_lo, exec_lo, s19
	s_and_saveexec_b32 s19, s16
	s_cbranch_execz .LBB6_4044
.LBB6_4043:                             ;   in Loop: Header=BB6_3292 Depth=3
	v_and_b32_sdwa v86, v61, v17 dst_sel:DWORD dst_unused:UNUSED_PAD src0_sel:DWORD src1_sel:BYTE_1
	v_and_b32_e32 v87, 3, v86
	v_bfe_u32 v112, v86, 2, 5
	v_ffbh_u32_e32 v98, v87
	v_cmp_eq_u32_e32 vcc_lo, 0, v112
	v_min_u32_e32 v98, 32, v98
	v_subrev_nc_u32_e32 v99, 29, v98
	v_sub_nc_u32_e32 v98, 30, v98
	v_lshlrev_b32_e32 v86, v99, v86
	v_lshlrev_b32_sdwa v99, v62, v17 dst_sel:DWORD dst_unused:UNUSED_PAD src0_sel:DWORD src1_sel:BYTE_1
	v_cndmask_b32_e32 v98, v112, v98, vcc_lo
	v_and_b32_e32 v86, 3, v86
	v_lshl_add_u32 v98, v98, 23, 0x37800000
	v_cndmask_b32_e32 v86, v87, v86, vcc_lo
	v_and_b32_e32 v87, 0x80000000, v99
	v_lshlrev_b32_e32 v86, 21, v86
	v_or3_b32 v86, v87, v98, v86
.LBB6_4044:                             ;   in Loop: Header=BB6_3292 Depth=3
	s_or_b32 exec_lo, exec_lo, s19
	v_mul_f32_e32 v98, v1, v86
	v_and_b32_e32 v1, 0x7f800000, v98
	v_cmp_ne_u32_e32 vcc_lo, 0x7f800000, v1
	v_mov_b32_e32 v1, 0x8000
	s_and_saveexec_b32 s19, vcc_lo
	s_cbranch_execz .LBB6_4052
; %bb.4045:                             ;   in Loop: Header=BB6_3292 Depth=3
	v_mov_b32_e32 v1, 0
	s_mov_b32 s22, exec_lo
	v_cmpx_ne_u32_e32 0, v98
	s_cbranch_execz .LBB6_4051
; %bb.4046:                             ;   in Loop: Header=BB6_3292 Depth=3
	v_bfe_u32 v86, v98, 23, 8
	v_and_b32_e32 v1, 0x7fffff, v98
	v_cmp_gt_u32_e64 s16, 0x71, v86
	v_sub_nc_u32_e32 v87, 0x70, v86
	v_cmp_eq_u32_e32 vcc_lo, 0, v86
	v_or_b32_e32 v99, 0x800000, v1
	v_cndmask_b32_e64 v87, 0, v87, s16
	v_cndmask_b32_e32 v1, v99, v1, vcc_lo
	v_cndmask_b32_e64 v87, v87, 0x6f, vcc_lo
	v_lshl_add_u32 v99, 0x200000, v87, -1
	v_lshlrev_b32_e64 v112, v87, 0x100000
	v_and_b32_e32 v99, v99, v1
	v_cmp_eq_u32_e64 s16, v99, v112
	v_lshrrev_b32_e32 v99, v87, v1
	v_add_nc_u32_e32 v1, 0xffffff91, v86
	v_lshrrev_b32_e32 v86, 23, v99
	v_cndmask_b32_e64 v1, v1, 0xffffff92, vcc_lo
	v_xor_b32_e32 v86, 1, v86
	v_add_nc_u32_e32 v1, v87, v1
	v_bfe_u32 v87, v99, 21, 1
	v_add_nc_u32_e32 v87, -1, v87
	v_cndmask_b32_e64 v87, 0, v87, s16
	s_mov_b32 s16, exec_lo
	v_add_nc_u32_e32 v87, v87, v99
	v_and_b32_e32 v87, 0x1fffff, v87
	v_add_nc_u32_e32 v87, v87, v99
                                        ; implicit-def: $vgpr99
	v_cmpx_ne_u32_e64 v1, v86
	s_xor_b32 s16, exec_lo, s16
; %bb.4047:                             ;   in Loop: Header=BB6_3292 Depth=3
	v_cmp_lt_u32_e32 vcc_lo, 0xffffff, v87
	v_sub_nc_u32_e32 v1, v1, v86
	v_cndmask_b32_e64 v86, 0, 1, vcc_lo
	v_add_co_ci_u32_e64 v99, null, 0, v1, vcc_lo
	v_lshrrev_b32_e32 v87, v86, v87
; %bb.4048:                             ;   in Loop: Header=BB6_3292 Depth=3
	s_andn2_saveexec_b32 s16, s16
; %bb.4049:                             ;   in Loop: Header=BB6_3292 Depth=3
	v_bfe_u32 v99, v87, 23, 1
; %bb.4050:                             ;   in Loop: Header=BB6_3292 Depth=3
	s_or_b32 exec_lo, exec_lo, s16
	v_lshrrev_b32_e32 v86, 21, v87
	v_min_i32_e32 v87, 31, v99
	v_cmp_gt_i32_e32 vcc_lo, 32, v99
	v_and_b32_sdwa v1, v98, v60 dst_sel:DWORD dst_unused:UNUSED_PAD src0_sel:BYTE_3 src1_sel:DWORD
	v_lshlrev_b32_e32 v87, 2, v87
	v_cndmask_b32_e32 v86, 3, v86, vcc_lo
	v_and_b32_e32 v87, 0xfc, v87
	v_or_b32_e32 v98, v99, v86
	v_and_b32_e32 v86, 3, v86
	v_cmp_ne_u32_e32 vcc_lo, 0, v98
	v_or3_b32 v1, v1, v87, v86
	v_lshlrev_b32_e32 v1, 8, v1
	v_cndmask_b32_e32 v1, 0, v1, vcc_lo
.LBB6_4051:                             ;   in Loop: Header=BB6_3292 Depth=3
	s_or_b32 exec_lo, exec_lo, s22
.LBB6_4052:                             ;   in Loop: Header=BB6_3292 Depth=3
	s_or_b32 exec_lo, exec_lo, s19
	v_and_b32_sdwa v87, v21, v63 dst_sel:DWORD dst_unused:UNUSED_PAD src0_sel:WORD_1 src1_sel:DWORD
	s_mov_b32 s19, 0
	s_mov_b32 s16, exec_lo
	v_cmpx_lt_i16_e32 0x7f, v87
	s_xor_b32 s16, exec_lo, s16
	s_cbranch_execz .LBB6_4722
; %bb.4053:                             ;   in Loop: Header=BB6_3292 Depth=3
	s_mov_b32 s19, -1
	s_mov_b32 s22, exec_lo
	v_cmpx_eq_u16_e32 0x80, v87
; %bb.4054:                             ;   in Loop: Header=BB6_3292 Depth=3
	s_xor_b32 s19, exec_lo, -1
; %bb.4055:                             ;   in Loop: Header=BB6_3292 Depth=3
	s_or_b32 exec_lo, exec_lo, s22
	s_and_b32 s19, s19, exec_lo
                                        ; implicit-def: $vgpr87
	s_or_saveexec_b32 s16, s16
	v_mov_b32_e32 v86, 0x7f800001
	s_xor_b32 exec_lo, exec_lo, s16
	s_cbranch_execnz .LBB6_4723
.LBB6_4056:                             ;   in Loop: Header=BB6_3292 Depth=3
	s_or_b32 exec_lo, exec_lo, s16
	s_and_saveexec_b32 s16, s19
	s_cbranch_execz .LBB6_4058
.LBB6_4057:                             ;   in Loop: Header=BB6_3292 Depth=3
	v_bfe_u32 v86, v21, 16, 2
	v_bfe_u32 v87, v21, 18, 5
	v_ffbh_u32_e32 v98, v86
	v_cmp_eq_u32_e32 vcc_lo, 0, v87
	v_min_u32_e32 v98, 32, v98
	v_subrev_nc_u32_e32 v99, 29, v98
	v_sub_nc_u32_e32 v98, 30, v98
	v_lshlrev_b32_sdwa v99, v99, v21 dst_sel:DWORD dst_unused:UNUSED_PAD src0_sel:DWORD src1_sel:WORD_1
	v_cndmask_b32_e32 v87, v87, v98, vcc_lo
	v_lshlrev_b32_e32 v98, 8, v21
	v_and_b32_e32 v99, 3, v99
	v_lshl_add_u32 v87, v87, 23, 0x37800000
	v_and_b32_e32 v98, 0x80000000, v98
	v_cndmask_b32_e32 v86, v86, v99, vcc_lo
	v_lshlrev_b32_e32 v86, 21, v86
	v_or3_b32 v86, v98, v87, v86
.LBB6_4058:                             ;   in Loop: Header=BB6_3292 Depth=3
	s_or_b32 exec_lo, exec_lo, s16
	v_and_b32_sdwa v98, v17, v63 dst_sel:DWORD dst_unused:UNUSED_PAD src0_sel:WORD_1 src1_sel:DWORD
	s_mov_b32 s19, 0
	s_mov_b32 s16, exec_lo
	v_cmpx_lt_i16_e32 0x7f, v98
	s_xor_b32 s16, exec_lo, s16
	s_cbranch_execz .LBB6_4724
; %bb.4059:                             ;   in Loop: Header=BB6_3292 Depth=3
	s_mov_b32 s19, -1
	s_mov_b32 s22, exec_lo
	v_cmpx_eq_u16_e32 0x80, v98
; %bb.4060:                             ;   in Loop: Header=BB6_3292 Depth=3
	s_xor_b32 s19, exec_lo, -1
; %bb.4061:                             ;   in Loop: Header=BB6_3292 Depth=3
	s_or_b32 exec_lo, exec_lo, s22
	s_and_b32 s19, s19, exec_lo
                                        ; implicit-def: $vgpr98
	s_or_saveexec_b32 s16, s16
	v_mov_b32_e32 v87, 0x7f800001
	s_xor_b32 exec_lo, exec_lo, s16
	s_cbranch_execnz .LBB6_4725
.LBB6_4062:                             ;   in Loop: Header=BB6_3292 Depth=3
	s_or_b32 exec_lo, exec_lo, s16
	s_and_saveexec_b32 s16, s19
	s_cbranch_execz .LBB6_4064
.LBB6_4063:                             ;   in Loop: Header=BB6_3292 Depth=3
	v_bfe_u32 v87, v17, 16, 2
	v_bfe_u32 v98, v17, 18, 5
	v_ffbh_u32_e32 v99, v87
	v_cmp_eq_u32_e32 vcc_lo, 0, v98
	v_min_u32_e32 v99, 32, v99
	v_subrev_nc_u32_e32 v112, 29, v99
	v_sub_nc_u32_e32 v99, 30, v99
	v_lshlrev_b32_sdwa v112, v112, v17 dst_sel:DWORD dst_unused:UNUSED_PAD src0_sel:DWORD src1_sel:WORD_1
	v_cndmask_b32_e32 v98, v98, v99, vcc_lo
	v_lshlrev_b32_e32 v99, 8, v17
	v_and_b32_e32 v112, 3, v112
	v_lshl_add_u32 v98, v98, 23, 0x37800000
	v_and_b32_e32 v99, 0x80000000, v99
	v_cndmask_b32_e32 v87, v87, v112, vcc_lo
	v_lshlrev_b32_e32 v87, 21, v87
	v_or3_b32 v87, v99, v98, v87
.LBB6_4064:                             ;   in Loop: Header=BB6_3292 Depth=3
	s_or_b32 exec_lo, exec_lo, s16
	v_mul_f32_e32 v98, v86, v87
	v_mov_b32_e32 v110, 0x80
	s_mov_b32 s19, exec_lo
	v_and_b32_e32 v86, 0x7f800000, v98
	v_cmpx_ne_u32_e32 0x7f800000, v86
	s_cbranch_execz .LBB6_4072
; %bb.4065:                             ;   in Loop: Header=BB6_3292 Depth=3
	v_mov_b32_e32 v110, 0
	s_mov_b32 s22, exec_lo
	v_cmpx_ne_u32_e32 0, v98
	s_cbranch_execz .LBB6_4071
; %bb.4066:                             ;   in Loop: Header=BB6_3292 Depth=3
	v_bfe_u32 v87, v98, 23, 8
	v_and_b32_e32 v86, 0x7fffff, v98
	v_cmp_gt_u32_e64 s16, 0x71, v87
	v_sub_nc_u32_e32 v99, 0x70, v87
	v_cmp_eq_u32_e32 vcc_lo, 0, v87
	v_or_b32_e32 v112, 0x800000, v86
	v_cndmask_b32_e64 v99, 0, v99, s16
	v_cndmask_b32_e32 v86, v112, v86, vcc_lo
	v_cndmask_b32_e64 v99, v99, 0x6f, vcc_lo
	v_lshl_add_u32 v112, 0x200000, v99, -1
	v_lshlrev_b32_e64 v113, v99, 0x100000
	v_and_b32_e32 v112, v112, v86
	v_cmp_eq_u32_e64 s16, v112, v113
	v_lshrrev_b32_e32 v112, v99, v86
	v_add_nc_u32_e32 v86, 0xffffff91, v87
	v_lshrrev_b32_e32 v87, 23, v112
	v_cndmask_b32_e64 v86, v86, 0xffffff92, vcc_lo
	v_xor_b32_e32 v87, 1, v87
	v_add_nc_u32_e32 v86, v99, v86
	v_bfe_u32 v99, v112, 21, 1
	v_add_nc_u32_e32 v99, -1, v99
	v_cndmask_b32_e64 v99, 0, v99, s16
	s_mov_b32 s16, exec_lo
	v_add_nc_u32_e32 v99, v99, v112
	v_and_b32_e32 v99, 0x1fffff, v99
	v_add_nc_u32_e32 v99, v99, v112
                                        ; implicit-def: $vgpr112
	v_cmpx_ne_u32_e64 v86, v87
	s_xor_b32 s16, exec_lo, s16
; %bb.4067:                             ;   in Loop: Header=BB6_3292 Depth=3
	v_cmp_lt_u32_e32 vcc_lo, 0xffffff, v99
	v_sub_nc_u32_e32 v86, v86, v87
	v_cndmask_b32_e64 v87, 0, 1, vcc_lo
	v_add_co_ci_u32_e64 v112, null, 0, v86, vcc_lo
	v_lshrrev_b32_e32 v99, v87, v99
; %bb.4068:                             ;   in Loop: Header=BB6_3292 Depth=3
	s_andn2_saveexec_b32 s16, s16
; %bb.4069:                             ;   in Loop: Header=BB6_3292 Depth=3
	v_bfe_u32 v112, v99, 23, 1
; %bb.4070:                             ;   in Loop: Header=BB6_3292 Depth=3
	s_or_b32 exec_lo, exec_lo, s16
	v_and_b32_sdwa v86, v98, v60 dst_sel:DWORD dst_unused:UNUSED_PAD src0_sel:BYTE_3 src1_sel:DWORD
	v_lshrrev_b32_e32 v87, 21, v99
	v_min_i32_e32 v98, 31, v112
	v_cmp_gt_i32_e32 vcc_lo, 32, v112
	v_lshlrev_b32_e32 v98, 2, v98
	v_cndmask_b32_e32 v87, 3, v87, vcc_lo
	v_and_b32_e32 v98, 0xfc, v98
	v_or_b32_e32 v99, v112, v87
	v_and_b32_e32 v87, 3, v87
	v_cmp_ne_u32_e32 vcc_lo, 0, v99
	v_or3_b32 v86, v98, v86, v87
	v_cndmask_b32_e32 v110, 0, v86, vcc_lo
.LBB6_4071:                             ;   in Loop: Header=BB6_3292 Depth=3
	s_or_b32 exec_lo, exec_lo, s22
.LBB6_4072:                             ;   in Loop: Header=BB6_3292 Depth=3
	s_or_b32 exec_lo, exec_lo, s19
	v_cmp_gt_i16_sdwa s19, v21, v59 src0_sel:BYTE_3 src1_sel:DWORD
	s_mov_b32 s16, 0
	s_and_saveexec_b32 s22, s19
	s_xor_b32 s19, exec_lo, s22
	s_cbranch_execz .LBB6_4726
; %bb.4073:                             ;   in Loop: Header=BB6_3292 Depth=3
	v_cmp_eq_u16_sdwa s23, v21, v60 src0_sel:BYTE_3 src1_sel:DWORD
	s_mov_b32 s16, -1
	s_and_saveexec_b32 s22, s23
; %bb.4074:                             ;   in Loop: Header=BB6_3292 Depth=3
	s_xor_b32 s16, exec_lo, -1
; %bb.4075:                             ;   in Loop: Header=BB6_3292 Depth=3
	s_or_b32 exec_lo, exec_lo, s22
	s_and_b32 s16, s16, exec_lo
	s_or_saveexec_b32 s19, s19
	v_mov_b32_e32 v86, 0x7f800001
	s_xor_b32 exec_lo, exec_lo, s19
	s_cbranch_execnz .LBB6_4727
.LBB6_4076:                             ;   in Loop: Header=BB6_3292 Depth=3
	s_or_b32 exec_lo, exec_lo, s19
	s_and_saveexec_b32 s19, s16
	s_cbranch_execz .LBB6_4078
.LBB6_4077:                             ;   in Loop: Header=BB6_3292 Depth=3
	v_bfe_u32 v86, v21, 24, 2
	v_bfe_u32 v99, v21, 26, 5
	v_ffbh_u32_e32 v87, v86
	v_cmp_eq_u32_e32 vcc_lo, 0, v99
	v_min_u32_e32 v87, 32, v87
	v_subrev_nc_u32_e32 v98, 29, v87
	v_sub_nc_u32_e32 v87, 30, v87
	v_lshlrev_b32_sdwa v98, v98, v21 dst_sel:DWORD dst_unused:UNUSED_PAD src0_sel:DWORD src1_sel:BYTE_3
	v_cndmask_b32_e32 v87, v99, v87, vcc_lo
	v_and_b32_e32 v21, 0x80000000, v21
	v_and_b32_e32 v98, 3, v98
	v_lshl_add_u32 v87, v87, 23, 0x37800000
	v_cndmask_b32_e32 v86, v86, v98, vcc_lo
	v_lshlrev_b32_e32 v86, 21, v86
	v_or3_b32 v86, v21, v87, v86
.LBB6_4078:                             ;   in Loop: Header=BB6_3292 Depth=3
	s_or_b32 exec_lo, exec_lo, s19
	v_cmp_gt_i16_sdwa s19, v17, v59 src0_sel:BYTE_3 src1_sel:DWORD
	s_mov_b32 s16, 0
	s_and_saveexec_b32 s22, s19
	s_xor_b32 s19, exec_lo, s22
	s_cbranch_execz .LBB6_4728
; %bb.4079:                             ;   in Loop: Header=BB6_3292 Depth=3
	v_cmp_eq_u16_sdwa s23, v17, v60 src0_sel:BYTE_3 src1_sel:DWORD
	s_mov_b32 s16, -1
	s_and_saveexec_b32 s22, s23
; %bb.4080:                             ;   in Loop: Header=BB6_3292 Depth=3
	s_xor_b32 s16, exec_lo, -1
; %bb.4081:                             ;   in Loop: Header=BB6_3292 Depth=3
	s_or_b32 exec_lo, exec_lo, s22
	s_and_b32 s16, s16, exec_lo
	s_or_saveexec_b32 s19, s19
	v_mov_b32_e32 v21, 0x7f800001
	s_xor_b32 exec_lo, exec_lo, s19
	s_cbranch_execnz .LBB6_4729
.LBB6_4082:                             ;   in Loop: Header=BB6_3292 Depth=3
	s_or_b32 exec_lo, exec_lo, s19
	s_and_saveexec_b32 s19, s16
	s_cbranch_execz .LBB6_4084
.LBB6_4083:                             ;   in Loop: Header=BB6_3292 Depth=3
	v_bfe_u32 v21, v17, 24, 2
	v_bfe_u32 v99, v17, 26, 5
	v_ffbh_u32_e32 v87, v21
	v_cmp_eq_u32_e32 vcc_lo, 0, v99
	v_min_u32_e32 v87, 32, v87
	v_subrev_nc_u32_e32 v98, 29, v87
	v_sub_nc_u32_e32 v87, 30, v87
	v_lshlrev_b32_sdwa v98, v98, v17 dst_sel:DWORD dst_unused:UNUSED_PAD src0_sel:DWORD src1_sel:BYTE_3
	v_cndmask_b32_e32 v87, v99, v87, vcc_lo
	v_and_b32_e32 v17, 0x80000000, v17
	v_and_b32_e32 v98, 3, v98
	v_lshl_add_u32 v87, v87, 23, 0x37800000
	v_cndmask_b32_e32 v21, v21, v98, vcc_lo
	v_lshlrev_b32_e32 v21, 21, v21
	v_or3_b32 v21, v17, v87, v21
.LBB6_4084:                             ;   in Loop: Header=BB6_3292 Depth=3
	s_or_b32 exec_lo, exec_lo, s19
	v_mul_f32_e32 v21, v86, v21
	v_and_b32_e32 v17, 0x7f800000, v21
	v_cmp_ne_u32_e32 vcc_lo, 0x7f800000, v17
	v_mov_b32_e32 v17, 0x8000
	s_and_saveexec_b32 s19, vcc_lo
	s_cbranch_execz .LBB6_4092
; %bb.4085:                             ;   in Loop: Header=BB6_3292 Depth=3
	v_mov_b32_e32 v17, 0
	s_mov_b32 s22, exec_lo
	v_cmpx_ne_u32_e32 0, v21
	s_cbranch_execz .LBB6_4091
; %bb.4086:                             ;   in Loop: Header=BB6_3292 Depth=3
	v_bfe_u32 v86, v21, 23, 8
	v_and_b32_e32 v17, 0x7fffff, v21
	v_cmp_gt_u32_e64 s16, 0x71, v86
	v_sub_nc_u32_e32 v87, 0x70, v86
	v_cmp_eq_u32_e32 vcc_lo, 0, v86
	v_or_b32_e32 v98, 0x800000, v17
	v_cndmask_b32_e64 v87, 0, v87, s16
	v_cndmask_b32_e32 v17, v98, v17, vcc_lo
	v_cndmask_b32_e64 v87, v87, 0x6f, vcc_lo
	v_lshl_add_u32 v98, 0x200000, v87, -1
	v_lshlrev_b32_e64 v99, v87, 0x100000
	v_and_b32_e32 v98, v98, v17
	v_cmp_eq_u32_e64 s16, v98, v99
	v_lshrrev_b32_e32 v98, v87, v17
	v_add_nc_u32_e32 v17, 0xffffff91, v86
	v_lshrrev_b32_e32 v86, 23, v98
	v_cndmask_b32_e64 v17, v17, 0xffffff92, vcc_lo
	v_xor_b32_e32 v86, 1, v86
	v_add_nc_u32_e32 v17, v87, v17
	v_bfe_u32 v87, v98, 21, 1
	v_add_nc_u32_e32 v87, -1, v87
	v_cndmask_b32_e64 v87, 0, v87, s16
	s_mov_b32 s16, exec_lo
	v_add_nc_u32_e32 v87, v87, v98
	v_and_b32_e32 v87, 0x1fffff, v87
	v_add_nc_u32_e32 v87, v87, v98
                                        ; implicit-def: $vgpr98
	v_cmpx_ne_u32_e64 v17, v86
	s_xor_b32 s16, exec_lo, s16
; %bb.4087:                             ;   in Loop: Header=BB6_3292 Depth=3
	v_cmp_lt_u32_e32 vcc_lo, 0xffffff, v87
	v_sub_nc_u32_e32 v17, v17, v86
	v_cndmask_b32_e64 v86, 0, 1, vcc_lo
	v_add_co_ci_u32_e64 v98, null, 0, v17, vcc_lo
	v_lshrrev_b32_e32 v87, v86, v87
; %bb.4088:                             ;   in Loop: Header=BB6_3292 Depth=3
	s_andn2_saveexec_b32 s16, s16
; %bb.4089:                             ;   in Loop: Header=BB6_3292 Depth=3
	v_bfe_u32 v98, v87, 23, 1
; %bb.4090:                             ;   in Loop: Header=BB6_3292 Depth=3
	s_or_b32 exec_lo, exec_lo, s16
	v_and_b32_sdwa v17, v21, v60 dst_sel:DWORD dst_unused:UNUSED_PAD src0_sel:BYTE_3 src1_sel:DWORD
	v_lshrrev_b32_e32 v21, 21, v87
	v_min_i32_e32 v86, 31, v98
	v_cmp_gt_i32_e32 vcc_lo, 32, v98
	v_lshlrev_b32_e32 v86, 2, v86
	v_cndmask_b32_e32 v21, 3, v21, vcc_lo
	v_and_b32_e32 v86, 0xfc, v86
	v_or_b32_e32 v87, v98, v21
	v_and_b32_e32 v21, 3, v21
	v_cmp_ne_u32_e32 vcc_lo, 0, v87
	v_or3_b32 v17, v17, v86, v21
	v_lshlrev_b32_e32 v17, 8, v17
	v_cndmask_b32_e32 v17, 0, v17, vcc_lo
.LBB6_4091:                             ;   in Loop: Header=BB6_3292 Depth=3
	s_or_b32 exec_lo, exec_lo, s22
.LBB6_4092:                             ;   in Loop: Header=BB6_3292 Depth=3
	s_or_b32 exec_lo, exec_lo, s19
	v_cmp_gt_i16_sdwa s16, v22, v59 src0_sel:BYTE_0 src1_sel:DWORD
	s_mov_b32 s19, 0
	s_and_saveexec_b32 s22, s16
	s_xor_b32 s16, exec_lo, s22
	s_cbranch_execz .LBB6_4730
; %bb.4093:                             ;   in Loop: Header=BB6_3292 Depth=3
	v_cmp_eq_u16_sdwa s23, v22, v60 src0_sel:BYTE_0 src1_sel:DWORD
	s_mov_b32 s19, -1
	s_and_saveexec_b32 s22, s23
; %bb.4094:                             ;   in Loop: Header=BB6_3292 Depth=3
	s_xor_b32 s19, exec_lo, -1
; %bb.4095:                             ;   in Loop: Header=BB6_3292 Depth=3
	s_or_b32 exec_lo, exec_lo, s22
	s_and_b32 s19, s19, exec_lo
	s_or_saveexec_b32 s16, s16
	v_mov_b32_e32 v21, 0x7f800001
	s_xor_b32 exec_lo, exec_lo, s16
	s_cbranch_execnz .LBB6_4731
.LBB6_4096:                             ;   in Loop: Header=BB6_3292 Depth=3
	s_or_b32 exec_lo, exec_lo, s16
	s_and_saveexec_b32 s16, s19
	s_cbranch_execz .LBB6_4098
.LBB6_4097:                             ;   in Loop: Header=BB6_3292 Depth=3
	v_and_b32_e32 v21, 3, v22
	v_bfe_u32 v86, v22, 2, 5
	v_ffbh_u32_e32 v87, v21
	v_cmp_eq_u32_e32 vcc_lo, 0, v86
	v_min_u32_e32 v87, 32, v87
	v_subrev_nc_u32_e32 v98, 29, v87
	v_sub_nc_u32_e32 v87, 30, v87
	v_lshlrev_b32_e32 v98, v98, v22
	v_cndmask_b32_e32 v86, v86, v87, vcc_lo
	v_lshlrev_b32_e32 v87, 24, v22
	v_and_b32_e32 v98, 3, v98
	v_lshl_add_u32 v86, v86, 23, 0x37800000
	v_and_b32_e32 v87, 0x80000000, v87
	v_cndmask_b32_e32 v21, v21, v98, vcc_lo
	v_lshlrev_b32_e32 v21, 21, v21
	v_or3_b32 v21, v87, v86, v21
.LBB6_4098:                             ;   in Loop: Header=BB6_3292 Depth=3
	s_or_b32 exec_lo, exec_lo, s16
	v_cmp_gt_i16_sdwa s16, v18, v59 src0_sel:BYTE_0 src1_sel:DWORD
	s_mov_b32 s19, 0
	s_and_saveexec_b32 s22, s16
	s_xor_b32 s16, exec_lo, s22
	s_cbranch_execz .LBB6_4732
; %bb.4099:                             ;   in Loop: Header=BB6_3292 Depth=3
	v_cmp_eq_u16_sdwa s23, v18, v60 src0_sel:BYTE_0 src1_sel:DWORD
	s_mov_b32 s19, -1
	s_and_saveexec_b32 s22, s23
; %bb.4100:                             ;   in Loop: Header=BB6_3292 Depth=3
	s_xor_b32 s19, exec_lo, -1
; %bb.4101:                             ;   in Loop: Header=BB6_3292 Depth=3
	s_or_b32 exec_lo, exec_lo, s22
	s_and_b32 s19, s19, exec_lo
	s_or_saveexec_b32 s16, s16
	v_mov_b32_e32 v86, 0x7f800001
	s_xor_b32 exec_lo, exec_lo, s16
	s_cbranch_execnz .LBB6_4733
.LBB6_4102:                             ;   in Loop: Header=BB6_3292 Depth=3
	s_or_b32 exec_lo, exec_lo, s16
	s_and_saveexec_b32 s16, s19
	s_cbranch_execz .LBB6_4104
.LBB6_4103:                             ;   in Loop: Header=BB6_3292 Depth=3
	v_and_b32_e32 v86, 3, v18
	v_bfe_u32 v87, v18, 2, 5
	v_ffbh_u32_e32 v98, v86
	v_cmp_eq_u32_e32 vcc_lo, 0, v87
	v_min_u32_e32 v98, 32, v98
	v_subrev_nc_u32_e32 v99, 29, v98
	v_sub_nc_u32_e32 v98, 30, v98
	v_lshlrev_b32_e32 v99, v99, v18
	v_cndmask_b32_e32 v87, v87, v98, vcc_lo
	v_lshlrev_b32_e32 v98, 24, v18
	v_and_b32_e32 v99, 3, v99
	v_lshl_add_u32 v87, v87, 23, 0x37800000
	v_and_b32_e32 v98, 0x80000000, v98
	v_cndmask_b32_e32 v86, v86, v99, vcc_lo
	v_lshlrev_b32_e32 v86, 21, v86
	v_or3_b32 v86, v98, v87, v86
.LBB6_4104:                             ;   in Loop: Header=BB6_3292 Depth=3
	s_or_b32 exec_lo, exec_lo, s16
	v_mul_f32_e32 v98, v21, v86
	v_and_b32_e32 v21, 0x7f800000, v98
	v_cmp_ne_u32_e32 vcc_lo, 0x7f800000, v21
	v_mov_b32_e32 v21, 0x80
	s_and_saveexec_b32 s19, vcc_lo
	s_cbranch_execz .LBB6_4112
; %bb.4105:                             ;   in Loop: Header=BB6_3292 Depth=3
	v_mov_b32_e32 v21, 0
	s_mov_b32 s22, exec_lo
	v_cmpx_ne_u32_e32 0, v98
	s_cbranch_execz .LBB6_4111
; %bb.4106:                             ;   in Loop: Header=BB6_3292 Depth=3
	v_bfe_u32 v86, v98, 23, 8
	v_and_b32_e32 v21, 0x7fffff, v98
	v_cmp_gt_u32_e64 s16, 0x71, v86
	v_sub_nc_u32_e32 v87, 0x70, v86
	v_cmp_eq_u32_e32 vcc_lo, 0, v86
	v_or_b32_e32 v99, 0x800000, v21
	v_cndmask_b32_e64 v87, 0, v87, s16
	v_cndmask_b32_e32 v21, v99, v21, vcc_lo
	v_cndmask_b32_e64 v87, v87, 0x6f, vcc_lo
	v_lshl_add_u32 v99, 0x200000, v87, -1
	v_lshlrev_b32_e64 v112, v87, 0x100000
	v_and_b32_e32 v99, v99, v21
	v_cmp_eq_u32_e64 s16, v99, v112
	v_lshrrev_b32_e32 v99, v87, v21
	v_add_nc_u32_e32 v21, 0xffffff91, v86
	v_lshrrev_b32_e32 v86, 23, v99
	v_cndmask_b32_e64 v21, v21, 0xffffff92, vcc_lo
	v_xor_b32_e32 v86, 1, v86
	v_add_nc_u32_e32 v21, v87, v21
	v_bfe_u32 v87, v99, 21, 1
	v_add_nc_u32_e32 v87, -1, v87
	v_cndmask_b32_e64 v87, 0, v87, s16
	s_mov_b32 s16, exec_lo
	v_add_nc_u32_e32 v87, v87, v99
	v_and_b32_e32 v87, 0x1fffff, v87
	v_add_nc_u32_e32 v87, v87, v99
                                        ; implicit-def: $vgpr99
	v_cmpx_ne_u32_e64 v21, v86
	s_xor_b32 s16, exec_lo, s16
; %bb.4107:                             ;   in Loop: Header=BB6_3292 Depth=3
	v_cmp_lt_u32_e32 vcc_lo, 0xffffff, v87
	v_sub_nc_u32_e32 v21, v21, v86
	v_cndmask_b32_e64 v86, 0, 1, vcc_lo
	v_add_co_ci_u32_e64 v99, null, 0, v21, vcc_lo
	v_lshrrev_b32_e32 v87, v86, v87
; %bb.4108:                             ;   in Loop: Header=BB6_3292 Depth=3
	s_andn2_saveexec_b32 s16, s16
; %bb.4109:                             ;   in Loop: Header=BB6_3292 Depth=3
	v_bfe_u32 v99, v87, 23, 1
; %bb.4110:                             ;   in Loop: Header=BB6_3292 Depth=3
	s_or_b32 exec_lo, exec_lo, s16
	v_lshrrev_b32_e32 v86, 21, v87
	v_min_i32_e32 v87, 31, v99
	v_cmp_gt_i32_e32 vcc_lo, 32, v99
	v_and_b32_sdwa v21, v98, v60 dst_sel:DWORD dst_unused:UNUSED_PAD src0_sel:BYTE_3 src1_sel:DWORD
	v_lshlrev_b32_e32 v87, 2, v87
	v_cndmask_b32_e32 v86, 3, v86, vcc_lo
	v_and_b32_e32 v87, 0xfc, v87
	v_or_b32_e32 v98, v99, v86
	v_and_b32_e32 v86, 3, v86
	v_cmp_ne_u32_e32 vcc_lo, 0, v98
	v_or3_b32 v21, v87, v21, v86
	v_cndmask_b32_e32 v21, 0, v21, vcc_lo
.LBB6_4111:                             ;   in Loop: Header=BB6_3292 Depth=3
	s_or_b32 exec_lo, exec_lo, s22
.LBB6_4112:                             ;   in Loop: Header=BB6_3292 Depth=3
	s_or_b32 exec_lo, exec_lo, s19
	v_cmp_gt_i16_sdwa s19, v22, v59 src0_sel:BYTE_1 src1_sel:DWORD
	s_mov_b32 s16, 0
	s_and_saveexec_b32 s22, s19
	s_xor_b32 s19, exec_lo, s22
	s_cbranch_execz .LBB6_4734
; %bb.4113:                             ;   in Loop: Header=BB6_3292 Depth=3
	v_cmp_eq_u16_sdwa s23, v22, v60 src0_sel:BYTE_1 src1_sel:DWORD
	s_mov_b32 s16, -1
	s_and_saveexec_b32 s22, s23
; %bb.4114:                             ;   in Loop: Header=BB6_3292 Depth=3
	s_xor_b32 s16, exec_lo, -1
; %bb.4115:                             ;   in Loop: Header=BB6_3292 Depth=3
	s_or_b32 exec_lo, exec_lo, s22
	s_and_b32 s16, s16, exec_lo
	s_or_saveexec_b32 s19, s19
	v_mov_b32_e32 v86, 0x7f800001
	s_xor_b32 exec_lo, exec_lo, s19
	s_cbranch_execnz .LBB6_4735
.LBB6_4116:                             ;   in Loop: Header=BB6_3292 Depth=3
	s_or_b32 exec_lo, exec_lo, s19
	s_and_saveexec_b32 s19, s16
	s_cbranch_execz .LBB6_4118
.LBB6_4117:                             ;   in Loop: Header=BB6_3292 Depth=3
	v_and_b32_sdwa v86, v61, v22 dst_sel:DWORD dst_unused:UNUSED_PAD src0_sel:DWORD src1_sel:BYTE_1
	v_and_b32_e32 v87, 3, v86
	v_bfe_u32 v112, v86, 2, 5
	v_ffbh_u32_e32 v98, v87
	v_cmp_eq_u32_e32 vcc_lo, 0, v112
	v_min_u32_e32 v98, 32, v98
	v_subrev_nc_u32_e32 v99, 29, v98
	v_sub_nc_u32_e32 v98, 30, v98
	v_lshlrev_b32_e32 v86, v99, v86
	v_lshlrev_b32_sdwa v99, v62, v22 dst_sel:DWORD dst_unused:UNUSED_PAD src0_sel:DWORD src1_sel:BYTE_1
	v_cndmask_b32_e32 v98, v112, v98, vcc_lo
	v_and_b32_e32 v86, 3, v86
	v_lshl_add_u32 v98, v98, 23, 0x37800000
	v_cndmask_b32_e32 v86, v87, v86, vcc_lo
	v_and_b32_e32 v87, 0x80000000, v99
	v_lshlrev_b32_e32 v86, 21, v86
	v_or3_b32 v86, v87, v98, v86
.LBB6_4118:                             ;   in Loop: Header=BB6_3292 Depth=3
	s_or_b32 exec_lo, exec_lo, s19
	v_cmp_gt_i16_sdwa s19, v18, v59 src0_sel:BYTE_1 src1_sel:DWORD
	s_mov_b32 s16, 0
	s_and_saveexec_b32 s22, s19
	s_xor_b32 s19, exec_lo, s22
	s_cbranch_execz .LBB6_4736
; %bb.4119:                             ;   in Loop: Header=BB6_3292 Depth=3
	v_cmp_eq_u16_sdwa s23, v18, v60 src0_sel:BYTE_1 src1_sel:DWORD
	s_mov_b32 s16, -1
	s_and_saveexec_b32 s22, s23
; %bb.4120:                             ;   in Loop: Header=BB6_3292 Depth=3
	s_xor_b32 s16, exec_lo, -1
; %bb.4121:                             ;   in Loop: Header=BB6_3292 Depth=3
	s_or_b32 exec_lo, exec_lo, s22
	s_and_b32 s16, s16, exec_lo
	s_or_saveexec_b32 s19, s19
	v_mov_b32_e32 v87, 0x7f800001
	s_xor_b32 exec_lo, exec_lo, s19
	s_cbranch_execnz .LBB6_4737
.LBB6_4122:                             ;   in Loop: Header=BB6_3292 Depth=3
	s_or_b32 exec_lo, exec_lo, s19
	s_and_saveexec_b32 s19, s16
	s_cbranch_execz .LBB6_4124
.LBB6_4123:                             ;   in Loop: Header=BB6_3292 Depth=3
	v_and_b32_sdwa v87, v61, v18 dst_sel:DWORD dst_unused:UNUSED_PAD src0_sel:DWORD src1_sel:BYTE_1
	v_and_b32_e32 v98, 3, v87
	v_bfe_u32 v113, v87, 2, 5
	v_ffbh_u32_e32 v99, v98
	v_cmp_eq_u32_e32 vcc_lo, 0, v113
	v_min_u32_e32 v99, 32, v99
	v_subrev_nc_u32_e32 v112, 29, v99
	v_sub_nc_u32_e32 v99, 30, v99
	v_lshlrev_b32_e32 v87, v112, v87
	v_lshlrev_b32_sdwa v112, v62, v18 dst_sel:DWORD dst_unused:UNUSED_PAD src0_sel:DWORD src1_sel:BYTE_1
	v_cndmask_b32_e32 v99, v113, v99, vcc_lo
	v_and_b32_e32 v87, 3, v87
	v_lshl_add_u32 v99, v99, 23, 0x37800000
	v_cndmask_b32_e32 v87, v98, v87, vcc_lo
	v_and_b32_e32 v98, 0x80000000, v112
	v_lshlrev_b32_e32 v87, 21, v87
	v_or3_b32 v87, v98, v99, v87
.LBB6_4124:                             ;   in Loop: Header=BB6_3292 Depth=3
	s_or_b32 exec_lo, exec_lo, s19
	v_mul_f32_e32 v98, v86, v87
	v_mov_b32_e32 v111, 0x8000
	s_mov_b32 s19, exec_lo
	v_and_b32_e32 v86, 0x7f800000, v98
	v_cmpx_ne_u32_e32 0x7f800000, v86
	s_cbranch_execz .LBB6_4132
; %bb.4125:                             ;   in Loop: Header=BB6_3292 Depth=3
	v_mov_b32_e32 v111, 0
	s_mov_b32 s22, exec_lo
	v_cmpx_ne_u32_e32 0, v98
	s_cbranch_execz .LBB6_4131
; %bb.4126:                             ;   in Loop: Header=BB6_3292 Depth=3
	v_bfe_u32 v87, v98, 23, 8
	v_and_b32_e32 v86, 0x7fffff, v98
	v_cmp_gt_u32_e64 s16, 0x71, v87
	v_sub_nc_u32_e32 v99, 0x70, v87
	v_cmp_eq_u32_e32 vcc_lo, 0, v87
	v_or_b32_e32 v112, 0x800000, v86
	v_cndmask_b32_e64 v99, 0, v99, s16
	v_cndmask_b32_e32 v86, v112, v86, vcc_lo
	v_cndmask_b32_e64 v99, v99, 0x6f, vcc_lo
	v_lshl_add_u32 v112, 0x200000, v99, -1
	v_lshlrev_b32_e64 v113, v99, 0x100000
	v_and_b32_e32 v112, v112, v86
	v_cmp_eq_u32_e64 s16, v112, v113
	v_lshrrev_b32_e32 v112, v99, v86
	v_add_nc_u32_e32 v86, 0xffffff91, v87
	v_lshrrev_b32_e32 v87, 23, v112
	v_cndmask_b32_e64 v86, v86, 0xffffff92, vcc_lo
	v_xor_b32_e32 v87, 1, v87
	v_add_nc_u32_e32 v86, v99, v86
	v_bfe_u32 v99, v112, 21, 1
	v_add_nc_u32_e32 v99, -1, v99
	v_cndmask_b32_e64 v99, 0, v99, s16
	s_mov_b32 s16, exec_lo
	v_add_nc_u32_e32 v99, v99, v112
	v_and_b32_e32 v99, 0x1fffff, v99
	v_add_nc_u32_e32 v99, v99, v112
                                        ; implicit-def: $vgpr112
	v_cmpx_ne_u32_e64 v86, v87
	s_xor_b32 s16, exec_lo, s16
; %bb.4127:                             ;   in Loop: Header=BB6_3292 Depth=3
	v_cmp_lt_u32_e32 vcc_lo, 0xffffff, v99
	v_sub_nc_u32_e32 v86, v86, v87
	v_cndmask_b32_e64 v87, 0, 1, vcc_lo
	v_add_co_ci_u32_e64 v112, null, 0, v86, vcc_lo
	v_lshrrev_b32_e32 v99, v87, v99
; %bb.4128:                             ;   in Loop: Header=BB6_3292 Depth=3
	s_andn2_saveexec_b32 s16, s16
; %bb.4129:                             ;   in Loop: Header=BB6_3292 Depth=3
	v_bfe_u32 v112, v99, 23, 1
; %bb.4130:                             ;   in Loop: Header=BB6_3292 Depth=3
	s_or_b32 exec_lo, exec_lo, s16
	v_and_b32_sdwa v86, v98, v60 dst_sel:DWORD dst_unused:UNUSED_PAD src0_sel:BYTE_3 src1_sel:DWORD
	v_lshrrev_b32_e32 v87, 21, v99
	v_min_i32_e32 v98, 31, v112
	v_cmp_gt_i32_e32 vcc_lo, 32, v112
	v_lshlrev_b32_e32 v98, 2, v98
	v_cndmask_b32_e32 v87, 3, v87, vcc_lo
	v_and_b32_e32 v98, 0xfc, v98
	v_or_b32_e32 v99, v112, v87
	v_and_b32_e32 v87, 3, v87
	v_cmp_ne_u32_e32 vcc_lo, 0, v99
	v_or3_b32 v86, v86, v98, v87
	v_lshlrev_b32_e32 v86, 8, v86
	v_cndmask_b32_e32 v111, 0, v86, vcc_lo
.LBB6_4131:                             ;   in Loop: Header=BB6_3292 Depth=3
	s_or_b32 exec_lo, exec_lo, s22
.LBB6_4132:                             ;   in Loop: Header=BB6_3292 Depth=3
	s_or_b32 exec_lo, exec_lo, s19
	v_and_b32_sdwa v87, v22, v63 dst_sel:DWORD dst_unused:UNUSED_PAD src0_sel:WORD_1 src1_sel:DWORD
	s_mov_b32 s19, 0
	s_mov_b32 s16, exec_lo
	v_cmpx_lt_i16_e32 0x7f, v87
	s_xor_b32 s16, exec_lo, s16
	s_cbranch_execz .LBB6_4738
; %bb.4133:                             ;   in Loop: Header=BB6_3292 Depth=3
	s_mov_b32 s19, -1
	s_mov_b32 s22, exec_lo
	v_cmpx_eq_u16_e32 0x80, v87
; %bb.4134:                             ;   in Loop: Header=BB6_3292 Depth=3
	s_xor_b32 s19, exec_lo, -1
; %bb.4135:                             ;   in Loop: Header=BB6_3292 Depth=3
	s_or_b32 exec_lo, exec_lo, s22
	s_and_b32 s19, s19, exec_lo
                                        ; implicit-def: $vgpr87
	s_or_saveexec_b32 s16, s16
	v_mov_b32_e32 v86, 0x7f800001
	s_xor_b32 exec_lo, exec_lo, s16
	s_cbranch_execnz .LBB6_4739
.LBB6_4136:                             ;   in Loop: Header=BB6_3292 Depth=3
	s_or_b32 exec_lo, exec_lo, s16
	s_and_saveexec_b32 s16, s19
	s_cbranch_execz .LBB6_4138
.LBB6_4137:                             ;   in Loop: Header=BB6_3292 Depth=3
	v_bfe_u32 v86, v22, 16, 2
	v_bfe_u32 v87, v22, 18, 5
	v_ffbh_u32_e32 v98, v86
	v_cmp_eq_u32_e32 vcc_lo, 0, v87
	v_min_u32_e32 v98, 32, v98
	v_subrev_nc_u32_e32 v99, 29, v98
	v_sub_nc_u32_e32 v98, 30, v98
	v_lshlrev_b32_sdwa v99, v99, v22 dst_sel:DWORD dst_unused:UNUSED_PAD src0_sel:DWORD src1_sel:WORD_1
	v_cndmask_b32_e32 v87, v87, v98, vcc_lo
	v_lshlrev_b32_e32 v98, 8, v22
	v_and_b32_e32 v99, 3, v99
	v_lshl_add_u32 v87, v87, 23, 0x37800000
	v_and_b32_e32 v98, 0x80000000, v98
	v_cndmask_b32_e32 v86, v86, v99, vcc_lo
	v_lshlrev_b32_e32 v86, 21, v86
	v_or3_b32 v86, v98, v87, v86
.LBB6_4138:                             ;   in Loop: Header=BB6_3292 Depth=3
	s_or_b32 exec_lo, exec_lo, s16
	v_and_b32_sdwa v98, v18, v63 dst_sel:DWORD dst_unused:UNUSED_PAD src0_sel:WORD_1 src1_sel:DWORD
	s_mov_b32 s19, 0
	s_mov_b32 s16, exec_lo
	v_cmpx_lt_i16_e32 0x7f, v98
	s_xor_b32 s16, exec_lo, s16
	s_cbranch_execz .LBB6_4740
; %bb.4139:                             ;   in Loop: Header=BB6_3292 Depth=3
	s_mov_b32 s19, -1
	s_mov_b32 s22, exec_lo
	v_cmpx_eq_u16_e32 0x80, v98
; %bb.4140:                             ;   in Loop: Header=BB6_3292 Depth=3
	s_xor_b32 s19, exec_lo, -1
; %bb.4141:                             ;   in Loop: Header=BB6_3292 Depth=3
	s_or_b32 exec_lo, exec_lo, s22
	s_and_b32 s19, s19, exec_lo
                                        ; implicit-def: $vgpr98
	s_or_saveexec_b32 s16, s16
	v_mov_b32_e32 v87, 0x7f800001
	s_xor_b32 exec_lo, exec_lo, s16
	s_cbranch_execnz .LBB6_4741
.LBB6_4142:                             ;   in Loop: Header=BB6_3292 Depth=3
	s_or_b32 exec_lo, exec_lo, s16
	s_and_saveexec_b32 s16, s19
	s_cbranch_execz .LBB6_4144
.LBB6_4143:                             ;   in Loop: Header=BB6_3292 Depth=3
	v_bfe_u32 v87, v18, 16, 2
	v_bfe_u32 v98, v18, 18, 5
	v_ffbh_u32_e32 v99, v87
	v_cmp_eq_u32_e32 vcc_lo, 0, v98
	v_min_u32_e32 v99, 32, v99
	v_subrev_nc_u32_e32 v112, 29, v99
	v_sub_nc_u32_e32 v99, 30, v99
	v_lshlrev_b32_sdwa v112, v112, v18 dst_sel:DWORD dst_unused:UNUSED_PAD src0_sel:DWORD src1_sel:WORD_1
	v_cndmask_b32_e32 v98, v98, v99, vcc_lo
	v_lshlrev_b32_e32 v99, 8, v18
	v_and_b32_e32 v112, 3, v112
	v_lshl_add_u32 v98, v98, 23, 0x37800000
	v_and_b32_e32 v99, 0x80000000, v99
	v_cndmask_b32_e32 v87, v87, v112, vcc_lo
	v_lshlrev_b32_e32 v87, 21, v87
	v_or3_b32 v87, v99, v98, v87
.LBB6_4144:                             ;   in Loop: Header=BB6_3292 Depth=3
	s_or_b32 exec_lo, exec_lo, s16
	v_mul_f32_e32 v98, v86, v87
	v_mov_b32_e32 v91, 0x80
	s_mov_b32 s19, exec_lo
	v_and_b32_e32 v86, 0x7f800000, v98
	v_cmpx_ne_u32_e32 0x7f800000, v86
	s_cbranch_execz .LBB6_4152
; %bb.4145:                             ;   in Loop: Header=BB6_3292 Depth=3
	v_mov_b32_e32 v91, 0
	s_mov_b32 s22, exec_lo
	v_cmpx_ne_u32_e32 0, v98
	s_cbranch_execz .LBB6_4151
; %bb.4146:                             ;   in Loop: Header=BB6_3292 Depth=3
	v_bfe_u32 v87, v98, 23, 8
	v_and_b32_e32 v86, 0x7fffff, v98
	v_cmp_gt_u32_e64 s16, 0x71, v87
	v_sub_nc_u32_e32 v99, 0x70, v87
	v_cmp_eq_u32_e32 vcc_lo, 0, v87
	v_or_b32_e32 v112, 0x800000, v86
	v_cndmask_b32_e64 v99, 0, v99, s16
	v_cndmask_b32_e32 v86, v112, v86, vcc_lo
	v_cndmask_b32_e64 v99, v99, 0x6f, vcc_lo
	v_lshl_add_u32 v112, 0x200000, v99, -1
	v_lshlrev_b32_e64 v113, v99, 0x100000
	v_and_b32_e32 v112, v112, v86
	v_cmp_eq_u32_e64 s16, v112, v113
	v_lshrrev_b32_e32 v112, v99, v86
	v_add_nc_u32_e32 v86, 0xffffff91, v87
	v_lshrrev_b32_e32 v87, 23, v112
	v_cndmask_b32_e64 v86, v86, 0xffffff92, vcc_lo
	v_xor_b32_e32 v87, 1, v87
	v_add_nc_u32_e32 v86, v99, v86
	v_bfe_u32 v99, v112, 21, 1
	v_add_nc_u32_e32 v99, -1, v99
	v_cndmask_b32_e64 v99, 0, v99, s16
	s_mov_b32 s16, exec_lo
	v_add_nc_u32_e32 v99, v99, v112
	v_and_b32_e32 v99, 0x1fffff, v99
	v_add_nc_u32_e32 v99, v99, v112
                                        ; implicit-def: $vgpr112
	v_cmpx_ne_u32_e64 v86, v87
	s_xor_b32 s16, exec_lo, s16
; %bb.4147:                             ;   in Loop: Header=BB6_3292 Depth=3
	v_cmp_lt_u32_e32 vcc_lo, 0xffffff, v99
	v_sub_nc_u32_e32 v86, v86, v87
	v_cndmask_b32_e64 v87, 0, 1, vcc_lo
	v_add_co_ci_u32_e64 v112, null, 0, v86, vcc_lo
	v_lshrrev_b32_e32 v99, v87, v99
; %bb.4148:                             ;   in Loop: Header=BB6_3292 Depth=3
	s_andn2_saveexec_b32 s16, s16
; %bb.4149:                             ;   in Loop: Header=BB6_3292 Depth=3
	v_bfe_u32 v112, v99, 23, 1
; %bb.4150:                             ;   in Loop: Header=BB6_3292 Depth=3
	s_or_b32 exec_lo, exec_lo, s16
	v_and_b32_sdwa v86, v98, v60 dst_sel:DWORD dst_unused:UNUSED_PAD src0_sel:BYTE_3 src1_sel:DWORD
	v_lshrrev_b32_e32 v87, 21, v99
	v_min_i32_e32 v98, 31, v112
	v_cmp_gt_i32_e32 vcc_lo, 32, v112
	v_lshlrev_b32_e32 v98, 2, v98
	v_cndmask_b32_e32 v87, 3, v87, vcc_lo
	v_and_b32_e32 v98, 0xfc, v98
	v_or_b32_e32 v99, v112, v87
	v_and_b32_e32 v87, 3, v87
	v_cmp_ne_u32_e32 vcc_lo, 0, v99
	v_or3_b32 v86, v98, v86, v87
	v_cndmask_b32_e32 v91, 0, v86, vcc_lo
.LBB6_4151:                             ;   in Loop: Header=BB6_3292 Depth=3
	s_or_b32 exec_lo, exec_lo, s22
.LBB6_4152:                             ;   in Loop: Header=BB6_3292 Depth=3
	s_or_b32 exec_lo, exec_lo, s19
	v_cmp_gt_i16_sdwa s19, v22, v59 src0_sel:BYTE_3 src1_sel:DWORD
	s_mov_b32 s16, 0
	s_and_saveexec_b32 s22, s19
	s_xor_b32 s19, exec_lo, s22
	s_cbranch_execz .LBB6_4742
; %bb.4153:                             ;   in Loop: Header=BB6_3292 Depth=3
	v_cmp_eq_u16_sdwa s23, v22, v60 src0_sel:BYTE_3 src1_sel:DWORD
	s_mov_b32 s16, -1
	s_and_saveexec_b32 s22, s23
; %bb.4154:                             ;   in Loop: Header=BB6_3292 Depth=3
	s_xor_b32 s16, exec_lo, -1
; %bb.4155:                             ;   in Loop: Header=BB6_3292 Depth=3
	s_or_b32 exec_lo, exec_lo, s22
	s_and_b32 s16, s16, exec_lo
	s_or_saveexec_b32 s19, s19
	v_mov_b32_e32 v86, 0x7f800001
	s_xor_b32 exec_lo, exec_lo, s19
	s_cbranch_execnz .LBB6_4743
.LBB6_4156:                             ;   in Loop: Header=BB6_3292 Depth=3
	s_or_b32 exec_lo, exec_lo, s19
	s_and_saveexec_b32 s19, s16
	s_cbranch_execz .LBB6_4158
.LBB6_4157:                             ;   in Loop: Header=BB6_3292 Depth=3
	v_bfe_u32 v86, v22, 24, 2
	v_bfe_u32 v99, v22, 26, 5
	v_ffbh_u32_e32 v87, v86
	v_cmp_eq_u32_e32 vcc_lo, 0, v99
	v_min_u32_e32 v87, 32, v87
	v_subrev_nc_u32_e32 v98, 29, v87
	v_sub_nc_u32_e32 v87, 30, v87
	v_lshlrev_b32_sdwa v98, v98, v22 dst_sel:DWORD dst_unused:UNUSED_PAD src0_sel:DWORD src1_sel:BYTE_3
	v_cndmask_b32_e32 v87, v99, v87, vcc_lo
	v_and_b32_e32 v22, 0x80000000, v22
	v_and_b32_e32 v98, 3, v98
	v_lshl_add_u32 v87, v87, 23, 0x37800000
	v_cndmask_b32_e32 v86, v86, v98, vcc_lo
	v_lshlrev_b32_e32 v86, 21, v86
	v_or3_b32 v86, v22, v87, v86
.LBB6_4158:                             ;   in Loop: Header=BB6_3292 Depth=3
	s_or_b32 exec_lo, exec_lo, s19
	v_cmp_gt_i16_sdwa s19, v18, v59 src0_sel:BYTE_3 src1_sel:DWORD
	s_mov_b32 s16, 0
	s_and_saveexec_b32 s22, s19
	s_xor_b32 s19, exec_lo, s22
	s_cbranch_execz .LBB6_4744
; %bb.4159:                             ;   in Loop: Header=BB6_3292 Depth=3
	v_cmp_eq_u16_sdwa s23, v18, v60 src0_sel:BYTE_3 src1_sel:DWORD
	s_mov_b32 s16, -1
	s_and_saveexec_b32 s22, s23
; %bb.4160:                             ;   in Loop: Header=BB6_3292 Depth=3
	s_xor_b32 s16, exec_lo, -1
; %bb.4161:                             ;   in Loop: Header=BB6_3292 Depth=3
	s_or_b32 exec_lo, exec_lo, s22
	s_and_b32 s16, s16, exec_lo
	s_or_saveexec_b32 s19, s19
	v_mov_b32_e32 v22, 0x7f800001
	s_xor_b32 exec_lo, exec_lo, s19
	s_cbranch_execnz .LBB6_4745
.LBB6_4162:                             ;   in Loop: Header=BB6_3292 Depth=3
	s_or_b32 exec_lo, exec_lo, s19
	s_and_saveexec_b32 s19, s16
	s_cbranch_execz .LBB6_4164
.LBB6_4163:                             ;   in Loop: Header=BB6_3292 Depth=3
	v_bfe_u32 v22, v18, 24, 2
	v_bfe_u32 v99, v18, 26, 5
	v_ffbh_u32_e32 v87, v22
	v_cmp_eq_u32_e32 vcc_lo, 0, v99
	v_min_u32_e32 v87, 32, v87
	v_subrev_nc_u32_e32 v98, 29, v87
	v_sub_nc_u32_e32 v87, 30, v87
	v_lshlrev_b32_sdwa v98, v98, v18 dst_sel:DWORD dst_unused:UNUSED_PAD src0_sel:DWORD src1_sel:BYTE_3
	v_cndmask_b32_e32 v87, v99, v87, vcc_lo
	v_and_b32_e32 v18, 0x80000000, v18
	v_and_b32_e32 v98, 3, v98
	v_lshl_add_u32 v87, v87, 23, 0x37800000
	v_cndmask_b32_e32 v22, v22, v98, vcc_lo
	v_lshlrev_b32_e32 v22, 21, v22
	v_or3_b32 v22, v18, v87, v22
.LBB6_4164:                             ;   in Loop: Header=BB6_3292 Depth=3
	s_or_b32 exec_lo, exec_lo, s19
	v_mul_f32_e32 v22, v86, v22
	v_and_b32_e32 v18, 0x7f800000, v22
	v_cmp_ne_u32_e32 vcc_lo, 0x7f800000, v18
	v_mov_b32_e32 v18, 0x8000
	s_and_saveexec_b32 s19, vcc_lo
	s_cbranch_execz .LBB6_4172
; %bb.4165:                             ;   in Loop: Header=BB6_3292 Depth=3
	v_mov_b32_e32 v18, 0
	s_mov_b32 s22, exec_lo
	v_cmpx_ne_u32_e32 0, v22
	s_cbranch_execz .LBB6_4171
; %bb.4166:                             ;   in Loop: Header=BB6_3292 Depth=3
	v_bfe_u32 v86, v22, 23, 8
	v_and_b32_e32 v18, 0x7fffff, v22
	v_cmp_gt_u32_e64 s16, 0x71, v86
	v_sub_nc_u32_e32 v87, 0x70, v86
	v_cmp_eq_u32_e32 vcc_lo, 0, v86
	v_or_b32_e32 v98, 0x800000, v18
	v_cndmask_b32_e64 v87, 0, v87, s16
	v_cndmask_b32_e32 v18, v98, v18, vcc_lo
	v_cndmask_b32_e64 v87, v87, 0x6f, vcc_lo
	v_lshl_add_u32 v98, 0x200000, v87, -1
	v_lshlrev_b32_e64 v99, v87, 0x100000
	v_and_b32_e32 v98, v98, v18
	v_cmp_eq_u32_e64 s16, v98, v99
	v_lshrrev_b32_e32 v98, v87, v18
	v_add_nc_u32_e32 v18, 0xffffff91, v86
	v_lshrrev_b32_e32 v86, 23, v98
	v_cndmask_b32_e64 v18, v18, 0xffffff92, vcc_lo
	v_xor_b32_e32 v86, 1, v86
	v_add_nc_u32_e32 v18, v87, v18
	v_bfe_u32 v87, v98, 21, 1
	v_add_nc_u32_e32 v87, -1, v87
	v_cndmask_b32_e64 v87, 0, v87, s16
	s_mov_b32 s16, exec_lo
	v_add_nc_u32_e32 v87, v87, v98
	v_and_b32_e32 v87, 0x1fffff, v87
	v_add_nc_u32_e32 v87, v87, v98
                                        ; implicit-def: $vgpr98
	v_cmpx_ne_u32_e64 v18, v86
	s_xor_b32 s16, exec_lo, s16
; %bb.4167:                             ;   in Loop: Header=BB6_3292 Depth=3
	v_cmp_lt_u32_e32 vcc_lo, 0xffffff, v87
	v_sub_nc_u32_e32 v18, v18, v86
	v_cndmask_b32_e64 v86, 0, 1, vcc_lo
	v_add_co_ci_u32_e64 v98, null, 0, v18, vcc_lo
	v_lshrrev_b32_e32 v87, v86, v87
; %bb.4168:                             ;   in Loop: Header=BB6_3292 Depth=3
	s_andn2_saveexec_b32 s16, s16
; %bb.4169:                             ;   in Loop: Header=BB6_3292 Depth=3
	v_bfe_u32 v98, v87, 23, 1
; %bb.4170:                             ;   in Loop: Header=BB6_3292 Depth=3
	s_or_b32 exec_lo, exec_lo, s16
	v_and_b32_sdwa v18, v22, v60 dst_sel:DWORD dst_unused:UNUSED_PAD src0_sel:BYTE_3 src1_sel:DWORD
	v_lshrrev_b32_e32 v22, 21, v87
	v_min_i32_e32 v86, 31, v98
	v_cmp_gt_i32_e32 vcc_lo, 32, v98
	v_lshlrev_b32_e32 v86, 2, v86
	v_cndmask_b32_e32 v22, 3, v22, vcc_lo
	v_and_b32_e32 v86, 0xfc, v86
	v_or_b32_e32 v87, v98, v22
	v_and_b32_e32 v22, 3, v22
	v_cmp_ne_u32_e32 vcc_lo, 0, v87
	v_or3_b32 v18, v18, v86, v22
	v_lshlrev_b32_e32 v18, 8, v18
	v_cndmask_b32_e32 v18, 0, v18, vcc_lo
.LBB6_4171:                             ;   in Loop: Header=BB6_3292 Depth=3
	s_or_b32 exec_lo, exec_lo, s22
.LBB6_4172:                             ;   in Loop: Header=BB6_3292 Depth=3
	s_or_b32 exec_lo, exec_lo, s19
	v_cmp_gt_i16_sdwa s16, v23, v59 src0_sel:BYTE_0 src1_sel:DWORD
	s_mov_b32 s19, 0
	s_and_saveexec_b32 s22, s16
	s_xor_b32 s16, exec_lo, s22
	s_cbranch_execz .LBB6_4746
; %bb.4173:                             ;   in Loop: Header=BB6_3292 Depth=3
	v_cmp_eq_u16_sdwa s23, v23, v60 src0_sel:BYTE_0 src1_sel:DWORD
	s_mov_b32 s19, -1
	s_and_saveexec_b32 s22, s23
; %bb.4174:                             ;   in Loop: Header=BB6_3292 Depth=3
	s_xor_b32 s19, exec_lo, -1
; %bb.4175:                             ;   in Loop: Header=BB6_3292 Depth=3
	s_or_b32 exec_lo, exec_lo, s22
	s_and_b32 s19, s19, exec_lo
	s_or_saveexec_b32 s16, s16
	v_mov_b32_e32 v22, 0x7f800001
	s_xor_b32 exec_lo, exec_lo, s16
	s_cbranch_execnz .LBB6_4747
.LBB6_4176:                             ;   in Loop: Header=BB6_3292 Depth=3
	s_or_b32 exec_lo, exec_lo, s16
	s_and_saveexec_b32 s16, s19
	s_cbranch_execz .LBB6_4178
.LBB6_4177:                             ;   in Loop: Header=BB6_3292 Depth=3
	v_and_b32_e32 v22, 3, v23
	v_bfe_u32 v86, v23, 2, 5
	v_ffbh_u32_e32 v87, v22
	v_cmp_eq_u32_e32 vcc_lo, 0, v86
	v_min_u32_e32 v87, 32, v87
	v_subrev_nc_u32_e32 v98, 29, v87
	v_sub_nc_u32_e32 v87, 30, v87
	v_lshlrev_b32_e32 v98, v98, v23
	v_cndmask_b32_e32 v86, v86, v87, vcc_lo
	v_lshlrev_b32_e32 v87, 24, v23
	v_and_b32_e32 v98, 3, v98
	v_lshl_add_u32 v86, v86, 23, 0x37800000
	v_and_b32_e32 v87, 0x80000000, v87
	v_cndmask_b32_e32 v22, v22, v98, vcc_lo
	v_lshlrev_b32_e32 v22, 21, v22
	v_or3_b32 v22, v87, v86, v22
.LBB6_4178:                             ;   in Loop: Header=BB6_3292 Depth=3
	s_or_b32 exec_lo, exec_lo, s16
	v_cmp_gt_i16_sdwa s16, v19, v59 src0_sel:BYTE_0 src1_sel:DWORD
	s_mov_b32 s19, 0
	s_and_saveexec_b32 s22, s16
	s_xor_b32 s16, exec_lo, s22
	s_cbranch_execz .LBB6_4748
; %bb.4179:                             ;   in Loop: Header=BB6_3292 Depth=3
	v_cmp_eq_u16_sdwa s23, v19, v60 src0_sel:BYTE_0 src1_sel:DWORD
	s_mov_b32 s19, -1
	s_and_saveexec_b32 s22, s23
; %bb.4180:                             ;   in Loop: Header=BB6_3292 Depth=3
	s_xor_b32 s19, exec_lo, -1
; %bb.4181:                             ;   in Loop: Header=BB6_3292 Depth=3
	s_or_b32 exec_lo, exec_lo, s22
	s_and_b32 s19, s19, exec_lo
	s_or_saveexec_b32 s16, s16
	v_mov_b32_e32 v86, 0x7f800001
	s_xor_b32 exec_lo, exec_lo, s16
	s_cbranch_execnz .LBB6_4749
.LBB6_4182:                             ;   in Loop: Header=BB6_3292 Depth=3
	s_or_b32 exec_lo, exec_lo, s16
	s_and_saveexec_b32 s16, s19
	s_cbranch_execz .LBB6_4184
.LBB6_4183:                             ;   in Loop: Header=BB6_3292 Depth=3
	v_and_b32_e32 v86, 3, v19
	v_bfe_u32 v87, v19, 2, 5
	v_ffbh_u32_e32 v98, v86
	v_cmp_eq_u32_e32 vcc_lo, 0, v87
	v_min_u32_e32 v98, 32, v98
	v_subrev_nc_u32_e32 v99, 29, v98
	v_sub_nc_u32_e32 v98, 30, v98
	v_lshlrev_b32_e32 v99, v99, v19
	v_cndmask_b32_e32 v87, v87, v98, vcc_lo
	v_lshlrev_b32_e32 v98, 24, v19
	v_and_b32_e32 v99, 3, v99
	v_lshl_add_u32 v87, v87, 23, 0x37800000
	v_and_b32_e32 v98, 0x80000000, v98
	v_cndmask_b32_e32 v86, v86, v99, vcc_lo
	v_lshlrev_b32_e32 v86, 21, v86
	v_or3_b32 v86, v98, v87, v86
.LBB6_4184:                             ;   in Loop: Header=BB6_3292 Depth=3
	s_or_b32 exec_lo, exec_lo, s16
	v_mul_f32_e32 v98, v22, v86
	v_and_b32_e32 v22, 0x7f800000, v98
	v_cmp_ne_u32_e32 vcc_lo, 0x7f800000, v22
	v_mov_b32_e32 v22, 0x80
	s_and_saveexec_b32 s19, vcc_lo
	s_cbranch_execz .LBB6_4192
; %bb.4185:                             ;   in Loop: Header=BB6_3292 Depth=3
	v_mov_b32_e32 v22, 0
	s_mov_b32 s22, exec_lo
	v_cmpx_ne_u32_e32 0, v98
	s_cbranch_execz .LBB6_4191
; %bb.4186:                             ;   in Loop: Header=BB6_3292 Depth=3
	v_bfe_u32 v86, v98, 23, 8
	v_and_b32_e32 v22, 0x7fffff, v98
	v_cmp_gt_u32_e64 s16, 0x71, v86
	v_sub_nc_u32_e32 v87, 0x70, v86
	v_cmp_eq_u32_e32 vcc_lo, 0, v86
	v_or_b32_e32 v99, 0x800000, v22
	v_cndmask_b32_e64 v87, 0, v87, s16
	v_cndmask_b32_e32 v22, v99, v22, vcc_lo
	v_cndmask_b32_e64 v87, v87, 0x6f, vcc_lo
	v_lshl_add_u32 v99, 0x200000, v87, -1
	v_lshlrev_b32_e64 v112, v87, 0x100000
	v_and_b32_e32 v99, v99, v22
	v_cmp_eq_u32_e64 s16, v99, v112
	v_lshrrev_b32_e32 v99, v87, v22
	v_add_nc_u32_e32 v22, 0xffffff91, v86
	v_lshrrev_b32_e32 v86, 23, v99
	v_cndmask_b32_e64 v22, v22, 0xffffff92, vcc_lo
	v_xor_b32_e32 v86, 1, v86
	v_add_nc_u32_e32 v22, v87, v22
	v_bfe_u32 v87, v99, 21, 1
	v_add_nc_u32_e32 v87, -1, v87
	v_cndmask_b32_e64 v87, 0, v87, s16
	s_mov_b32 s16, exec_lo
	v_add_nc_u32_e32 v87, v87, v99
	v_and_b32_e32 v87, 0x1fffff, v87
	v_add_nc_u32_e32 v87, v87, v99
                                        ; implicit-def: $vgpr99
	v_cmpx_ne_u32_e64 v22, v86
	s_xor_b32 s16, exec_lo, s16
; %bb.4187:                             ;   in Loop: Header=BB6_3292 Depth=3
	v_cmp_lt_u32_e32 vcc_lo, 0xffffff, v87
	v_sub_nc_u32_e32 v22, v22, v86
	v_cndmask_b32_e64 v86, 0, 1, vcc_lo
	v_add_co_ci_u32_e64 v99, null, 0, v22, vcc_lo
	v_lshrrev_b32_e32 v87, v86, v87
; %bb.4188:                             ;   in Loop: Header=BB6_3292 Depth=3
	s_andn2_saveexec_b32 s16, s16
; %bb.4189:                             ;   in Loop: Header=BB6_3292 Depth=3
	v_bfe_u32 v99, v87, 23, 1
; %bb.4190:                             ;   in Loop: Header=BB6_3292 Depth=3
	s_or_b32 exec_lo, exec_lo, s16
	v_lshrrev_b32_e32 v86, 21, v87
	v_min_i32_e32 v87, 31, v99
	v_cmp_gt_i32_e32 vcc_lo, 32, v99
	v_and_b32_sdwa v22, v98, v60 dst_sel:DWORD dst_unused:UNUSED_PAD src0_sel:BYTE_3 src1_sel:DWORD
	v_lshlrev_b32_e32 v87, 2, v87
	v_cndmask_b32_e32 v86, 3, v86, vcc_lo
	v_and_b32_e32 v87, 0xfc, v87
	v_or_b32_e32 v98, v99, v86
	v_and_b32_e32 v86, 3, v86
	v_cmp_ne_u32_e32 vcc_lo, 0, v98
	v_or3_b32 v22, v87, v22, v86
	v_cndmask_b32_e32 v22, 0, v22, vcc_lo
.LBB6_4191:                             ;   in Loop: Header=BB6_3292 Depth=3
	s_or_b32 exec_lo, exec_lo, s22
.LBB6_4192:                             ;   in Loop: Header=BB6_3292 Depth=3
	s_or_b32 exec_lo, exec_lo, s19
	v_cmp_gt_i16_sdwa s19, v23, v59 src0_sel:BYTE_1 src1_sel:DWORD
	s_mov_b32 s16, 0
	s_and_saveexec_b32 s22, s19
	s_xor_b32 s19, exec_lo, s22
	s_cbranch_execz .LBB6_4750
; %bb.4193:                             ;   in Loop: Header=BB6_3292 Depth=3
	v_cmp_eq_u16_sdwa s23, v23, v60 src0_sel:BYTE_1 src1_sel:DWORD
	s_mov_b32 s16, -1
	s_and_saveexec_b32 s22, s23
; %bb.4194:                             ;   in Loop: Header=BB6_3292 Depth=3
	s_xor_b32 s16, exec_lo, -1
; %bb.4195:                             ;   in Loop: Header=BB6_3292 Depth=3
	s_or_b32 exec_lo, exec_lo, s22
	s_and_b32 s16, s16, exec_lo
	s_or_saveexec_b32 s19, s19
	v_mov_b32_e32 v86, 0x7f800001
	s_xor_b32 exec_lo, exec_lo, s19
	s_cbranch_execnz .LBB6_4751
.LBB6_4196:                             ;   in Loop: Header=BB6_3292 Depth=3
	s_or_b32 exec_lo, exec_lo, s19
	s_and_saveexec_b32 s19, s16
	s_cbranch_execz .LBB6_4198
.LBB6_4197:                             ;   in Loop: Header=BB6_3292 Depth=3
	v_and_b32_sdwa v86, v61, v23 dst_sel:DWORD dst_unused:UNUSED_PAD src0_sel:DWORD src1_sel:BYTE_1
	v_and_b32_e32 v87, 3, v86
	v_bfe_u32 v112, v86, 2, 5
	v_ffbh_u32_e32 v98, v87
	v_cmp_eq_u32_e32 vcc_lo, 0, v112
	v_min_u32_e32 v98, 32, v98
	v_subrev_nc_u32_e32 v99, 29, v98
	v_sub_nc_u32_e32 v98, 30, v98
	v_lshlrev_b32_e32 v86, v99, v86
	v_lshlrev_b32_sdwa v99, v62, v23 dst_sel:DWORD dst_unused:UNUSED_PAD src0_sel:DWORD src1_sel:BYTE_1
	v_cndmask_b32_e32 v98, v112, v98, vcc_lo
	v_and_b32_e32 v86, 3, v86
	v_lshl_add_u32 v98, v98, 23, 0x37800000
	v_cndmask_b32_e32 v86, v87, v86, vcc_lo
	v_and_b32_e32 v87, 0x80000000, v99
	v_lshlrev_b32_e32 v86, 21, v86
	v_or3_b32 v86, v87, v98, v86
.LBB6_4198:                             ;   in Loop: Header=BB6_3292 Depth=3
	s_or_b32 exec_lo, exec_lo, s19
	v_cmp_gt_i16_sdwa s19, v19, v59 src0_sel:BYTE_1 src1_sel:DWORD
	s_mov_b32 s16, 0
	s_and_saveexec_b32 s22, s19
	s_xor_b32 s19, exec_lo, s22
	s_cbranch_execz .LBB6_4752
; %bb.4199:                             ;   in Loop: Header=BB6_3292 Depth=3
	v_cmp_eq_u16_sdwa s23, v19, v60 src0_sel:BYTE_1 src1_sel:DWORD
	s_mov_b32 s16, -1
	s_and_saveexec_b32 s22, s23
; %bb.4200:                             ;   in Loop: Header=BB6_3292 Depth=3
	s_xor_b32 s16, exec_lo, -1
; %bb.4201:                             ;   in Loop: Header=BB6_3292 Depth=3
	s_or_b32 exec_lo, exec_lo, s22
	s_and_b32 s16, s16, exec_lo
	s_or_saveexec_b32 s19, s19
	v_mov_b32_e32 v87, 0x7f800001
	s_xor_b32 exec_lo, exec_lo, s19
	s_cbranch_execnz .LBB6_4753
.LBB6_4202:                             ;   in Loop: Header=BB6_3292 Depth=3
	s_or_b32 exec_lo, exec_lo, s19
	s_and_saveexec_b32 s19, s16
	s_cbranch_execz .LBB6_4204
.LBB6_4203:                             ;   in Loop: Header=BB6_3292 Depth=3
	v_and_b32_sdwa v87, v61, v19 dst_sel:DWORD dst_unused:UNUSED_PAD src0_sel:DWORD src1_sel:BYTE_1
	v_and_b32_e32 v98, 3, v87
	v_bfe_u32 v113, v87, 2, 5
	v_ffbh_u32_e32 v99, v98
	v_cmp_eq_u32_e32 vcc_lo, 0, v113
	v_min_u32_e32 v99, 32, v99
	v_subrev_nc_u32_e32 v112, 29, v99
	v_sub_nc_u32_e32 v99, 30, v99
	v_lshlrev_b32_e32 v87, v112, v87
	v_lshlrev_b32_sdwa v112, v62, v19 dst_sel:DWORD dst_unused:UNUSED_PAD src0_sel:DWORD src1_sel:BYTE_1
	v_cndmask_b32_e32 v99, v113, v99, vcc_lo
	v_and_b32_e32 v87, 3, v87
	v_lshl_add_u32 v99, v99, 23, 0x37800000
	v_cndmask_b32_e32 v87, v98, v87, vcc_lo
	v_and_b32_e32 v98, 0x80000000, v112
	v_lshlrev_b32_e32 v87, 21, v87
	v_or3_b32 v87, v98, v99, v87
.LBB6_4204:                             ;   in Loop: Header=BB6_3292 Depth=3
	s_or_b32 exec_lo, exec_lo, s19
	v_mul_f32_e32 v98, v86, v87
	v_mov_b32_e32 v107, 0x8000
	s_mov_b32 s19, exec_lo
	v_and_b32_e32 v86, 0x7f800000, v98
	v_cmpx_ne_u32_e32 0x7f800000, v86
	s_cbranch_execz .LBB6_4212
; %bb.4205:                             ;   in Loop: Header=BB6_3292 Depth=3
	v_mov_b32_e32 v107, 0
	s_mov_b32 s22, exec_lo
	v_cmpx_ne_u32_e32 0, v98
	s_cbranch_execz .LBB6_4211
; %bb.4206:                             ;   in Loop: Header=BB6_3292 Depth=3
	v_bfe_u32 v87, v98, 23, 8
	v_and_b32_e32 v86, 0x7fffff, v98
	v_cmp_gt_u32_e64 s16, 0x71, v87
	v_sub_nc_u32_e32 v99, 0x70, v87
	v_cmp_eq_u32_e32 vcc_lo, 0, v87
	v_or_b32_e32 v112, 0x800000, v86
	v_cndmask_b32_e64 v99, 0, v99, s16
	v_cndmask_b32_e32 v86, v112, v86, vcc_lo
	v_cndmask_b32_e64 v99, v99, 0x6f, vcc_lo
	v_lshl_add_u32 v112, 0x200000, v99, -1
	v_lshlrev_b32_e64 v113, v99, 0x100000
	v_and_b32_e32 v112, v112, v86
	v_cmp_eq_u32_e64 s16, v112, v113
	v_lshrrev_b32_e32 v112, v99, v86
	v_add_nc_u32_e32 v86, 0xffffff91, v87
	v_lshrrev_b32_e32 v87, 23, v112
	v_cndmask_b32_e64 v86, v86, 0xffffff92, vcc_lo
	v_xor_b32_e32 v87, 1, v87
	v_add_nc_u32_e32 v86, v99, v86
	v_bfe_u32 v99, v112, 21, 1
	v_add_nc_u32_e32 v99, -1, v99
	v_cndmask_b32_e64 v99, 0, v99, s16
	s_mov_b32 s16, exec_lo
	v_add_nc_u32_e32 v99, v99, v112
	v_and_b32_e32 v99, 0x1fffff, v99
	v_add_nc_u32_e32 v99, v99, v112
                                        ; implicit-def: $vgpr112
	v_cmpx_ne_u32_e64 v86, v87
	s_xor_b32 s16, exec_lo, s16
; %bb.4207:                             ;   in Loop: Header=BB6_3292 Depth=3
	v_cmp_lt_u32_e32 vcc_lo, 0xffffff, v99
	v_sub_nc_u32_e32 v86, v86, v87
	v_cndmask_b32_e64 v87, 0, 1, vcc_lo
	v_add_co_ci_u32_e64 v112, null, 0, v86, vcc_lo
	v_lshrrev_b32_e32 v99, v87, v99
; %bb.4208:                             ;   in Loop: Header=BB6_3292 Depth=3
	s_andn2_saveexec_b32 s16, s16
; %bb.4209:                             ;   in Loop: Header=BB6_3292 Depth=3
	v_bfe_u32 v112, v99, 23, 1
; %bb.4210:                             ;   in Loop: Header=BB6_3292 Depth=3
	s_or_b32 exec_lo, exec_lo, s16
	v_and_b32_sdwa v86, v98, v60 dst_sel:DWORD dst_unused:UNUSED_PAD src0_sel:BYTE_3 src1_sel:DWORD
	v_lshrrev_b32_e32 v87, 21, v99
	v_min_i32_e32 v98, 31, v112
	v_cmp_gt_i32_e32 vcc_lo, 32, v112
	v_lshlrev_b32_e32 v98, 2, v98
	v_cndmask_b32_e32 v87, 3, v87, vcc_lo
	v_and_b32_e32 v98, 0xfc, v98
	v_or_b32_e32 v99, v112, v87
	v_and_b32_e32 v87, 3, v87
	v_cmp_ne_u32_e32 vcc_lo, 0, v99
	v_or3_b32 v86, v86, v98, v87
	v_lshlrev_b32_e32 v86, 8, v86
	v_cndmask_b32_e32 v107, 0, v86, vcc_lo
.LBB6_4211:                             ;   in Loop: Header=BB6_3292 Depth=3
	s_or_b32 exec_lo, exec_lo, s22
.LBB6_4212:                             ;   in Loop: Header=BB6_3292 Depth=3
	s_or_b32 exec_lo, exec_lo, s19
	v_and_b32_sdwa v87, v23, v63 dst_sel:DWORD dst_unused:UNUSED_PAD src0_sel:WORD_1 src1_sel:DWORD
	s_mov_b32 s19, 0
	s_mov_b32 s16, exec_lo
	v_cmpx_lt_i16_e32 0x7f, v87
	s_xor_b32 s16, exec_lo, s16
	s_cbranch_execz .LBB6_4754
; %bb.4213:                             ;   in Loop: Header=BB6_3292 Depth=3
	s_mov_b32 s19, -1
	s_mov_b32 s22, exec_lo
	v_cmpx_eq_u16_e32 0x80, v87
; %bb.4214:                             ;   in Loop: Header=BB6_3292 Depth=3
	s_xor_b32 s19, exec_lo, -1
; %bb.4215:                             ;   in Loop: Header=BB6_3292 Depth=3
	s_or_b32 exec_lo, exec_lo, s22
	s_and_b32 s19, s19, exec_lo
                                        ; implicit-def: $vgpr87
	s_or_saveexec_b32 s16, s16
	v_mov_b32_e32 v86, 0x7f800001
	s_xor_b32 exec_lo, exec_lo, s16
	s_cbranch_execnz .LBB6_4755
.LBB6_4216:                             ;   in Loop: Header=BB6_3292 Depth=3
	s_or_b32 exec_lo, exec_lo, s16
	s_and_saveexec_b32 s16, s19
	s_cbranch_execz .LBB6_4218
.LBB6_4217:                             ;   in Loop: Header=BB6_3292 Depth=3
	v_bfe_u32 v86, v23, 16, 2
	v_bfe_u32 v87, v23, 18, 5
	v_ffbh_u32_e32 v98, v86
	v_cmp_eq_u32_e32 vcc_lo, 0, v87
	v_min_u32_e32 v98, 32, v98
	v_subrev_nc_u32_e32 v99, 29, v98
	v_sub_nc_u32_e32 v98, 30, v98
	v_lshlrev_b32_sdwa v99, v99, v23 dst_sel:DWORD dst_unused:UNUSED_PAD src0_sel:DWORD src1_sel:WORD_1
	v_cndmask_b32_e32 v87, v87, v98, vcc_lo
	v_lshlrev_b32_e32 v98, 8, v23
	v_and_b32_e32 v99, 3, v99
	v_lshl_add_u32 v87, v87, 23, 0x37800000
	v_and_b32_e32 v98, 0x80000000, v98
	v_cndmask_b32_e32 v86, v86, v99, vcc_lo
	v_lshlrev_b32_e32 v86, 21, v86
	v_or3_b32 v86, v98, v87, v86
.LBB6_4218:                             ;   in Loop: Header=BB6_3292 Depth=3
	s_or_b32 exec_lo, exec_lo, s16
	v_and_b32_sdwa v98, v19, v63 dst_sel:DWORD dst_unused:UNUSED_PAD src0_sel:WORD_1 src1_sel:DWORD
	s_mov_b32 s19, 0
	s_mov_b32 s16, exec_lo
	v_cmpx_lt_i16_e32 0x7f, v98
	s_xor_b32 s16, exec_lo, s16
	s_cbranch_execz .LBB6_4756
; %bb.4219:                             ;   in Loop: Header=BB6_3292 Depth=3
	s_mov_b32 s19, -1
	s_mov_b32 s22, exec_lo
	v_cmpx_eq_u16_e32 0x80, v98
; %bb.4220:                             ;   in Loop: Header=BB6_3292 Depth=3
	s_xor_b32 s19, exec_lo, -1
; %bb.4221:                             ;   in Loop: Header=BB6_3292 Depth=3
	s_or_b32 exec_lo, exec_lo, s22
	s_and_b32 s19, s19, exec_lo
                                        ; implicit-def: $vgpr98
	s_or_saveexec_b32 s16, s16
	v_mov_b32_e32 v87, 0x7f800001
	s_xor_b32 exec_lo, exec_lo, s16
	s_cbranch_execnz .LBB6_4757
.LBB6_4222:                             ;   in Loop: Header=BB6_3292 Depth=3
	s_or_b32 exec_lo, exec_lo, s16
	s_and_saveexec_b32 s16, s19
	s_cbranch_execz .LBB6_4224
.LBB6_4223:                             ;   in Loop: Header=BB6_3292 Depth=3
	v_bfe_u32 v87, v19, 16, 2
	v_bfe_u32 v98, v19, 18, 5
	v_ffbh_u32_e32 v99, v87
	v_cmp_eq_u32_e32 vcc_lo, 0, v98
	v_min_u32_e32 v99, 32, v99
	v_subrev_nc_u32_e32 v112, 29, v99
	v_sub_nc_u32_e32 v99, 30, v99
	v_lshlrev_b32_sdwa v112, v112, v19 dst_sel:DWORD dst_unused:UNUSED_PAD src0_sel:DWORD src1_sel:WORD_1
	v_cndmask_b32_e32 v98, v98, v99, vcc_lo
	v_lshlrev_b32_e32 v99, 8, v19
	v_and_b32_e32 v112, 3, v112
	v_lshl_add_u32 v98, v98, 23, 0x37800000
	v_and_b32_e32 v99, 0x80000000, v99
	v_cndmask_b32_e32 v87, v87, v112, vcc_lo
	v_lshlrev_b32_e32 v87, 21, v87
	v_or3_b32 v87, v99, v98, v87
.LBB6_4224:                             ;   in Loop: Header=BB6_3292 Depth=3
	s_or_b32 exec_lo, exec_lo, s16
	v_mul_f32_e32 v98, v86, v87
	v_mov_b32_e32 v120, 0x80
	s_mov_b32 s19, exec_lo
	v_and_b32_e32 v86, 0x7f800000, v98
	v_cmpx_ne_u32_e32 0x7f800000, v86
	s_cbranch_execz .LBB6_4232
; %bb.4225:                             ;   in Loop: Header=BB6_3292 Depth=3
	v_mov_b32_e32 v120, 0
	s_mov_b32 s22, exec_lo
	v_cmpx_ne_u32_e32 0, v98
	s_cbranch_execz .LBB6_4231
; %bb.4226:                             ;   in Loop: Header=BB6_3292 Depth=3
	v_bfe_u32 v87, v98, 23, 8
	v_and_b32_e32 v86, 0x7fffff, v98
	v_cmp_gt_u32_e64 s16, 0x71, v87
	v_sub_nc_u32_e32 v99, 0x70, v87
	v_cmp_eq_u32_e32 vcc_lo, 0, v87
	v_or_b32_e32 v112, 0x800000, v86
	v_cndmask_b32_e64 v99, 0, v99, s16
	v_cndmask_b32_e32 v86, v112, v86, vcc_lo
	v_cndmask_b32_e64 v99, v99, 0x6f, vcc_lo
	v_lshl_add_u32 v112, 0x200000, v99, -1
	v_lshlrev_b32_e64 v113, v99, 0x100000
	v_and_b32_e32 v112, v112, v86
	v_cmp_eq_u32_e64 s16, v112, v113
	v_lshrrev_b32_e32 v112, v99, v86
	v_add_nc_u32_e32 v86, 0xffffff91, v87
	v_lshrrev_b32_e32 v87, 23, v112
	v_cndmask_b32_e64 v86, v86, 0xffffff92, vcc_lo
	v_xor_b32_e32 v87, 1, v87
	v_add_nc_u32_e32 v86, v99, v86
	v_bfe_u32 v99, v112, 21, 1
	v_add_nc_u32_e32 v99, -1, v99
	v_cndmask_b32_e64 v99, 0, v99, s16
	s_mov_b32 s16, exec_lo
	v_add_nc_u32_e32 v99, v99, v112
	v_and_b32_e32 v99, 0x1fffff, v99
	v_add_nc_u32_e32 v99, v99, v112
                                        ; implicit-def: $vgpr112
	v_cmpx_ne_u32_e64 v86, v87
	s_xor_b32 s16, exec_lo, s16
; %bb.4227:                             ;   in Loop: Header=BB6_3292 Depth=3
	v_cmp_lt_u32_e32 vcc_lo, 0xffffff, v99
	v_sub_nc_u32_e32 v86, v86, v87
	v_cndmask_b32_e64 v87, 0, 1, vcc_lo
	v_add_co_ci_u32_e64 v112, null, 0, v86, vcc_lo
	v_lshrrev_b32_e32 v99, v87, v99
; %bb.4228:                             ;   in Loop: Header=BB6_3292 Depth=3
	s_andn2_saveexec_b32 s16, s16
; %bb.4229:                             ;   in Loop: Header=BB6_3292 Depth=3
	v_bfe_u32 v112, v99, 23, 1
; %bb.4230:                             ;   in Loop: Header=BB6_3292 Depth=3
	s_or_b32 exec_lo, exec_lo, s16
	v_and_b32_sdwa v86, v98, v60 dst_sel:DWORD dst_unused:UNUSED_PAD src0_sel:BYTE_3 src1_sel:DWORD
	v_lshrrev_b32_e32 v87, 21, v99
	v_min_i32_e32 v98, 31, v112
	v_cmp_gt_i32_e32 vcc_lo, 32, v112
	v_lshlrev_b32_e32 v98, 2, v98
	v_cndmask_b32_e32 v87, 3, v87, vcc_lo
	v_and_b32_e32 v98, 0xfc, v98
	v_or_b32_e32 v99, v112, v87
	v_and_b32_e32 v87, 3, v87
	v_cmp_ne_u32_e32 vcc_lo, 0, v99
	v_or3_b32 v86, v98, v86, v87
	v_cndmask_b32_e32 v120, 0, v86, vcc_lo
.LBB6_4231:                             ;   in Loop: Header=BB6_3292 Depth=3
	s_or_b32 exec_lo, exec_lo, s22
.LBB6_4232:                             ;   in Loop: Header=BB6_3292 Depth=3
	s_or_b32 exec_lo, exec_lo, s19
	v_cmp_gt_i16_sdwa s19, v23, v59 src0_sel:BYTE_3 src1_sel:DWORD
	s_mov_b32 s16, 0
	s_and_saveexec_b32 s22, s19
	s_xor_b32 s19, exec_lo, s22
	s_cbranch_execz .LBB6_4758
; %bb.4233:                             ;   in Loop: Header=BB6_3292 Depth=3
	v_cmp_eq_u16_sdwa s23, v23, v60 src0_sel:BYTE_3 src1_sel:DWORD
	s_mov_b32 s16, -1
	s_and_saveexec_b32 s22, s23
; %bb.4234:                             ;   in Loop: Header=BB6_3292 Depth=3
	s_xor_b32 s16, exec_lo, -1
; %bb.4235:                             ;   in Loop: Header=BB6_3292 Depth=3
	s_or_b32 exec_lo, exec_lo, s22
	s_and_b32 s16, s16, exec_lo
	s_or_saveexec_b32 s19, s19
	v_mov_b32_e32 v86, 0x7f800001
	s_xor_b32 exec_lo, exec_lo, s19
	s_cbranch_execnz .LBB6_4759
.LBB6_4236:                             ;   in Loop: Header=BB6_3292 Depth=3
	s_or_b32 exec_lo, exec_lo, s19
	s_and_saveexec_b32 s19, s16
	s_cbranch_execz .LBB6_4238
.LBB6_4237:                             ;   in Loop: Header=BB6_3292 Depth=3
	v_bfe_u32 v86, v23, 24, 2
	v_bfe_u32 v99, v23, 26, 5
	v_ffbh_u32_e32 v87, v86
	v_cmp_eq_u32_e32 vcc_lo, 0, v99
	v_min_u32_e32 v87, 32, v87
	v_subrev_nc_u32_e32 v98, 29, v87
	v_sub_nc_u32_e32 v87, 30, v87
	v_lshlrev_b32_sdwa v98, v98, v23 dst_sel:DWORD dst_unused:UNUSED_PAD src0_sel:DWORD src1_sel:BYTE_3
	v_cndmask_b32_e32 v87, v99, v87, vcc_lo
	v_and_b32_e32 v23, 0x80000000, v23
	v_and_b32_e32 v98, 3, v98
	v_lshl_add_u32 v87, v87, 23, 0x37800000
	v_cndmask_b32_e32 v86, v86, v98, vcc_lo
	v_lshlrev_b32_e32 v86, 21, v86
	v_or3_b32 v86, v23, v87, v86
.LBB6_4238:                             ;   in Loop: Header=BB6_3292 Depth=3
	s_or_b32 exec_lo, exec_lo, s19
	v_cmp_gt_i16_sdwa s19, v19, v59 src0_sel:BYTE_3 src1_sel:DWORD
	s_mov_b32 s16, 0
	s_and_saveexec_b32 s22, s19
	s_xor_b32 s19, exec_lo, s22
	s_cbranch_execz .LBB6_4760
; %bb.4239:                             ;   in Loop: Header=BB6_3292 Depth=3
	v_cmp_eq_u16_sdwa s23, v19, v60 src0_sel:BYTE_3 src1_sel:DWORD
	s_mov_b32 s16, -1
	s_and_saveexec_b32 s22, s23
; %bb.4240:                             ;   in Loop: Header=BB6_3292 Depth=3
	s_xor_b32 s16, exec_lo, -1
; %bb.4241:                             ;   in Loop: Header=BB6_3292 Depth=3
	s_or_b32 exec_lo, exec_lo, s22
	s_and_b32 s16, s16, exec_lo
	s_or_saveexec_b32 s19, s19
	v_mov_b32_e32 v23, 0x7f800001
	s_xor_b32 exec_lo, exec_lo, s19
	s_cbranch_execnz .LBB6_4761
.LBB6_4242:                             ;   in Loop: Header=BB6_3292 Depth=3
	s_or_b32 exec_lo, exec_lo, s19
	s_and_saveexec_b32 s19, s16
	s_cbranch_execz .LBB6_4244
.LBB6_4243:                             ;   in Loop: Header=BB6_3292 Depth=3
	v_bfe_u32 v23, v19, 24, 2
	v_bfe_u32 v99, v19, 26, 5
	v_ffbh_u32_e32 v87, v23
	v_cmp_eq_u32_e32 vcc_lo, 0, v99
	v_min_u32_e32 v87, 32, v87
	v_subrev_nc_u32_e32 v98, 29, v87
	v_sub_nc_u32_e32 v87, 30, v87
	v_lshlrev_b32_sdwa v98, v98, v19 dst_sel:DWORD dst_unused:UNUSED_PAD src0_sel:DWORD src1_sel:BYTE_3
	v_cndmask_b32_e32 v87, v99, v87, vcc_lo
	v_and_b32_e32 v19, 0x80000000, v19
	v_and_b32_e32 v98, 3, v98
	v_lshl_add_u32 v87, v87, 23, 0x37800000
	v_cndmask_b32_e32 v23, v23, v98, vcc_lo
	v_lshlrev_b32_e32 v23, 21, v23
	v_or3_b32 v23, v19, v87, v23
.LBB6_4244:                             ;   in Loop: Header=BB6_3292 Depth=3
	s_or_b32 exec_lo, exec_lo, s19
	v_mul_f32_e32 v23, v86, v23
	v_and_b32_e32 v19, 0x7f800000, v23
	v_cmp_ne_u32_e32 vcc_lo, 0x7f800000, v19
	v_mov_b32_e32 v19, 0x8000
	s_and_saveexec_b32 s19, vcc_lo
	s_cbranch_execz .LBB6_4252
; %bb.4245:                             ;   in Loop: Header=BB6_3292 Depth=3
	v_mov_b32_e32 v19, 0
	s_mov_b32 s22, exec_lo
	v_cmpx_ne_u32_e32 0, v23
	s_cbranch_execz .LBB6_4251
; %bb.4246:                             ;   in Loop: Header=BB6_3292 Depth=3
	v_bfe_u32 v86, v23, 23, 8
	v_and_b32_e32 v19, 0x7fffff, v23
	v_cmp_gt_u32_e64 s16, 0x71, v86
	v_sub_nc_u32_e32 v87, 0x70, v86
	v_cmp_eq_u32_e32 vcc_lo, 0, v86
	v_or_b32_e32 v98, 0x800000, v19
	v_cndmask_b32_e64 v87, 0, v87, s16
	v_cndmask_b32_e32 v19, v98, v19, vcc_lo
	v_cndmask_b32_e64 v87, v87, 0x6f, vcc_lo
	v_lshl_add_u32 v98, 0x200000, v87, -1
	v_lshlrev_b32_e64 v99, v87, 0x100000
	v_and_b32_e32 v98, v98, v19
	v_cmp_eq_u32_e64 s16, v98, v99
	v_lshrrev_b32_e32 v98, v87, v19
	v_add_nc_u32_e32 v19, 0xffffff91, v86
	v_lshrrev_b32_e32 v86, 23, v98
	v_cndmask_b32_e64 v19, v19, 0xffffff92, vcc_lo
	v_xor_b32_e32 v86, 1, v86
	v_add_nc_u32_e32 v19, v87, v19
	v_bfe_u32 v87, v98, 21, 1
	v_add_nc_u32_e32 v87, -1, v87
	v_cndmask_b32_e64 v87, 0, v87, s16
	s_mov_b32 s16, exec_lo
	v_add_nc_u32_e32 v87, v87, v98
	v_and_b32_e32 v87, 0x1fffff, v87
	v_add_nc_u32_e32 v87, v87, v98
                                        ; implicit-def: $vgpr98
	v_cmpx_ne_u32_e64 v19, v86
	s_xor_b32 s16, exec_lo, s16
; %bb.4247:                             ;   in Loop: Header=BB6_3292 Depth=3
	v_cmp_lt_u32_e32 vcc_lo, 0xffffff, v87
	v_sub_nc_u32_e32 v19, v19, v86
	v_cndmask_b32_e64 v86, 0, 1, vcc_lo
	v_add_co_ci_u32_e64 v98, null, 0, v19, vcc_lo
	v_lshrrev_b32_e32 v87, v86, v87
; %bb.4248:                             ;   in Loop: Header=BB6_3292 Depth=3
	s_andn2_saveexec_b32 s16, s16
; %bb.4249:                             ;   in Loop: Header=BB6_3292 Depth=3
	v_bfe_u32 v98, v87, 23, 1
; %bb.4250:                             ;   in Loop: Header=BB6_3292 Depth=3
	s_or_b32 exec_lo, exec_lo, s16
	v_and_b32_sdwa v19, v23, v60 dst_sel:DWORD dst_unused:UNUSED_PAD src0_sel:BYTE_3 src1_sel:DWORD
	v_lshrrev_b32_e32 v23, 21, v87
	v_min_i32_e32 v86, 31, v98
	v_cmp_gt_i32_e32 vcc_lo, 32, v98
	v_lshlrev_b32_e32 v86, 2, v86
	v_cndmask_b32_e32 v23, 3, v23, vcc_lo
	v_and_b32_e32 v86, 0xfc, v86
	v_or_b32_e32 v87, v98, v23
	v_and_b32_e32 v23, 3, v23
	v_cmp_ne_u32_e32 vcc_lo, 0, v87
	v_or3_b32 v19, v19, v86, v23
	v_lshlrev_b32_e32 v19, 8, v19
	v_cndmask_b32_e32 v19, 0, v19, vcc_lo
.LBB6_4251:                             ;   in Loop: Header=BB6_3292 Depth=3
	s_or_b32 exec_lo, exec_lo, s22
.LBB6_4252:                             ;   in Loop: Header=BB6_3292 Depth=3
	s_or_b32 exec_lo, exec_lo, s19
	v_cmp_gt_i16_sdwa s16, v12, v59 src0_sel:BYTE_0 src1_sel:DWORD
	s_mov_b32 s19, 0
	s_and_saveexec_b32 s22, s16
	s_xor_b32 s16, exec_lo, s22
	s_cbranch_execz .LBB6_4762
; %bb.4253:                             ;   in Loop: Header=BB6_3292 Depth=3
	v_cmp_eq_u16_sdwa s23, v12, v60 src0_sel:BYTE_0 src1_sel:DWORD
	s_mov_b32 s19, -1
	s_and_saveexec_b32 s22, s23
; %bb.4254:                             ;   in Loop: Header=BB6_3292 Depth=3
	s_xor_b32 s19, exec_lo, -1
; %bb.4255:                             ;   in Loop: Header=BB6_3292 Depth=3
	s_or_b32 exec_lo, exec_lo, s22
	s_and_b32 s19, s19, exec_lo
	s_or_saveexec_b32 s16, s16
	v_mov_b32_e32 v23, 0x7f800001
	s_xor_b32 exec_lo, exec_lo, s16
	s_cbranch_execnz .LBB6_4763
.LBB6_4256:                             ;   in Loop: Header=BB6_3292 Depth=3
	s_or_b32 exec_lo, exec_lo, s16
	s_and_saveexec_b32 s16, s19
	s_cbranch_execz .LBB6_4258
.LBB6_4257:                             ;   in Loop: Header=BB6_3292 Depth=3
	v_and_b32_e32 v23, 3, v12
	v_bfe_u32 v86, v12, 2, 5
	v_ffbh_u32_e32 v87, v23
	v_cmp_eq_u32_e32 vcc_lo, 0, v86
	v_min_u32_e32 v87, 32, v87
	v_subrev_nc_u32_e32 v98, 29, v87
	v_sub_nc_u32_e32 v87, 30, v87
	v_lshlrev_b32_e32 v98, v98, v12
	v_cndmask_b32_e32 v86, v86, v87, vcc_lo
	v_lshlrev_b32_e32 v87, 24, v12
	v_and_b32_e32 v98, 3, v98
	v_lshl_add_u32 v86, v86, 23, 0x37800000
	v_and_b32_e32 v87, 0x80000000, v87
	v_cndmask_b32_e32 v23, v23, v98, vcc_lo
	v_lshlrev_b32_e32 v23, 21, v23
	v_or3_b32 v23, v87, v86, v23
.LBB6_4258:                             ;   in Loop: Header=BB6_3292 Depth=3
	s_or_b32 exec_lo, exec_lo, s16
	s_waitcnt vmcnt(0)
	v_cmp_gt_i16_sdwa s16, v8, v59 src0_sel:BYTE_0 src1_sel:DWORD
	s_mov_b32 s19, 0
	s_and_saveexec_b32 s22, s16
	s_xor_b32 s16, exec_lo, s22
	s_cbranch_execz .LBB6_4764
; %bb.4259:                             ;   in Loop: Header=BB6_3292 Depth=3
	v_cmp_eq_u16_sdwa s23, v8, v60 src0_sel:BYTE_0 src1_sel:DWORD
	s_mov_b32 s19, -1
	s_and_saveexec_b32 s22, s23
; %bb.4260:                             ;   in Loop: Header=BB6_3292 Depth=3
	s_xor_b32 s19, exec_lo, -1
; %bb.4261:                             ;   in Loop: Header=BB6_3292 Depth=3
	s_or_b32 exec_lo, exec_lo, s22
	s_and_b32 s19, s19, exec_lo
	s_or_saveexec_b32 s16, s16
	v_mov_b32_e32 v86, 0x7f800001
	s_xor_b32 exec_lo, exec_lo, s16
	s_cbranch_execnz .LBB6_4765
.LBB6_4262:                             ;   in Loop: Header=BB6_3292 Depth=3
	s_or_b32 exec_lo, exec_lo, s16
	s_and_saveexec_b32 s16, s19
	s_cbranch_execz .LBB6_4264
.LBB6_4263:                             ;   in Loop: Header=BB6_3292 Depth=3
	v_and_b32_e32 v86, 3, v8
	v_bfe_u32 v87, v8, 2, 5
	v_ffbh_u32_e32 v98, v86
	v_cmp_eq_u32_e32 vcc_lo, 0, v87
	v_min_u32_e32 v98, 32, v98
	v_subrev_nc_u32_e32 v99, 29, v98
	v_sub_nc_u32_e32 v98, 30, v98
	v_lshlrev_b32_e32 v99, v99, v8
	v_cndmask_b32_e32 v87, v87, v98, vcc_lo
	v_lshlrev_b32_e32 v98, 24, v8
	v_and_b32_e32 v99, 3, v99
	v_lshl_add_u32 v87, v87, 23, 0x37800000
	v_and_b32_e32 v98, 0x80000000, v98
	v_cndmask_b32_e32 v86, v86, v99, vcc_lo
	v_lshlrev_b32_e32 v86, 21, v86
	v_or3_b32 v86, v98, v87, v86
.LBB6_4264:                             ;   in Loop: Header=BB6_3292 Depth=3
	s_or_b32 exec_lo, exec_lo, s16
	v_mul_f32_e32 v98, v23, v86
	v_and_b32_e32 v23, 0x7f800000, v98
	v_cmp_ne_u32_e32 vcc_lo, 0x7f800000, v23
	v_mov_b32_e32 v23, 0x80
	s_and_saveexec_b32 s19, vcc_lo
	s_cbranch_execz .LBB6_4272
; %bb.4265:                             ;   in Loop: Header=BB6_3292 Depth=3
	v_mov_b32_e32 v23, 0
	s_mov_b32 s22, exec_lo
	v_cmpx_ne_u32_e32 0, v98
	s_cbranch_execz .LBB6_4271
; %bb.4266:                             ;   in Loop: Header=BB6_3292 Depth=3
	v_bfe_u32 v86, v98, 23, 8
	v_and_b32_e32 v23, 0x7fffff, v98
	v_cmp_gt_u32_e64 s16, 0x71, v86
	v_sub_nc_u32_e32 v87, 0x70, v86
	v_cmp_eq_u32_e32 vcc_lo, 0, v86
	v_or_b32_e32 v99, 0x800000, v23
	v_cndmask_b32_e64 v87, 0, v87, s16
	v_cndmask_b32_e32 v23, v99, v23, vcc_lo
	v_cndmask_b32_e64 v87, v87, 0x6f, vcc_lo
	v_lshl_add_u32 v99, 0x200000, v87, -1
	v_lshlrev_b32_e64 v112, v87, 0x100000
	v_and_b32_e32 v99, v99, v23
	v_cmp_eq_u32_e64 s16, v99, v112
	v_lshrrev_b32_e32 v99, v87, v23
	v_add_nc_u32_e32 v23, 0xffffff91, v86
	v_lshrrev_b32_e32 v86, 23, v99
	v_cndmask_b32_e64 v23, v23, 0xffffff92, vcc_lo
	v_xor_b32_e32 v86, 1, v86
	v_add_nc_u32_e32 v23, v87, v23
	v_bfe_u32 v87, v99, 21, 1
	v_add_nc_u32_e32 v87, -1, v87
	v_cndmask_b32_e64 v87, 0, v87, s16
	s_mov_b32 s16, exec_lo
	v_add_nc_u32_e32 v87, v87, v99
	v_and_b32_e32 v87, 0x1fffff, v87
	v_add_nc_u32_e32 v87, v87, v99
                                        ; implicit-def: $vgpr99
	v_cmpx_ne_u32_e64 v23, v86
	s_xor_b32 s16, exec_lo, s16
; %bb.4267:                             ;   in Loop: Header=BB6_3292 Depth=3
	v_cmp_lt_u32_e32 vcc_lo, 0xffffff, v87
	v_sub_nc_u32_e32 v23, v23, v86
	v_cndmask_b32_e64 v86, 0, 1, vcc_lo
	v_add_co_ci_u32_e64 v99, null, 0, v23, vcc_lo
	v_lshrrev_b32_e32 v87, v86, v87
; %bb.4268:                             ;   in Loop: Header=BB6_3292 Depth=3
	s_andn2_saveexec_b32 s16, s16
; %bb.4269:                             ;   in Loop: Header=BB6_3292 Depth=3
	v_bfe_u32 v99, v87, 23, 1
; %bb.4270:                             ;   in Loop: Header=BB6_3292 Depth=3
	s_or_b32 exec_lo, exec_lo, s16
	v_lshrrev_b32_e32 v86, 21, v87
	v_min_i32_e32 v87, 31, v99
	v_cmp_gt_i32_e32 vcc_lo, 32, v99
	v_and_b32_sdwa v23, v98, v60 dst_sel:DWORD dst_unused:UNUSED_PAD src0_sel:BYTE_3 src1_sel:DWORD
	v_lshlrev_b32_e32 v87, 2, v87
	v_cndmask_b32_e32 v86, 3, v86, vcc_lo
	v_and_b32_e32 v87, 0xfc, v87
	v_or_b32_e32 v98, v99, v86
	v_and_b32_e32 v86, 3, v86
	v_cmp_ne_u32_e32 vcc_lo, 0, v98
	v_or3_b32 v23, v87, v23, v86
	v_cndmask_b32_e32 v23, 0, v23, vcc_lo
.LBB6_4271:                             ;   in Loop: Header=BB6_3292 Depth=3
	s_or_b32 exec_lo, exec_lo, s22
.LBB6_4272:                             ;   in Loop: Header=BB6_3292 Depth=3
	s_or_b32 exec_lo, exec_lo, s19
	v_cmp_gt_i16_sdwa s19, v12, v59 src0_sel:BYTE_1 src1_sel:DWORD
	s_mov_b32 s16, 0
	s_and_saveexec_b32 s22, s19
	s_xor_b32 s19, exec_lo, s22
	s_cbranch_execz .LBB6_4766
; %bb.4273:                             ;   in Loop: Header=BB6_3292 Depth=3
	v_cmp_eq_u16_sdwa s23, v12, v60 src0_sel:BYTE_1 src1_sel:DWORD
	s_mov_b32 s16, -1
	s_and_saveexec_b32 s22, s23
; %bb.4274:                             ;   in Loop: Header=BB6_3292 Depth=3
	s_xor_b32 s16, exec_lo, -1
; %bb.4275:                             ;   in Loop: Header=BB6_3292 Depth=3
	s_or_b32 exec_lo, exec_lo, s22
	s_and_b32 s16, s16, exec_lo
	s_or_saveexec_b32 s19, s19
	v_mov_b32_e32 v86, 0x7f800001
	s_xor_b32 exec_lo, exec_lo, s19
	s_cbranch_execnz .LBB6_4767
.LBB6_4276:                             ;   in Loop: Header=BB6_3292 Depth=3
	s_or_b32 exec_lo, exec_lo, s19
	s_and_saveexec_b32 s19, s16
	s_cbranch_execz .LBB6_4278
.LBB6_4277:                             ;   in Loop: Header=BB6_3292 Depth=3
	v_and_b32_sdwa v86, v61, v12 dst_sel:DWORD dst_unused:UNUSED_PAD src0_sel:DWORD src1_sel:BYTE_1
	v_and_b32_e32 v87, 3, v86
	v_bfe_u32 v112, v86, 2, 5
	v_ffbh_u32_e32 v98, v87
	v_cmp_eq_u32_e32 vcc_lo, 0, v112
	v_min_u32_e32 v98, 32, v98
	v_subrev_nc_u32_e32 v99, 29, v98
	v_sub_nc_u32_e32 v98, 30, v98
	v_lshlrev_b32_e32 v86, v99, v86
	v_lshlrev_b32_sdwa v99, v62, v12 dst_sel:DWORD dst_unused:UNUSED_PAD src0_sel:DWORD src1_sel:BYTE_1
	v_cndmask_b32_e32 v98, v112, v98, vcc_lo
	v_and_b32_e32 v86, 3, v86
	v_lshl_add_u32 v98, v98, 23, 0x37800000
	v_cndmask_b32_e32 v86, v87, v86, vcc_lo
	v_and_b32_e32 v87, 0x80000000, v99
	v_lshlrev_b32_e32 v86, 21, v86
	v_or3_b32 v86, v87, v98, v86
.LBB6_4278:                             ;   in Loop: Header=BB6_3292 Depth=3
	s_or_b32 exec_lo, exec_lo, s19
	v_cmp_gt_i16_sdwa s19, v8, v59 src0_sel:BYTE_1 src1_sel:DWORD
	s_mov_b32 s16, 0
	s_and_saveexec_b32 s22, s19
	s_xor_b32 s19, exec_lo, s22
	s_cbranch_execz .LBB6_4768
; %bb.4279:                             ;   in Loop: Header=BB6_3292 Depth=3
	v_cmp_eq_u16_sdwa s23, v8, v60 src0_sel:BYTE_1 src1_sel:DWORD
	s_mov_b32 s16, -1
	s_and_saveexec_b32 s22, s23
; %bb.4280:                             ;   in Loop: Header=BB6_3292 Depth=3
	s_xor_b32 s16, exec_lo, -1
; %bb.4281:                             ;   in Loop: Header=BB6_3292 Depth=3
	s_or_b32 exec_lo, exec_lo, s22
	s_and_b32 s16, s16, exec_lo
	s_or_saveexec_b32 s19, s19
	v_mov_b32_e32 v87, 0x7f800001
	s_xor_b32 exec_lo, exec_lo, s19
	s_cbranch_execnz .LBB6_4769
.LBB6_4282:                             ;   in Loop: Header=BB6_3292 Depth=3
	s_or_b32 exec_lo, exec_lo, s19
	s_and_saveexec_b32 s19, s16
	s_cbranch_execz .LBB6_4284
.LBB6_4283:                             ;   in Loop: Header=BB6_3292 Depth=3
	v_and_b32_sdwa v87, v61, v8 dst_sel:DWORD dst_unused:UNUSED_PAD src0_sel:DWORD src1_sel:BYTE_1
	v_and_b32_e32 v98, 3, v87
	v_bfe_u32 v113, v87, 2, 5
	v_ffbh_u32_e32 v99, v98
	v_cmp_eq_u32_e32 vcc_lo, 0, v113
	v_min_u32_e32 v99, 32, v99
	v_subrev_nc_u32_e32 v112, 29, v99
	v_sub_nc_u32_e32 v99, 30, v99
	v_lshlrev_b32_e32 v87, v112, v87
	v_lshlrev_b32_sdwa v112, v62, v8 dst_sel:DWORD dst_unused:UNUSED_PAD src0_sel:DWORD src1_sel:BYTE_1
	v_cndmask_b32_e32 v99, v113, v99, vcc_lo
	v_and_b32_e32 v87, 3, v87
	v_lshl_add_u32 v99, v99, 23, 0x37800000
	v_cndmask_b32_e32 v87, v98, v87, vcc_lo
	v_and_b32_e32 v98, 0x80000000, v112
	v_lshlrev_b32_e32 v87, 21, v87
	v_or3_b32 v87, v98, v99, v87
.LBB6_4284:                             ;   in Loop: Header=BB6_3292 Depth=3
	s_or_b32 exec_lo, exec_lo, s19
	v_mul_f32_e32 v99, v86, v87
	v_mov_b32_e32 v98, 0x8000
	s_mov_b32 s19, exec_lo
	v_and_b32_e32 v86, 0x7f800000, v99
	v_cmpx_ne_u32_e32 0x7f800000, v86
	s_cbranch_execz .LBB6_4292
; %bb.4285:                             ;   in Loop: Header=BB6_3292 Depth=3
	v_mov_b32_e32 v98, 0
	s_mov_b32 s22, exec_lo
	v_cmpx_ne_u32_e32 0, v99
	s_cbranch_execz .LBB6_4291
; %bb.4286:                             ;   in Loop: Header=BB6_3292 Depth=3
	v_bfe_u32 v87, v99, 23, 8
	v_and_b32_e32 v86, 0x7fffff, v99
	v_cmp_gt_u32_e64 s16, 0x71, v87
	v_sub_nc_u32_e32 v98, 0x70, v87
	v_cmp_eq_u32_e32 vcc_lo, 0, v87
	v_or_b32_e32 v112, 0x800000, v86
	v_cndmask_b32_e64 v98, 0, v98, s16
	v_cndmask_b32_e32 v86, v112, v86, vcc_lo
	v_cndmask_b32_e64 v98, v98, 0x6f, vcc_lo
	v_lshl_add_u32 v112, 0x200000, v98, -1
	v_lshlrev_b32_e64 v113, v98, 0x100000
	v_and_b32_e32 v112, v112, v86
	v_cmp_eq_u32_e64 s16, v112, v113
	v_lshrrev_b32_e32 v112, v98, v86
	v_add_nc_u32_e32 v86, 0xffffff91, v87
	v_lshrrev_b32_e32 v87, 23, v112
	v_cndmask_b32_e64 v86, v86, 0xffffff92, vcc_lo
	v_xor_b32_e32 v87, 1, v87
	v_add_nc_u32_e32 v86, v98, v86
	v_bfe_u32 v98, v112, 21, 1
	v_add_nc_u32_e32 v98, -1, v98
	v_cndmask_b32_e64 v98, 0, v98, s16
	s_mov_b32 s16, exec_lo
	v_add_nc_u32_e32 v98, v98, v112
	v_and_b32_e32 v98, 0x1fffff, v98
	v_add_nc_u32_e32 v98, v98, v112
                                        ; implicit-def: $vgpr112
	v_cmpx_ne_u32_e64 v86, v87
	s_xor_b32 s16, exec_lo, s16
; %bb.4287:                             ;   in Loop: Header=BB6_3292 Depth=3
	v_cmp_lt_u32_e32 vcc_lo, 0xffffff, v98
	v_sub_nc_u32_e32 v86, v86, v87
	v_cndmask_b32_e64 v87, 0, 1, vcc_lo
	v_add_co_ci_u32_e64 v112, null, 0, v86, vcc_lo
	v_lshrrev_b32_e32 v98, v87, v98
; %bb.4288:                             ;   in Loop: Header=BB6_3292 Depth=3
	s_andn2_saveexec_b32 s16, s16
; %bb.4289:                             ;   in Loop: Header=BB6_3292 Depth=3
	v_bfe_u32 v112, v98, 23, 1
; %bb.4290:                             ;   in Loop: Header=BB6_3292 Depth=3
	s_or_b32 exec_lo, exec_lo, s16
	v_lshrrev_b32_e32 v87, 21, v98
	v_min_i32_e32 v98, 31, v112
	v_cmp_gt_i32_e32 vcc_lo, 32, v112
	v_and_b32_sdwa v86, v99, v60 dst_sel:DWORD dst_unused:UNUSED_PAD src0_sel:BYTE_3 src1_sel:DWORD
	v_lshlrev_b32_e32 v98, 2, v98
	v_cndmask_b32_e32 v87, 3, v87, vcc_lo
	v_and_b32_e32 v98, 0xfc, v98
	v_or_b32_e32 v99, v112, v87
	v_and_b32_e32 v87, 3, v87
	v_cmp_ne_u32_e32 vcc_lo, 0, v99
	v_or3_b32 v86, v86, v98, v87
	v_lshlrev_b32_e32 v86, 8, v86
	v_cndmask_b32_e32 v98, 0, v86, vcc_lo
.LBB6_4291:                             ;   in Loop: Header=BB6_3292 Depth=3
	s_or_b32 exec_lo, exec_lo, s22
.LBB6_4292:                             ;   in Loop: Header=BB6_3292 Depth=3
	s_or_b32 exec_lo, exec_lo, s19
	v_and_b32_sdwa v87, v12, v63 dst_sel:DWORD dst_unused:UNUSED_PAD src0_sel:WORD_1 src1_sel:DWORD
	s_mov_b32 s19, 0
	s_mov_b32 s16, exec_lo
	v_cmpx_lt_i16_e32 0x7f, v87
	s_xor_b32 s16, exec_lo, s16
	s_cbranch_execz .LBB6_4770
; %bb.4293:                             ;   in Loop: Header=BB6_3292 Depth=3
	s_mov_b32 s19, -1
	s_mov_b32 s22, exec_lo
	v_cmpx_eq_u16_e32 0x80, v87
; %bb.4294:                             ;   in Loop: Header=BB6_3292 Depth=3
	s_xor_b32 s19, exec_lo, -1
; %bb.4295:                             ;   in Loop: Header=BB6_3292 Depth=3
	s_or_b32 exec_lo, exec_lo, s22
	s_and_b32 s19, s19, exec_lo
                                        ; implicit-def: $vgpr87
	s_or_saveexec_b32 s16, s16
	v_mov_b32_e32 v86, 0x7f800001
	s_xor_b32 exec_lo, exec_lo, s16
	s_cbranch_execnz .LBB6_4771
.LBB6_4296:                             ;   in Loop: Header=BB6_3292 Depth=3
	s_or_b32 exec_lo, exec_lo, s16
	s_and_saveexec_b32 s16, s19
	s_cbranch_execz .LBB6_4298
.LBB6_4297:                             ;   in Loop: Header=BB6_3292 Depth=3
	v_bfe_u32 v86, v12, 16, 2
	v_bfe_u32 v87, v12, 18, 5
	v_ffbh_u32_e32 v99, v86
	v_cmp_eq_u32_e32 vcc_lo, 0, v87
	v_min_u32_e32 v99, 32, v99
	v_subrev_nc_u32_e32 v112, 29, v99
	v_sub_nc_u32_e32 v99, 30, v99
	v_lshlrev_b32_sdwa v112, v112, v12 dst_sel:DWORD dst_unused:UNUSED_PAD src0_sel:DWORD src1_sel:WORD_1
	v_cndmask_b32_e32 v87, v87, v99, vcc_lo
	v_lshlrev_b32_e32 v99, 8, v12
	v_and_b32_e32 v112, 3, v112
	v_lshl_add_u32 v87, v87, 23, 0x37800000
	v_and_b32_e32 v99, 0x80000000, v99
	v_cndmask_b32_e32 v86, v86, v112, vcc_lo
	v_lshlrev_b32_e32 v86, 21, v86
	v_or3_b32 v86, v99, v87, v86
.LBB6_4298:                             ;   in Loop: Header=BB6_3292 Depth=3
	s_or_b32 exec_lo, exec_lo, s16
	v_and_b32_sdwa v99, v8, v63 dst_sel:DWORD dst_unused:UNUSED_PAD src0_sel:WORD_1 src1_sel:DWORD
	s_mov_b32 s19, 0
	s_mov_b32 s16, exec_lo
	v_cmpx_lt_i16_e32 0x7f, v99
	s_xor_b32 s16, exec_lo, s16
	s_cbranch_execz .LBB6_4772
; %bb.4299:                             ;   in Loop: Header=BB6_3292 Depth=3
	s_mov_b32 s19, -1
	s_mov_b32 s22, exec_lo
	v_cmpx_eq_u16_e32 0x80, v99
; %bb.4300:                             ;   in Loop: Header=BB6_3292 Depth=3
	s_xor_b32 s19, exec_lo, -1
; %bb.4301:                             ;   in Loop: Header=BB6_3292 Depth=3
	s_or_b32 exec_lo, exec_lo, s22
	s_and_b32 s19, s19, exec_lo
                                        ; implicit-def: $vgpr99
	s_or_saveexec_b32 s16, s16
	v_mov_b32_e32 v87, 0x7f800001
	s_xor_b32 exec_lo, exec_lo, s16
	s_cbranch_execnz .LBB6_4773
.LBB6_4302:                             ;   in Loop: Header=BB6_3292 Depth=3
	s_or_b32 exec_lo, exec_lo, s16
	s_and_saveexec_b32 s16, s19
	s_cbranch_execz .LBB6_4304
.LBB6_4303:                             ;   in Loop: Header=BB6_3292 Depth=3
	v_bfe_u32 v87, v8, 16, 2
	v_bfe_u32 v99, v8, 18, 5
	v_ffbh_u32_e32 v112, v87
	v_cmp_eq_u32_e32 vcc_lo, 0, v99
	v_min_u32_e32 v112, 32, v112
	v_subrev_nc_u32_e32 v113, 29, v112
	v_sub_nc_u32_e32 v112, 30, v112
	v_lshlrev_b32_sdwa v113, v113, v8 dst_sel:DWORD dst_unused:UNUSED_PAD src0_sel:DWORD src1_sel:WORD_1
	v_cndmask_b32_e32 v99, v99, v112, vcc_lo
	v_lshlrev_b32_e32 v112, 8, v8
	v_and_b32_e32 v113, 3, v113
	v_lshl_add_u32 v99, v99, 23, 0x37800000
	v_and_b32_e32 v112, 0x80000000, v112
	v_cndmask_b32_e32 v87, v87, v113, vcc_lo
	v_lshlrev_b32_e32 v87, 21, v87
	v_or3_b32 v87, v112, v99, v87
.LBB6_4304:                             ;   in Loop: Header=BB6_3292 Depth=3
	s_or_b32 exec_lo, exec_lo, s16
	v_mul_f32_e32 v112, v86, v87
	v_mov_b32_e32 v99, 0x80
	s_mov_b32 s19, exec_lo
	v_and_b32_e32 v86, 0x7f800000, v112
	v_cmpx_ne_u32_e32 0x7f800000, v86
	s_cbranch_execz .LBB6_4312
; %bb.4305:                             ;   in Loop: Header=BB6_3292 Depth=3
	v_mov_b32_e32 v99, 0
	s_mov_b32 s22, exec_lo
	v_cmpx_ne_u32_e32 0, v112
	s_cbranch_execz .LBB6_4311
; %bb.4306:                             ;   in Loop: Header=BB6_3292 Depth=3
	v_bfe_u32 v87, v112, 23, 8
	v_and_b32_e32 v86, 0x7fffff, v112
	v_cmp_gt_u32_e64 s16, 0x71, v87
	v_sub_nc_u32_e32 v99, 0x70, v87
	v_cmp_eq_u32_e32 vcc_lo, 0, v87
	v_or_b32_e32 v113, 0x800000, v86
	v_cndmask_b32_e64 v99, 0, v99, s16
	v_cndmask_b32_e32 v86, v113, v86, vcc_lo
	v_cndmask_b32_e64 v99, v99, 0x6f, vcc_lo
	v_lshl_add_u32 v113, 0x200000, v99, -1
	v_lshlrev_b32_e64 v46, v99, 0x100000
	v_and_b32_e32 v113, v113, v86
	v_cmp_eq_u32_e64 s16, v113, v46
	v_lshrrev_b32_e32 v113, v99, v86
	v_add_nc_u32_e32 v86, 0xffffff91, v87
	v_lshrrev_b32_e32 v87, 23, v113
	v_cndmask_b32_e64 v86, v86, 0xffffff92, vcc_lo
	v_xor_b32_e32 v87, 1, v87
	v_add_nc_u32_e32 v86, v99, v86
	v_bfe_u32 v99, v113, 21, 1
	v_add_nc_u32_e32 v99, -1, v99
	v_cndmask_b32_e64 v99, 0, v99, s16
	s_mov_b32 s16, exec_lo
	v_add_nc_u32_e32 v99, v99, v113
	v_and_b32_e32 v99, 0x1fffff, v99
	v_add_nc_u32_e32 v99, v99, v113
                                        ; implicit-def: $vgpr113
	v_cmpx_ne_u32_e64 v86, v87
	s_xor_b32 s16, exec_lo, s16
; %bb.4307:                             ;   in Loop: Header=BB6_3292 Depth=3
	v_cmp_lt_u32_e32 vcc_lo, 0xffffff, v99
	v_sub_nc_u32_e32 v86, v86, v87
	v_cndmask_b32_e64 v87, 0, 1, vcc_lo
	v_add_co_ci_u32_e64 v113, null, 0, v86, vcc_lo
	v_lshrrev_b32_e32 v99, v87, v99
; %bb.4308:                             ;   in Loop: Header=BB6_3292 Depth=3
	s_andn2_saveexec_b32 s16, s16
; %bb.4309:                             ;   in Loop: Header=BB6_3292 Depth=3
	v_bfe_u32 v113, v99, 23, 1
; %bb.4310:                             ;   in Loop: Header=BB6_3292 Depth=3
	s_or_b32 exec_lo, exec_lo, s16
	v_lshrrev_b32_e32 v87, 21, v99
	v_min_i32_e32 v99, 31, v113
	v_cmp_gt_i32_e32 vcc_lo, 32, v113
	v_and_b32_sdwa v86, v112, v60 dst_sel:DWORD dst_unused:UNUSED_PAD src0_sel:BYTE_3 src1_sel:DWORD
	v_lshlrev_b32_e32 v99, 2, v99
	v_cndmask_b32_e32 v87, 3, v87, vcc_lo
	v_and_b32_e32 v99, 0xfc, v99
	v_or_b32_e32 v112, v113, v87
	v_and_b32_e32 v87, 3, v87
	v_cmp_ne_u32_e32 vcc_lo, 0, v112
	v_or3_b32 v86, v99, v86, v87
	v_cndmask_b32_e32 v99, 0, v86, vcc_lo
.LBB6_4311:                             ;   in Loop: Header=BB6_3292 Depth=3
	s_or_b32 exec_lo, exec_lo, s22
.LBB6_4312:                             ;   in Loop: Header=BB6_3292 Depth=3
	s_or_b32 exec_lo, exec_lo, s19
	v_cmp_gt_i16_sdwa s19, v12, v59 src0_sel:BYTE_3 src1_sel:DWORD
	s_mov_b32 s16, 0
	s_and_saveexec_b32 s22, s19
	s_xor_b32 s19, exec_lo, s22
	s_cbranch_execz .LBB6_4774
; %bb.4313:                             ;   in Loop: Header=BB6_3292 Depth=3
	v_cmp_eq_u16_sdwa s23, v12, v60 src0_sel:BYTE_3 src1_sel:DWORD
	s_mov_b32 s16, -1
	s_and_saveexec_b32 s22, s23
; %bb.4314:                             ;   in Loop: Header=BB6_3292 Depth=3
	s_xor_b32 s16, exec_lo, -1
; %bb.4315:                             ;   in Loop: Header=BB6_3292 Depth=3
	s_or_b32 exec_lo, exec_lo, s22
	s_and_b32 s16, s16, exec_lo
	s_or_saveexec_b32 s19, s19
	v_mov_b32_e32 v86, 0x7f800001
	s_xor_b32 exec_lo, exec_lo, s19
	s_cbranch_execnz .LBB6_4775
.LBB6_4316:                             ;   in Loop: Header=BB6_3292 Depth=3
	s_or_b32 exec_lo, exec_lo, s19
	s_and_saveexec_b32 s19, s16
	s_cbranch_execz .LBB6_4318
.LBB6_4317:                             ;   in Loop: Header=BB6_3292 Depth=3
	v_bfe_u32 v86, v12, 24, 2
	v_bfe_u32 v113, v12, 26, 5
	v_ffbh_u32_e32 v87, v86
	v_cmp_eq_u32_e32 vcc_lo, 0, v113
	v_min_u32_e32 v87, 32, v87
	v_subrev_nc_u32_e32 v112, 29, v87
	v_sub_nc_u32_e32 v87, 30, v87
	v_lshlrev_b32_sdwa v112, v112, v12 dst_sel:DWORD dst_unused:UNUSED_PAD src0_sel:DWORD src1_sel:BYTE_3
	v_cndmask_b32_e32 v87, v113, v87, vcc_lo
	v_and_b32_e32 v12, 0x80000000, v12
	v_and_b32_e32 v112, 3, v112
	v_lshl_add_u32 v87, v87, 23, 0x37800000
	v_cndmask_b32_e32 v86, v86, v112, vcc_lo
	v_lshlrev_b32_e32 v86, 21, v86
	v_or3_b32 v86, v12, v87, v86
.LBB6_4318:                             ;   in Loop: Header=BB6_3292 Depth=3
	s_or_b32 exec_lo, exec_lo, s19
	v_cmp_gt_i16_sdwa s19, v8, v59 src0_sel:BYTE_3 src1_sel:DWORD
	s_mov_b32 s16, 0
	s_and_saveexec_b32 s22, s19
	s_xor_b32 s19, exec_lo, s22
	s_cbranch_execz .LBB6_4776
; %bb.4319:                             ;   in Loop: Header=BB6_3292 Depth=3
	v_cmp_eq_u16_sdwa s23, v8, v60 src0_sel:BYTE_3 src1_sel:DWORD
	s_mov_b32 s16, -1
	s_and_saveexec_b32 s22, s23
; %bb.4320:                             ;   in Loop: Header=BB6_3292 Depth=3
	s_xor_b32 s16, exec_lo, -1
; %bb.4321:                             ;   in Loop: Header=BB6_3292 Depth=3
	s_or_b32 exec_lo, exec_lo, s22
	s_and_b32 s16, s16, exec_lo
	s_or_saveexec_b32 s19, s19
	v_mov_b32_e32 v12, 0x7f800001
	s_xor_b32 exec_lo, exec_lo, s19
	s_cbranch_execnz .LBB6_4777
.LBB6_4322:                             ;   in Loop: Header=BB6_3292 Depth=3
	s_or_b32 exec_lo, exec_lo, s19
	s_and_saveexec_b32 s19, s16
	s_cbranch_execz .LBB6_4324
.LBB6_4323:                             ;   in Loop: Header=BB6_3292 Depth=3
	v_bfe_u32 v12, v8, 24, 2
	v_bfe_u32 v113, v8, 26, 5
	v_ffbh_u32_e32 v87, v12
	v_cmp_eq_u32_e32 vcc_lo, 0, v113
	v_min_u32_e32 v87, 32, v87
	v_subrev_nc_u32_e32 v112, 29, v87
	v_sub_nc_u32_e32 v87, 30, v87
	v_lshlrev_b32_sdwa v112, v112, v8 dst_sel:DWORD dst_unused:UNUSED_PAD src0_sel:DWORD src1_sel:BYTE_3
	v_cndmask_b32_e32 v87, v113, v87, vcc_lo
	v_and_b32_e32 v8, 0x80000000, v8
	v_and_b32_e32 v112, 3, v112
	v_lshl_add_u32 v87, v87, 23, 0x37800000
	v_cndmask_b32_e32 v12, v12, v112, vcc_lo
	v_lshlrev_b32_e32 v12, 21, v12
	v_or3_b32 v12, v8, v87, v12
.LBB6_4324:                             ;   in Loop: Header=BB6_3292 Depth=3
	s_or_b32 exec_lo, exec_lo, s19
	v_mul_f32_e32 v12, v86, v12
	v_and_b32_e32 v8, 0x7f800000, v12
	v_cmp_ne_u32_e32 vcc_lo, 0x7f800000, v8
	v_mov_b32_e32 v8, 0x8000
	s_and_saveexec_b32 s19, vcc_lo
	s_cbranch_execz .LBB6_4332
; %bb.4325:                             ;   in Loop: Header=BB6_3292 Depth=3
	v_mov_b32_e32 v8, 0
	s_mov_b32 s22, exec_lo
	v_cmpx_ne_u32_e32 0, v12
	s_cbranch_execz .LBB6_4331
; %bb.4326:                             ;   in Loop: Header=BB6_3292 Depth=3
	v_bfe_u32 v86, v12, 23, 8
	v_and_b32_e32 v8, 0x7fffff, v12
	v_cmp_gt_u32_e64 s16, 0x71, v86
	v_sub_nc_u32_e32 v87, 0x70, v86
	v_cmp_eq_u32_e32 vcc_lo, 0, v86
	v_or_b32_e32 v112, 0x800000, v8
	v_cndmask_b32_e64 v87, 0, v87, s16
	v_cndmask_b32_e32 v8, v112, v8, vcc_lo
	v_cndmask_b32_e64 v87, v87, 0x6f, vcc_lo
	v_lshl_add_u32 v112, 0x200000, v87, -1
	v_lshlrev_b32_e64 v113, v87, 0x100000
	v_and_b32_e32 v112, v112, v8
	v_cmp_eq_u32_e64 s16, v112, v113
	v_lshrrev_b32_e32 v112, v87, v8
	v_add_nc_u32_e32 v8, 0xffffff91, v86
	v_lshrrev_b32_e32 v86, 23, v112
	v_cndmask_b32_e64 v8, v8, 0xffffff92, vcc_lo
	v_xor_b32_e32 v86, 1, v86
	v_add_nc_u32_e32 v8, v87, v8
	v_bfe_u32 v87, v112, 21, 1
	v_add_nc_u32_e32 v87, -1, v87
	v_cndmask_b32_e64 v87, 0, v87, s16
	s_mov_b32 s16, exec_lo
	v_add_nc_u32_e32 v87, v87, v112
	v_and_b32_e32 v87, 0x1fffff, v87
	v_add_nc_u32_e32 v87, v87, v112
                                        ; implicit-def: $vgpr112
	v_cmpx_ne_u32_e64 v8, v86
	s_xor_b32 s16, exec_lo, s16
; %bb.4327:                             ;   in Loop: Header=BB6_3292 Depth=3
	v_cmp_lt_u32_e32 vcc_lo, 0xffffff, v87
	v_sub_nc_u32_e32 v8, v8, v86
	v_cndmask_b32_e64 v86, 0, 1, vcc_lo
	v_add_co_ci_u32_e64 v112, null, 0, v8, vcc_lo
	v_lshrrev_b32_e32 v87, v86, v87
; %bb.4328:                             ;   in Loop: Header=BB6_3292 Depth=3
	s_andn2_saveexec_b32 s16, s16
; %bb.4329:                             ;   in Loop: Header=BB6_3292 Depth=3
	v_bfe_u32 v112, v87, 23, 1
; %bb.4330:                             ;   in Loop: Header=BB6_3292 Depth=3
	s_or_b32 exec_lo, exec_lo, s16
	v_and_b32_sdwa v8, v12, v60 dst_sel:DWORD dst_unused:UNUSED_PAD src0_sel:BYTE_3 src1_sel:DWORD
	v_lshrrev_b32_e32 v12, 21, v87
	v_min_i32_e32 v86, 31, v112
	v_cmp_gt_i32_e32 vcc_lo, 32, v112
	v_lshlrev_b32_e32 v86, 2, v86
	v_cndmask_b32_e32 v12, 3, v12, vcc_lo
	v_and_b32_e32 v86, 0xfc, v86
	v_or_b32_e32 v87, v112, v12
	v_and_b32_e32 v12, 3, v12
	v_cmp_ne_u32_e32 vcc_lo, 0, v87
	v_or3_b32 v8, v8, v86, v12
	v_lshlrev_b32_e32 v8, 8, v8
	v_cndmask_b32_e32 v8, 0, v8, vcc_lo
.LBB6_4331:                             ;   in Loop: Header=BB6_3292 Depth=3
	s_or_b32 exec_lo, exec_lo, s22
.LBB6_4332:                             ;   in Loop: Header=BB6_3292 Depth=3
	s_or_b32 exec_lo, exec_lo, s19
	v_cmp_gt_i16_sdwa s16, v13, v59 src0_sel:BYTE_0 src1_sel:DWORD
	s_mov_b32 s19, 0
	s_and_saveexec_b32 s22, s16
	s_xor_b32 s16, exec_lo, s22
	s_cbranch_execz .LBB6_4778
; %bb.4333:                             ;   in Loop: Header=BB6_3292 Depth=3
	v_cmp_eq_u16_sdwa s23, v13, v60 src0_sel:BYTE_0 src1_sel:DWORD
	s_mov_b32 s19, -1
	s_and_saveexec_b32 s22, s23
; %bb.4334:                             ;   in Loop: Header=BB6_3292 Depth=3
	s_xor_b32 s19, exec_lo, -1
; %bb.4335:                             ;   in Loop: Header=BB6_3292 Depth=3
	s_or_b32 exec_lo, exec_lo, s22
	s_and_b32 s19, s19, exec_lo
	s_or_saveexec_b32 s16, s16
	v_mov_b32_e32 v12, 0x7f800001
	s_xor_b32 exec_lo, exec_lo, s16
	s_cbranch_execnz .LBB6_4779
.LBB6_4336:                             ;   in Loop: Header=BB6_3292 Depth=3
	s_or_b32 exec_lo, exec_lo, s16
	s_and_saveexec_b32 s16, s19
	s_cbranch_execz .LBB6_4338
.LBB6_4337:                             ;   in Loop: Header=BB6_3292 Depth=3
	v_and_b32_e32 v12, 3, v13
	v_bfe_u32 v86, v13, 2, 5
	v_ffbh_u32_e32 v87, v12
	v_cmp_eq_u32_e32 vcc_lo, 0, v86
	v_min_u32_e32 v87, 32, v87
	v_subrev_nc_u32_e32 v112, 29, v87
	v_sub_nc_u32_e32 v87, 30, v87
	v_lshlrev_b32_e32 v112, v112, v13
	v_cndmask_b32_e32 v86, v86, v87, vcc_lo
	v_lshlrev_b32_e32 v87, 24, v13
	v_and_b32_e32 v112, 3, v112
	v_lshl_add_u32 v86, v86, 23, 0x37800000
	v_and_b32_e32 v87, 0x80000000, v87
	v_cndmask_b32_e32 v12, v12, v112, vcc_lo
	v_lshlrev_b32_e32 v12, 21, v12
	v_or3_b32 v12, v87, v86, v12
.LBB6_4338:                             ;   in Loop: Header=BB6_3292 Depth=3
	s_or_b32 exec_lo, exec_lo, s16
	v_cmp_gt_i16_sdwa s16, v9, v59 src0_sel:BYTE_0 src1_sel:DWORD
	s_mov_b32 s19, 0
	s_and_saveexec_b32 s22, s16
	s_xor_b32 s16, exec_lo, s22
	s_cbranch_execz .LBB6_4780
; %bb.4339:                             ;   in Loop: Header=BB6_3292 Depth=3
	v_cmp_eq_u16_sdwa s23, v9, v60 src0_sel:BYTE_0 src1_sel:DWORD
	s_mov_b32 s19, -1
	s_and_saveexec_b32 s22, s23
; %bb.4340:                             ;   in Loop: Header=BB6_3292 Depth=3
	s_xor_b32 s19, exec_lo, -1
; %bb.4341:                             ;   in Loop: Header=BB6_3292 Depth=3
	s_or_b32 exec_lo, exec_lo, s22
	s_and_b32 s19, s19, exec_lo
	s_or_saveexec_b32 s16, s16
	v_mov_b32_e32 v86, 0x7f800001
	s_xor_b32 exec_lo, exec_lo, s16
	s_cbranch_execnz .LBB6_4781
.LBB6_4342:                             ;   in Loop: Header=BB6_3292 Depth=3
	s_or_b32 exec_lo, exec_lo, s16
	s_and_saveexec_b32 s16, s19
	s_cbranch_execz .LBB6_4344
.LBB6_4343:                             ;   in Loop: Header=BB6_3292 Depth=3
	v_and_b32_e32 v86, 3, v9
	v_bfe_u32 v87, v9, 2, 5
	v_ffbh_u32_e32 v112, v86
	v_cmp_eq_u32_e32 vcc_lo, 0, v87
	v_min_u32_e32 v112, 32, v112
	v_subrev_nc_u32_e32 v113, 29, v112
	v_sub_nc_u32_e32 v112, 30, v112
	v_lshlrev_b32_e32 v113, v113, v9
	v_cndmask_b32_e32 v87, v87, v112, vcc_lo
	v_lshlrev_b32_e32 v112, 24, v9
	v_and_b32_e32 v113, 3, v113
	v_lshl_add_u32 v87, v87, 23, 0x37800000
	v_and_b32_e32 v112, 0x80000000, v112
	v_cndmask_b32_e32 v86, v86, v113, vcc_lo
	v_lshlrev_b32_e32 v86, 21, v86
	v_or3_b32 v86, v112, v87, v86
.LBB6_4344:                             ;   in Loop: Header=BB6_3292 Depth=3
	s_or_b32 exec_lo, exec_lo, s16
	v_mul_f32_e32 v112, v12, v86
	v_and_b32_e32 v12, 0x7f800000, v112
	v_cmp_ne_u32_e32 vcc_lo, 0x7f800000, v12
	v_mov_b32_e32 v12, 0x80
	s_and_saveexec_b32 s19, vcc_lo
	s_cbranch_execz .LBB6_4352
; %bb.4345:                             ;   in Loop: Header=BB6_3292 Depth=3
	v_mov_b32_e32 v12, 0
	s_mov_b32 s22, exec_lo
	v_cmpx_ne_u32_e32 0, v112
	s_cbranch_execz .LBB6_4351
; %bb.4346:                             ;   in Loop: Header=BB6_3292 Depth=3
	v_bfe_u32 v86, v112, 23, 8
	v_and_b32_e32 v12, 0x7fffff, v112
	v_cmp_gt_u32_e64 s16, 0x71, v86
	v_sub_nc_u32_e32 v87, 0x70, v86
	v_cmp_eq_u32_e32 vcc_lo, 0, v86
	v_or_b32_e32 v113, 0x800000, v12
	v_cndmask_b32_e64 v87, 0, v87, s16
	v_cndmask_b32_e32 v12, v113, v12, vcc_lo
	v_cndmask_b32_e64 v87, v87, 0x6f, vcc_lo
	v_lshl_add_u32 v113, 0x200000, v87, -1
	v_lshlrev_b32_e64 v46, v87, 0x100000
	v_and_b32_e32 v113, v113, v12
	v_cmp_eq_u32_e64 s16, v113, v46
	v_lshrrev_b32_e32 v113, v87, v12
	v_add_nc_u32_e32 v12, 0xffffff91, v86
	v_lshrrev_b32_e32 v86, 23, v113
	v_cndmask_b32_e64 v12, v12, 0xffffff92, vcc_lo
	v_xor_b32_e32 v86, 1, v86
	v_add_nc_u32_e32 v12, v87, v12
	v_bfe_u32 v87, v113, 21, 1
	v_add_nc_u32_e32 v87, -1, v87
	v_cndmask_b32_e64 v87, 0, v87, s16
	s_mov_b32 s16, exec_lo
	v_add_nc_u32_e32 v87, v87, v113
	v_and_b32_e32 v87, 0x1fffff, v87
	v_add_nc_u32_e32 v87, v87, v113
                                        ; implicit-def: $vgpr113
	v_cmpx_ne_u32_e64 v12, v86
	s_xor_b32 s16, exec_lo, s16
; %bb.4347:                             ;   in Loop: Header=BB6_3292 Depth=3
	v_cmp_lt_u32_e32 vcc_lo, 0xffffff, v87
	v_sub_nc_u32_e32 v12, v12, v86
	v_cndmask_b32_e64 v86, 0, 1, vcc_lo
	v_add_co_ci_u32_e64 v113, null, 0, v12, vcc_lo
	v_lshrrev_b32_e32 v87, v86, v87
; %bb.4348:                             ;   in Loop: Header=BB6_3292 Depth=3
	s_andn2_saveexec_b32 s16, s16
; %bb.4349:                             ;   in Loop: Header=BB6_3292 Depth=3
	v_bfe_u32 v113, v87, 23, 1
; %bb.4350:                             ;   in Loop: Header=BB6_3292 Depth=3
	s_or_b32 exec_lo, exec_lo, s16
	v_lshrrev_b32_e32 v86, 21, v87
	v_min_i32_e32 v87, 31, v113
	v_cmp_gt_i32_e32 vcc_lo, 32, v113
	v_and_b32_sdwa v12, v112, v60 dst_sel:DWORD dst_unused:UNUSED_PAD src0_sel:BYTE_3 src1_sel:DWORD
	v_lshlrev_b32_e32 v87, 2, v87
	v_cndmask_b32_e32 v86, 3, v86, vcc_lo
	v_and_b32_e32 v87, 0xfc, v87
	v_or_b32_e32 v112, v113, v86
	v_and_b32_e32 v86, 3, v86
	v_cmp_ne_u32_e32 vcc_lo, 0, v112
	v_or3_b32 v12, v87, v12, v86
	v_cndmask_b32_e32 v12, 0, v12, vcc_lo
.LBB6_4351:                             ;   in Loop: Header=BB6_3292 Depth=3
	s_or_b32 exec_lo, exec_lo, s22
.LBB6_4352:                             ;   in Loop: Header=BB6_3292 Depth=3
	s_or_b32 exec_lo, exec_lo, s19
	v_cmp_gt_i16_sdwa s19, v13, v59 src0_sel:BYTE_1 src1_sel:DWORD
	s_mov_b32 s16, 0
	s_and_saveexec_b32 s22, s19
	s_xor_b32 s19, exec_lo, s22
	s_cbranch_execz .LBB6_4782
; %bb.4353:                             ;   in Loop: Header=BB6_3292 Depth=3
	v_cmp_eq_u16_sdwa s23, v13, v60 src0_sel:BYTE_1 src1_sel:DWORD
	s_mov_b32 s16, -1
	s_and_saveexec_b32 s22, s23
; %bb.4354:                             ;   in Loop: Header=BB6_3292 Depth=3
	s_xor_b32 s16, exec_lo, -1
; %bb.4355:                             ;   in Loop: Header=BB6_3292 Depth=3
	s_or_b32 exec_lo, exec_lo, s22
	s_and_b32 s16, s16, exec_lo
	s_or_saveexec_b32 s19, s19
	v_mov_b32_e32 v86, 0x7f800001
	s_xor_b32 exec_lo, exec_lo, s19
	s_cbranch_execnz .LBB6_4783
.LBB6_4356:                             ;   in Loop: Header=BB6_3292 Depth=3
	s_or_b32 exec_lo, exec_lo, s19
	s_and_saveexec_b32 s19, s16
	s_cbranch_execz .LBB6_4358
.LBB6_4357:                             ;   in Loop: Header=BB6_3292 Depth=3
	v_and_b32_sdwa v86, v61, v13 dst_sel:DWORD dst_unused:UNUSED_PAD src0_sel:DWORD src1_sel:BYTE_1
	v_and_b32_e32 v87, 3, v86
	v_bfe_u32 v46, v86, 2, 5
	v_ffbh_u32_e32 v112, v87
	v_cmp_eq_u32_e32 vcc_lo, 0, v46
	v_min_u32_e32 v112, 32, v112
	v_subrev_nc_u32_e32 v113, 29, v112
	v_sub_nc_u32_e32 v112, 30, v112
	v_lshlrev_b32_e32 v86, v113, v86
	v_lshlrev_b32_sdwa v113, v62, v13 dst_sel:DWORD dst_unused:UNUSED_PAD src0_sel:DWORD src1_sel:BYTE_1
	v_cndmask_b32_e32 v112, v46, v112, vcc_lo
	v_and_b32_e32 v86, 3, v86
	v_lshl_add_u32 v112, v112, 23, 0x37800000
	v_cndmask_b32_e32 v86, v87, v86, vcc_lo
	v_and_b32_e32 v87, 0x80000000, v113
	v_lshlrev_b32_e32 v86, 21, v86
	v_or3_b32 v86, v87, v112, v86
.LBB6_4358:                             ;   in Loop: Header=BB6_3292 Depth=3
	s_or_b32 exec_lo, exec_lo, s19
	v_cmp_gt_i16_sdwa s19, v9, v59 src0_sel:BYTE_1 src1_sel:DWORD
	s_mov_b32 s16, 0
	s_and_saveexec_b32 s22, s19
	s_xor_b32 s19, exec_lo, s22
	s_cbranch_execz .LBB6_4784
; %bb.4359:                             ;   in Loop: Header=BB6_3292 Depth=3
	v_cmp_eq_u16_sdwa s23, v9, v60 src0_sel:BYTE_1 src1_sel:DWORD
	s_mov_b32 s16, -1
	s_and_saveexec_b32 s22, s23
; %bb.4360:                             ;   in Loop: Header=BB6_3292 Depth=3
	s_xor_b32 s16, exec_lo, -1
; %bb.4361:                             ;   in Loop: Header=BB6_3292 Depth=3
	s_or_b32 exec_lo, exec_lo, s22
	s_and_b32 s16, s16, exec_lo
	s_or_saveexec_b32 s19, s19
	v_mov_b32_e32 v87, 0x7f800001
	s_xor_b32 exec_lo, exec_lo, s19
	s_cbranch_execnz .LBB6_4785
.LBB6_4362:                             ;   in Loop: Header=BB6_3292 Depth=3
	s_or_b32 exec_lo, exec_lo, s19
	s_and_saveexec_b32 s19, s16
	s_cbranch_execz .LBB6_4364
.LBB6_4363:                             ;   in Loop: Header=BB6_3292 Depth=3
	v_and_b32_sdwa v87, v61, v9 dst_sel:DWORD dst_unused:UNUSED_PAD src0_sel:DWORD src1_sel:BYTE_1
	v_and_b32_e32 v112, 3, v87
	v_bfe_u32 v58, v87, 2, 5
	v_ffbh_u32_e32 v113, v112
	v_cmp_eq_u32_e32 vcc_lo, 0, v58
	v_min_u32_e32 v113, 32, v113
	v_subrev_nc_u32_e32 v46, 29, v113
	v_sub_nc_u32_e32 v113, 30, v113
	v_lshlrev_b32_e32 v87, v46, v87
	v_lshlrev_b32_sdwa v46, v62, v9 dst_sel:DWORD dst_unused:UNUSED_PAD src0_sel:DWORD src1_sel:BYTE_1
	v_cndmask_b32_e32 v113, v58, v113, vcc_lo
	v_and_b32_e32 v87, 3, v87
	v_lshl_add_u32 v113, v113, 23, 0x37800000
	v_cndmask_b32_e32 v87, v112, v87, vcc_lo
	v_and_b32_e32 v112, 0x80000000, v46
	v_lshlrev_b32_e32 v87, 21, v87
	v_or3_b32 v87, v112, v113, v87
.LBB6_4364:                             ;   in Loop: Header=BB6_3292 Depth=3
	s_or_b32 exec_lo, exec_lo, s19
	v_mul_f32_e32 v112, v86, v87
	v_mov_b32_e32 v105, 0x8000
	s_mov_b32 s19, exec_lo
	v_and_b32_e32 v86, 0x7f800000, v112
	v_cmpx_ne_u32_e32 0x7f800000, v86
	s_cbranch_execz .LBB6_4372
; %bb.4365:                             ;   in Loop: Header=BB6_3292 Depth=3
	v_mov_b32_e32 v105, 0
	s_mov_b32 s22, exec_lo
	v_cmpx_ne_u32_e32 0, v112
	s_cbranch_execz .LBB6_4371
; %bb.4366:                             ;   in Loop: Header=BB6_3292 Depth=3
	v_bfe_u32 v87, v112, 23, 8
	v_and_b32_e32 v86, 0x7fffff, v112
	v_cmp_gt_u32_e64 s16, 0x71, v87
	v_sub_nc_u32_e32 v113, 0x70, v87
	v_cmp_eq_u32_e32 vcc_lo, 0, v87
	v_or_b32_e32 v46, 0x800000, v86
	v_cndmask_b32_e64 v113, 0, v113, s16
	v_cndmask_b32_e32 v86, v46, v86, vcc_lo
	v_cndmask_b32_e64 v113, v113, 0x6f, vcc_lo
	v_lshl_add_u32 v46, 0x200000, v113, -1
	v_lshlrev_b32_e64 v58, v113, 0x100000
	v_and_b32_e32 v46, v46, v86
	v_cmp_eq_u32_e64 s16, v46, v58
	v_lshrrev_b32_e32 v46, v113, v86
	v_add_nc_u32_e32 v86, 0xffffff91, v87
	v_lshrrev_b32_e32 v87, 23, v46
	v_cndmask_b32_e64 v86, v86, 0xffffff92, vcc_lo
	v_xor_b32_e32 v87, 1, v87
	v_add_nc_u32_e32 v86, v113, v86
	v_bfe_u32 v113, v46, 21, 1
	v_add_nc_u32_e32 v113, -1, v113
	v_cndmask_b32_e64 v113, 0, v113, s16
	s_mov_b32 s16, exec_lo
	v_add_nc_u32_e32 v113, v113, v46
	v_and_b32_e32 v113, 0x1fffff, v113
	v_add_nc_u32_e32 v113, v113, v46
                                        ; implicit-def: $vgpr46
	v_cmpx_ne_u32_e64 v86, v87
	s_xor_b32 s16, exec_lo, s16
; %bb.4367:                             ;   in Loop: Header=BB6_3292 Depth=3
	v_cmp_lt_u32_e32 vcc_lo, 0xffffff, v113
	v_sub_nc_u32_e32 v86, v86, v87
	v_cndmask_b32_e64 v87, 0, 1, vcc_lo
	v_add_co_ci_u32_e64 v46, null, 0, v86, vcc_lo
	v_lshrrev_b32_e32 v113, v87, v113
; %bb.4368:                             ;   in Loop: Header=BB6_3292 Depth=3
	s_andn2_saveexec_b32 s16, s16
; %bb.4369:                             ;   in Loop: Header=BB6_3292 Depth=3
	v_bfe_u32 v46, v113, 23, 1
; %bb.4370:                             ;   in Loop: Header=BB6_3292 Depth=3
	s_or_b32 exec_lo, exec_lo, s16
	v_and_b32_sdwa v86, v112, v60 dst_sel:DWORD dst_unused:UNUSED_PAD src0_sel:BYTE_3 src1_sel:DWORD
	v_lshrrev_b32_e32 v87, 21, v113
	v_min_i32_e32 v112, 31, v46
	v_cmp_gt_i32_e32 vcc_lo, 32, v46
	v_lshlrev_b32_e32 v112, 2, v112
	v_cndmask_b32_e32 v87, 3, v87, vcc_lo
	v_and_b32_e32 v112, 0xfc, v112
	v_or_b32_e32 v113, v46, v87
	v_and_b32_e32 v87, 3, v87
	v_cmp_ne_u32_e32 vcc_lo, 0, v113
	v_or3_b32 v86, v86, v112, v87
	v_lshlrev_b32_e32 v86, 8, v86
	v_cndmask_b32_e32 v105, 0, v86, vcc_lo
.LBB6_4371:                             ;   in Loop: Header=BB6_3292 Depth=3
	s_or_b32 exec_lo, exec_lo, s22
.LBB6_4372:                             ;   in Loop: Header=BB6_3292 Depth=3
	s_or_b32 exec_lo, exec_lo, s19
	v_and_b32_sdwa v87, v13, v63 dst_sel:DWORD dst_unused:UNUSED_PAD src0_sel:WORD_1 src1_sel:DWORD
	s_mov_b32 s19, 0
	s_mov_b32 s16, exec_lo
	v_cmpx_lt_i16_e32 0x7f, v87
	s_xor_b32 s16, exec_lo, s16
	s_cbranch_execz .LBB6_4786
; %bb.4373:                             ;   in Loop: Header=BB6_3292 Depth=3
	s_mov_b32 s19, -1
	s_mov_b32 s22, exec_lo
	v_cmpx_eq_u16_e32 0x80, v87
; %bb.4374:                             ;   in Loop: Header=BB6_3292 Depth=3
	s_xor_b32 s19, exec_lo, -1
; %bb.4375:                             ;   in Loop: Header=BB6_3292 Depth=3
	s_or_b32 exec_lo, exec_lo, s22
	s_and_b32 s19, s19, exec_lo
                                        ; implicit-def: $vgpr87
	s_or_saveexec_b32 s16, s16
	v_mov_b32_e32 v86, 0x7f800001
	s_xor_b32 exec_lo, exec_lo, s16
	s_cbranch_execnz .LBB6_4787
.LBB6_4376:                             ;   in Loop: Header=BB6_3292 Depth=3
	s_or_b32 exec_lo, exec_lo, s16
	s_and_saveexec_b32 s16, s19
	s_cbranch_execz .LBB6_4378
.LBB6_4377:                             ;   in Loop: Header=BB6_3292 Depth=3
	v_bfe_u32 v86, v13, 16, 2
	v_bfe_u32 v87, v13, 18, 5
	v_ffbh_u32_e32 v112, v86
	v_cmp_eq_u32_e32 vcc_lo, 0, v87
	v_min_u32_e32 v112, 32, v112
	v_subrev_nc_u32_e32 v113, 29, v112
	v_sub_nc_u32_e32 v112, 30, v112
	v_lshlrev_b32_sdwa v113, v113, v13 dst_sel:DWORD dst_unused:UNUSED_PAD src0_sel:DWORD src1_sel:WORD_1
	v_cndmask_b32_e32 v87, v87, v112, vcc_lo
	v_lshlrev_b32_e32 v112, 8, v13
	v_and_b32_e32 v113, 3, v113
	v_lshl_add_u32 v87, v87, 23, 0x37800000
	v_and_b32_e32 v112, 0x80000000, v112
	v_cndmask_b32_e32 v86, v86, v113, vcc_lo
	v_lshlrev_b32_e32 v86, 21, v86
	v_or3_b32 v86, v112, v87, v86
.LBB6_4378:                             ;   in Loop: Header=BB6_3292 Depth=3
	s_or_b32 exec_lo, exec_lo, s16
	v_and_b32_sdwa v112, v9, v63 dst_sel:DWORD dst_unused:UNUSED_PAD src0_sel:WORD_1 src1_sel:DWORD
	s_mov_b32 s19, 0
	s_mov_b32 s16, exec_lo
	v_cmpx_lt_i16_e32 0x7f, v112
	s_xor_b32 s16, exec_lo, s16
	s_cbranch_execz .LBB6_4788
; %bb.4379:                             ;   in Loop: Header=BB6_3292 Depth=3
	s_mov_b32 s19, -1
	s_mov_b32 s22, exec_lo
	v_cmpx_eq_u16_e32 0x80, v112
; %bb.4380:                             ;   in Loop: Header=BB6_3292 Depth=3
	s_xor_b32 s19, exec_lo, -1
; %bb.4381:                             ;   in Loop: Header=BB6_3292 Depth=3
	s_or_b32 exec_lo, exec_lo, s22
	s_and_b32 s19, s19, exec_lo
                                        ; implicit-def: $vgpr112
	s_or_saveexec_b32 s16, s16
	v_mov_b32_e32 v87, 0x7f800001
	s_xor_b32 exec_lo, exec_lo, s16
	s_cbranch_execnz .LBB6_4789
.LBB6_4382:                             ;   in Loop: Header=BB6_3292 Depth=3
	s_or_b32 exec_lo, exec_lo, s16
	s_and_saveexec_b32 s16, s19
	s_cbranch_execz .LBB6_4384
.LBB6_4383:                             ;   in Loop: Header=BB6_3292 Depth=3
	v_bfe_u32 v87, v9, 16, 2
	v_bfe_u32 v112, v9, 18, 5
	v_ffbh_u32_e32 v113, v87
	v_cmp_eq_u32_e32 vcc_lo, 0, v112
	v_min_u32_e32 v113, 32, v113
	v_subrev_nc_u32_e32 v46, 29, v113
	v_sub_nc_u32_e32 v113, 30, v113
	v_lshlrev_b32_sdwa v46, v46, v9 dst_sel:DWORD dst_unused:UNUSED_PAD src0_sel:DWORD src1_sel:WORD_1
	v_cndmask_b32_e32 v112, v112, v113, vcc_lo
	v_lshlrev_b32_e32 v113, 8, v9
	v_and_b32_e32 v46, 3, v46
	v_lshl_add_u32 v112, v112, 23, 0x37800000
	v_and_b32_e32 v113, 0x80000000, v113
	v_cndmask_b32_e32 v87, v87, v46, vcc_lo
	v_lshlrev_b32_e32 v87, 21, v87
	v_or3_b32 v87, v113, v112, v87
.LBB6_4384:                             ;   in Loop: Header=BB6_3292 Depth=3
	s_or_b32 exec_lo, exec_lo, s16
	v_mul_f32_e32 v112, v86, v87
	v_mov_b32_e32 v73, 0x80
	s_mov_b32 s19, exec_lo
	v_and_b32_e32 v86, 0x7f800000, v112
	v_cmpx_ne_u32_e32 0x7f800000, v86
	s_cbranch_execz .LBB6_4392
; %bb.4385:                             ;   in Loop: Header=BB6_3292 Depth=3
	v_mov_b32_e32 v73, 0
	s_mov_b32 s22, exec_lo
	v_cmpx_ne_u32_e32 0, v112
	s_cbranch_execz .LBB6_4391
; %bb.4386:                             ;   in Loop: Header=BB6_3292 Depth=3
	v_bfe_u32 v87, v112, 23, 8
	v_and_b32_e32 v86, 0x7fffff, v112
	v_cmp_gt_u32_e64 s16, 0x71, v87
	v_sub_nc_u32_e32 v113, 0x70, v87
	v_cmp_eq_u32_e32 vcc_lo, 0, v87
	v_or_b32_e32 v46, 0x800000, v86
	v_cndmask_b32_e64 v113, 0, v113, s16
	v_cndmask_b32_e32 v86, v46, v86, vcc_lo
	v_cndmask_b32_e64 v113, v113, 0x6f, vcc_lo
	v_lshl_add_u32 v46, 0x200000, v113, -1
	v_lshlrev_b32_e64 v58, v113, 0x100000
	v_and_b32_e32 v46, v46, v86
	v_cmp_eq_u32_e64 s16, v46, v58
	v_lshrrev_b32_e32 v46, v113, v86
	v_add_nc_u32_e32 v86, 0xffffff91, v87
	v_lshrrev_b32_e32 v87, 23, v46
	v_cndmask_b32_e64 v86, v86, 0xffffff92, vcc_lo
	v_xor_b32_e32 v87, 1, v87
	v_add_nc_u32_e32 v86, v113, v86
	v_bfe_u32 v113, v46, 21, 1
	v_add_nc_u32_e32 v113, -1, v113
	v_cndmask_b32_e64 v113, 0, v113, s16
	s_mov_b32 s16, exec_lo
	v_add_nc_u32_e32 v113, v113, v46
	v_and_b32_e32 v113, 0x1fffff, v113
	v_add_nc_u32_e32 v113, v113, v46
                                        ; implicit-def: $vgpr46
	v_cmpx_ne_u32_e64 v86, v87
	s_xor_b32 s16, exec_lo, s16
; %bb.4387:                             ;   in Loop: Header=BB6_3292 Depth=3
	v_cmp_lt_u32_e32 vcc_lo, 0xffffff, v113
	v_sub_nc_u32_e32 v86, v86, v87
	v_cndmask_b32_e64 v87, 0, 1, vcc_lo
	v_add_co_ci_u32_e64 v46, null, 0, v86, vcc_lo
	v_lshrrev_b32_e32 v113, v87, v113
; %bb.4388:                             ;   in Loop: Header=BB6_3292 Depth=3
	s_andn2_saveexec_b32 s16, s16
; %bb.4389:                             ;   in Loop: Header=BB6_3292 Depth=3
	v_bfe_u32 v46, v113, 23, 1
; %bb.4390:                             ;   in Loop: Header=BB6_3292 Depth=3
	s_or_b32 exec_lo, exec_lo, s16
	v_and_b32_sdwa v86, v112, v60 dst_sel:DWORD dst_unused:UNUSED_PAD src0_sel:BYTE_3 src1_sel:DWORD
	v_lshrrev_b32_e32 v87, 21, v113
	v_min_i32_e32 v112, 31, v46
	v_cmp_gt_i32_e32 vcc_lo, 32, v46
	v_lshlrev_b32_e32 v112, 2, v112
	v_cndmask_b32_e32 v87, 3, v87, vcc_lo
	v_and_b32_e32 v112, 0xfc, v112
	v_or_b32_e32 v113, v46, v87
	v_and_b32_e32 v87, 3, v87
	v_cmp_ne_u32_e32 vcc_lo, 0, v113
	v_or3_b32 v86, v112, v86, v87
	v_cndmask_b32_e32 v73, 0, v86, vcc_lo
.LBB6_4391:                             ;   in Loop: Header=BB6_3292 Depth=3
	s_or_b32 exec_lo, exec_lo, s22
.LBB6_4392:                             ;   in Loop: Header=BB6_3292 Depth=3
	s_or_b32 exec_lo, exec_lo, s19
	v_cmp_gt_i16_sdwa s19, v13, v59 src0_sel:BYTE_3 src1_sel:DWORD
	s_mov_b32 s16, 0
	s_and_saveexec_b32 s22, s19
	s_xor_b32 s19, exec_lo, s22
	s_cbranch_execz .LBB6_4790
; %bb.4393:                             ;   in Loop: Header=BB6_3292 Depth=3
	v_cmp_eq_u16_sdwa s23, v13, v60 src0_sel:BYTE_3 src1_sel:DWORD
	s_mov_b32 s16, -1
	s_and_saveexec_b32 s22, s23
; %bb.4394:                             ;   in Loop: Header=BB6_3292 Depth=3
	s_xor_b32 s16, exec_lo, -1
; %bb.4395:                             ;   in Loop: Header=BB6_3292 Depth=3
	s_or_b32 exec_lo, exec_lo, s22
	s_and_b32 s16, s16, exec_lo
	s_or_saveexec_b32 s19, s19
	v_mov_b32_e32 v86, 0x7f800001
	s_xor_b32 exec_lo, exec_lo, s19
	s_cbranch_execnz .LBB6_4791
.LBB6_4396:                             ;   in Loop: Header=BB6_3292 Depth=3
	s_or_b32 exec_lo, exec_lo, s19
	s_and_saveexec_b32 s19, s16
	s_cbranch_execz .LBB6_4398
.LBB6_4397:                             ;   in Loop: Header=BB6_3292 Depth=3
	v_bfe_u32 v86, v13, 24, 2
	v_bfe_u32 v113, v13, 26, 5
	v_ffbh_u32_e32 v87, v86
	v_cmp_eq_u32_e32 vcc_lo, 0, v113
	v_min_u32_e32 v87, 32, v87
	v_subrev_nc_u32_e32 v112, 29, v87
	v_sub_nc_u32_e32 v87, 30, v87
	v_lshlrev_b32_sdwa v112, v112, v13 dst_sel:DWORD dst_unused:UNUSED_PAD src0_sel:DWORD src1_sel:BYTE_3
	v_cndmask_b32_e32 v87, v113, v87, vcc_lo
	v_and_b32_e32 v13, 0x80000000, v13
	v_and_b32_e32 v112, 3, v112
	v_lshl_add_u32 v87, v87, 23, 0x37800000
	v_cndmask_b32_e32 v86, v86, v112, vcc_lo
	v_lshlrev_b32_e32 v86, 21, v86
	v_or3_b32 v86, v13, v87, v86
.LBB6_4398:                             ;   in Loop: Header=BB6_3292 Depth=3
	s_or_b32 exec_lo, exec_lo, s19
	v_cmp_gt_i16_sdwa s19, v9, v59 src0_sel:BYTE_3 src1_sel:DWORD
	s_mov_b32 s16, 0
	s_and_saveexec_b32 s22, s19
	s_xor_b32 s19, exec_lo, s22
	s_cbranch_execz .LBB6_4792
; %bb.4399:                             ;   in Loop: Header=BB6_3292 Depth=3
	v_cmp_eq_u16_sdwa s23, v9, v60 src0_sel:BYTE_3 src1_sel:DWORD
	s_mov_b32 s16, -1
	s_and_saveexec_b32 s22, s23
; %bb.4400:                             ;   in Loop: Header=BB6_3292 Depth=3
	s_xor_b32 s16, exec_lo, -1
; %bb.4401:                             ;   in Loop: Header=BB6_3292 Depth=3
	s_or_b32 exec_lo, exec_lo, s22
	s_and_b32 s16, s16, exec_lo
	s_or_saveexec_b32 s19, s19
	v_mov_b32_e32 v13, 0x7f800001
	s_xor_b32 exec_lo, exec_lo, s19
	s_cbranch_execnz .LBB6_4793
.LBB6_4402:                             ;   in Loop: Header=BB6_3292 Depth=3
	s_or_b32 exec_lo, exec_lo, s19
	s_and_saveexec_b32 s19, s16
	s_cbranch_execz .LBB6_4404
.LBB6_4403:                             ;   in Loop: Header=BB6_3292 Depth=3
	v_bfe_u32 v13, v9, 24, 2
	v_bfe_u32 v113, v9, 26, 5
	v_ffbh_u32_e32 v87, v13
	v_cmp_eq_u32_e32 vcc_lo, 0, v113
	v_min_u32_e32 v87, 32, v87
	v_subrev_nc_u32_e32 v112, 29, v87
	v_sub_nc_u32_e32 v87, 30, v87
	v_lshlrev_b32_sdwa v112, v112, v9 dst_sel:DWORD dst_unused:UNUSED_PAD src0_sel:DWORD src1_sel:BYTE_3
	v_cndmask_b32_e32 v87, v113, v87, vcc_lo
	v_and_b32_e32 v9, 0x80000000, v9
	v_and_b32_e32 v112, 3, v112
	v_lshl_add_u32 v87, v87, 23, 0x37800000
	v_cndmask_b32_e32 v13, v13, v112, vcc_lo
	v_lshlrev_b32_e32 v13, 21, v13
	v_or3_b32 v13, v9, v87, v13
.LBB6_4404:                             ;   in Loop: Header=BB6_3292 Depth=3
	s_or_b32 exec_lo, exec_lo, s19
	v_mul_f32_e32 v13, v86, v13
	v_and_b32_e32 v9, 0x7f800000, v13
	v_cmp_ne_u32_e32 vcc_lo, 0x7f800000, v9
	v_mov_b32_e32 v9, 0x8000
	s_and_saveexec_b32 s19, vcc_lo
	s_cbranch_execz .LBB6_4412
; %bb.4405:                             ;   in Loop: Header=BB6_3292 Depth=3
	v_mov_b32_e32 v9, 0
	s_mov_b32 s22, exec_lo
	v_cmpx_ne_u32_e32 0, v13
	s_cbranch_execz .LBB6_4411
; %bb.4406:                             ;   in Loop: Header=BB6_3292 Depth=3
	v_bfe_u32 v86, v13, 23, 8
	v_and_b32_e32 v9, 0x7fffff, v13
	v_cmp_gt_u32_e64 s16, 0x71, v86
	v_sub_nc_u32_e32 v87, 0x70, v86
	v_cmp_eq_u32_e32 vcc_lo, 0, v86
	v_or_b32_e32 v112, 0x800000, v9
	v_cndmask_b32_e64 v87, 0, v87, s16
	v_cndmask_b32_e32 v9, v112, v9, vcc_lo
	v_cndmask_b32_e64 v87, v87, 0x6f, vcc_lo
	v_lshl_add_u32 v112, 0x200000, v87, -1
	v_lshlrev_b32_e64 v113, v87, 0x100000
	v_and_b32_e32 v112, v112, v9
	v_cmp_eq_u32_e64 s16, v112, v113
	v_lshrrev_b32_e32 v112, v87, v9
	v_add_nc_u32_e32 v9, 0xffffff91, v86
	v_lshrrev_b32_e32 v86, 23, v112
	v_cndmask_b32_e64 v9, v9, 0xffffff92, vcc_lo
	v_xor_b32_e32 v86, 1, v86
	v_add_nc_u32_e32 v9, v87, v9
	v_bfe_u32 v87, v112, 21, 1
	v_add_nc_u32_e32 v87, -1, v87
	v_cndmask_b32_e64 v87, 0, v87, s16
	s_mov_b32 s16, exec_lo
	v_add_nc_u32_e32 v87, v87, v112
	v_and_b32_e32 v87, 0x1fffff, v87
	v_add_nc_u32_e32 v87, v87, v112
                                        ; implicit-def: $vgpr112
	v_cmpx_ne_u32_e64 v9, v86
	s_xor_b32 s16, exec_lo, s16
; %bb.4407:                             ;   in Loop: Header=BB6_3292 Depth=3
	v_cmp_lt_u32_e32 vcc_lo, 0xffffff, v87
	v_sub_nc_u32_e32 v9, v9, v86
	v_cndmask_b32_e64 v86, 0, 1, vcc_lo
	v_add_co_ci_u32_e64 v112, null, 0, v9, vcc_lo
	v_lshrrev_b32_e32 v87, v86, v87
; %bb.4408:                             ;   in Loop: Header=BB6_3292 Depth=3
	s_andn2_saveexec_b32 s16, s16
; %bb.4409:                             ;   in Loop: Header=BB6_3292 Depth=3
	v_bfe_u32 v112, v87, 23, 1
; %bb.4410:                             ;   in Loop: Header=BB6_3292 Depth=3
	s_or_b32 exec_lo, exec_lo, s16
	v_and_b32_sdwa v9, v13, v60 dst_sel:DWORD dst_unused:UNUSED_PAD src0_sel:BYTE_3 src1_sel:DWORD
	v_lshrrev_b32_e32 v13, 21, v87
	v_min_i32_e32 v86, 31, v112
	v_cmp_gt_i32_e32 vcc_lo, 32, v112
	v_lshlrev_b32_e32 v86, 2, v86
	v_cndmask_b32_e32 v13, 3, v13, vcc_lo
	v_and_b32_e32 v86, 0xfc, v86
	v_or_b32_e32 v87, v112, v13
	v_and_b32_e32 v13, 3, v13
	v_cmp_ne_u32_e32 vcc_lo, 0, v87
	v_or3_b32 v9, v9, v86, v13
	v_lshlrev_b32_e32 v9, 8, v9
	v_cndmask_b32_e32 v9, 0, v9, vcc_lo
.LBB6_4411:                             ;   in Loop: Header=BB6_3292 Depth=3
	s_or_b32 exec_lo, exec_lo, s22
.LBB6_4412:                             ;   in Loop: Header=BB6_3292 Depth=3
	s_or_b32 exec_lo, exec_lo, s19
	v_cmp_gt_i16_sdwa s16, v14, v59 src0_sel:BYTE_0 src1_sel:DWORD
	s_mov_b32 s19, 0
	s_and_saveexec_b32 s22, s16
	s_xor_b32 s16, exec_lo, s22
	s_cbranch_execz .LBB6_4794
; %bb.4413:                             ;   in Loop: Header=BB6_3292 Depth=3
	v_cmp_eq_u16_sdwa s23, v14, v60 src0_sel:BYTE_0 src1_sel:DWORD
	s_mov_b32 s19, -1
	s_and_saveexec_b32 s22, s23
; %bb.4414:                             ;   in Loop: Header=BB6_3292 Depth=3
	s_xor_b32 s19, exec_lo, -1
; %bb.4415:                             ;   in Loop: Header=BB6_3292 Depth=3
	s_or_b32 exec_lo, exec_lo, s22
	s_and_b32 s19, s19, exec_lo
	s_or_saveexec_b32 s16, s16
	v_mov_b32_e32 v13, 0x7f800001
	s_xor_b32 exec_lo, exec_lo, s16
	s_cbranch_execnz .LBB6_4795
.LBB6_4416:                             ;   in Loop: Header=BB6_3292 Depth=3
	s_or_b32 exec_lo, exec_lo, s16
	s_and_saveexec_b32 s16, s19
	s_cbranch_execz .LBB6_4418
.LBB6_4417:                             ;   in Loop: Header=BB6_3292 Depth=3
	v_and_b32_e32 v13, 3, v14
	v_bfe_u32 v86, v14, 2, 5
	v_ffbh_u32_e32 v87, v13
	v_cmp_eq_u32_e32 vcc_lo, 0, v86
	v_min_u32_e32 v87, 32, v87
	v_subrev_nc_u32_e32 v112, 29, v87
	v_sub_nc_u32_e32 v87, 30, v87
	v_lshlrev_b32_e32 v112, v112, v14
	v_cndmask_b32_e32 v86, v86, v87, vcc_lo
	v_lshlrev_b32_e32 v87, 24, v14
	v_and_b32_e32 v112, 3, v112
	v_lshl_add_u32 v86, v86, 23, 0x37800000
	v_and_b32_e32 v87, 0x80000000, v87
	v_cndmask_b32_e32 v13, v13, v112, vcc_lo
	v_lshlrev_b32_e32 v13, 21, v13
	v_or3_b32 v13, v87, v86, v13
.LBB6_4418:                             ;   in Loop: Header=BB6_3292 Depth=3
	s_or_b32 exec_lo, exec_lo, s16
	v_cmp_gt_i16_sdwa s16, v10, v59 src0_sel:BYTE_0 src1_sel:DWORD
	s_mov_b32 s19, 0
	s_and_saveexec_b32 s22, s16
	s_xor_b32 s16, exec_lo, s22
	s_cbranch_execz .LBB6_4796
; %bb.4419:                             ;   in Loop: Header=BB6_3292 Depth=3
	v_cmp_eq_u16_sdwa s23, v10, v60 src0_sel:BYTE_0 src1_sel:DWORD
	s_mov_b32 s19, -1
	s_and_saveexec_b32 s22, s23
; %bb.4420:                             ;   in Loop: Header=BB6_3292 Depth=3
	s_xor_b32 s19, exec_lo, -1
; %bb.4421:                             ;   in Loop: Header=BB6_3292 Depth=3
	s_or_b32 exec_lo, exec_lo, s22
	s_and_b32 s19, s19, exec_lo
	s_or_saveexec_b32 s16, s16
	v_mov_b32_e32 v86, 0x7f800001
	s_xor_b32 exec_lo, exec_lo, s16
	s_cbranch_execnz .LBB6_4797
.LBB6_4422:                             ;   in Loop: Header=BB6_3292 Depth=3
	s_or_b32 exec_lo, exec_lo, s16
	s_and_saveexec_b32 s16, s19
	s_cbranch_execz .LBB6_4424
.LBB6_4423:                             ;   in Loop: Header=BB6_3292 Depth=3
	v_and_b32_e32 v86, 3, v10
	v_bfe_u32 v87, v10, 2, 5
	v_ffbh_u32_e32 v112, v86
	v_cmp_eq_u32_e32 vcc_lo, 0, v87
	v_min_u32_e32 v112, 32, v112
	v_subrev_nc_u32_e32 v113, 29, v112
	v_sub_nc_u32_e32 v112, 30, v112
	v_lshlrev_b32_e32 v113, v113, v10
	v_cndmask_b32_e32 v87, v87, v112, vcc_lo
	v_lshlrev_b32_e32 v112, 24, v10
	v_and_b32_e32 v113, 3, v113
	v_lshl_add_u32 v87, v87, 23, 0x37800000
	v_and_b32_e32 v112, 0x80000000, v112
	v_cndmask_b32_e32 v86, v86, v113, vcc_lo
	v_lshlrev_b32_e32 v86, 21, v86
	v_or3_b32 v86, v112, v87, v86
.LBB6_4424:                             ;   in Loop: Header=BB6_3292 Depth=3
	s_or_b32 exec_lo, exec_lo, s16
	v_mul_f32_e32 v112, v13, v86
	v_and_b32_e32 v13, 0x7f800000, v112
	v_cmp_ne_u32_e32 vcc_lo, 0x7f800000, v13
	v_mov_b32_e32 v13, 0x80
	s_and_saveexec_b32 s19, vcc_lo
	s_cbranch_execz .LBB6_4432
; %bb.4425:                             ;   in Loop: Header=BB6_3292 Depth=3
	v_mov_b32_e32 v13, 0
	s_mov_b32 s22, exec_lo
	v_cmpx_ne_u32_e32 0, v112
	s_cbranch_execz .LBB6_4431
; %bb.4426:                             ;   in Loop: Header=BB6_3292 Depth=3
	v_bfe_u32 v86, v112, 23, 8
	v_and_b32_e32 v13, 0x7fffff, v112
	v_cmp_gt_u32_e64 s16, 0x71, v86
	v_sub_nc_u32_e32 v87, 0x70, v86
	v_cmp_eq_u32_e32 vcc_lo, 0, v86
	v_or_b32_e32 v113, 0x800000, v13
	v_cndmask_b32_e64 v87, 0, v87, s16
	v_cndmask_b32_e32 v13, v113, v13, vcc_lo
	v_cndmask_b32_e64 v87, v87, 0x6f, vcc_lo
	v_lshl_add_u32 v113, 0x200000, v87, -1
	v_lshlrev_b32_e64 v46, v87, 0x100000
	v_and_b32_e32 v113, v113, v13
	v_cmp_eq_u32_e64 s16, v113, v46
	v_lshrrev_b32_e32 v113, v87, v13
	v_add_nc_u32_e32 v13, 0xffffff91, v86
	v_lshrrev_b32_e32 v86, 23, v113
	v_cndmask_b32_e64 v13, v13, 0xffffff92, vcc_lo
	v_xor_b32_e32 v86, 1, v86
	v_add_nc_u32_e32 v13, v87, v13
	v_bfe_u32 v87, v113, 21, 1
	v_add_nc_u32_e32 v87, -1, v87
	v_cndmask_b32_e64 v87, 0, v87, s16
	s_mov_b32 s16, exec_lo
	v_add_nc_u32_e32 v87, v87, v113
	v_and_b32_e32 v87, 0x1fffff, v87
	v_add_nc_u32_e32 v87, v87, v113
                                        ; implicit-def: $vgpr113
	v_cmpx_ne_u32_e64 v13, v86
	s_xor_b32 s16, exec_lo, s16
; %bb.4427:                             ;   in Loop: Header=BB6_3292 Depth=3
	v_cmp_lt_u32_e32 vcc_lo, 0xffffff, v87
	v_sub_nc_u32_e32 v13, v13, v86
	v_cndmask_b32_e64 v86, 0, 1, vcc_lo
	v_add_co_ci_u32_e64 v113, null, 0, v13, vcc_lo
	v_lshrrev_b32_e32 v87, v86, v87
; %bb.4428:                             ;   in Loop: Header=BB6_3292 Depth=3
	s_andn2_saveexec_b32 s16, s16
; %bb.4429:                             ;   in Loop: Header=BB6_3292 Depth=3
	v_bfe_u32 v113, v87, 23, 1
; %bb.4430:                             ;   in Loop: Header=BB6_3292 Depth=3
	s_or_b32 exec_lo, exec_lo, s16
	v_lshrrev_b32_e32 v86, 21, v87
	v_min_i32_e32 v87, 31, v113
	v_cmp_gt_i32_e32 vcc_lo, 32, v113
	v_and_b32_sdwa v13, v112, v60 dst_sel:DWORD dst_unused:UNUSED_PAD src0_sel:BYTE_3 src1_sel:DWORD
	v_lshlrev_b32_e32 v87, 2, v87
	v_cndmask_b32_e32 v86, 3, v86, vcc_lo
	v_and_b32_e32 v87, 0xfc, v87
	v_or_b32_e32 v112, v113, v86
	v_and_b32_e32 v86, 3, v86
	v_cmp_ne_u32_e32 vcc_lo, 0, v112
	v_or3_b32 v13, v87, v13, v86
	v_cndmask_b32_e32 v13, 0, v13, vcc_lo
.LBB6_4431:                             ;   in Loop: Header=BB6_3292 Depth=3
	s_or_b32 exec_lo, exec_lo, s22
.LBB6_4432:                             ;   in Loop: Header=BB6_3292 Depth=3
	s_or_b32 exec_lo, exec_lo, s19
	v_cmp_gt_i16_sdwa s19, v14, v59 src0_sel:BYTE_1 src1_sel:DWORD
	s_mov_b32 s16, 0
	s_and_saveexec_b32 s22, s19
	s_xor_b32 s19, exec_lo, s22
	s_cbranch_execz .LBB6_4798
; %bb.4433:                             ;   in Loop: Header=BB6_3292 Depth=3
	v_cmp_eq_u16_sdwa s23, v14, v60 src0_sel:BYTE_1 src1_sel:DWORD
	s_mov_b32 s16, -1
	s_and_saveexec_b32 s22, s23
; %bb.4434:                             ;   in Loop: Header=BB6_3292 Depth=3
	s_xor_b32 s16, exec_lo, -1
; %bb.4435:                             ;   in Loop: Header=BB6_3292 Depth=3
	s_or_b32 exec_lo, exec_lo, s22
	s_and_b32 s16, s16, exec_lo
	s_or_saveexec_b32 s19, s19
	v_mov_b32_e32 v86, 0x7f800001
	s_xor_b32 exec_lo, exec_lo, s19
	s_cbranch_execnz .LBB6_4799
.LBB6_4436:                             ;   in Loop: Header=BB6_3292 Depth=3
	s_or_b32 exec_lo, exec_lo, s19
	s_and_saveexec_b32 s19, s16
	s_cbranch_execz .LBB6_4438
.LBB6_4437:                             ;   in Loop: Header=BB6_3292 Depth=3
	v_and_b32_sdwa v86, v61, v14 dst_sel:DWORD dst_unused:UNUSED_PAD src0_sel:DWORD src1_sel:BYTE_1
	v_and_b32_e32 v87, 3, v86
	v_bfe_u32 v46, v86, 2, 5
	v_ffbh_u32_e32 v112, v87
	v_cmp_eq_u32_e32 vcc_lo, 0, v46
	v_min_u32_e32 v112, 32, v112
	v_subrev_nc_u32_e32 v113, 29, v112
	v_sub_nc_u32_e32 v112, 30, v112
	v_lshlrev_b32_e32 v86, v113, v86
	v_lshlrev_b32_sdwa v113, v62, v14 dst_sel:DWORD dst_unused:UNUSED_PAD src0_sel:DWORD src1_sel:BYTE_1
	v_cndmask_b32_e32 v112, v46, v112, vcc_lo
	v_and_b32_e32 v86, 3, v86
	v_lshl_add_u32 v112, v112, 23, 0x37800000
	v_cndmask_b32_e32 v86, v87, v86, vcc_lo
	v_and_b32_e32 v87, 0x80000000, v113
	v_lshlrev_b32_e32 v86, 21, v86
	v_or3_b32 v86, v87, v112, v86
.LBB6_4438:                             ;   in Loop: Header=BB6_3292 Depth=3
	s_or_b32 exec_lo, exec_lo, s19
	v_cmp_gt_i16_sdwa s19, v10, v59 src0_sel:BYTE_1 src1_sel:DWORD
	s_mov_b32 s16, 0
	s_and_saveexec_b32 s22, s19
	s_xor_b32 s19, exec_lo, s22
	s_cbranch_execz .LBB6_4800
; %bb.4439:                             ;   in Loop: Header=BB6_3292 Depth=3
	v_cmp_eq_u16_sdwa s23, v10, v60 src0_sel:BYTE_1 src1_sel:DWORD
	s_mov_b32 s16, -1
	s_and_saveexec_b32 s22, s23
; %bb.4440:                             ;   in Loop: Header=BB6_3292 Depth=3
	s_xor_b32 s16, exec_lo, -1
; %bb.4441:                             ;   in Loop: Header=BB6_3292 Depth=3
	s_or_b32 exec_lo, exec_lo, s22
	s_and_b32 s16, s16, exec_lo
	s_or_saveexec_b32 s19, s19
	v_mov_b32_e32 v87, 0x7f800001
	s_xor_b32 exec_lo, exec_lo, s19
	s_cbranch_execnz .LBB6_4801
.LBB6_4442:                             ;   in Loop: Header=BB6_3292 Depth=3
	s_or_b32 exec_lo, exec_lo, s19
	s_and_saveexec_b32 s19, s16
	s_cbranch_execz .LBB6_4444
.LBB6_4443:                             ;   in Loop: Header=BB6_3292 Depth=3
	v_and_b32_sdwa v87, v61, v10 dst_sel:DWORD dst_unused:UNUSED_PAD src0_sel:DWORD src1_sel:BYTE_1
	v_and_b32_e32 v112, 3, v87
	v_bfe_u32 v58, v87, 2, 5
	v_ffbh_u32_e32 v113, v112
	v_cmp_eq_u32_e32 vcc_lo, 0, v58
	v_min_u32_e32 v113, 32, v113
	v_subrev_nc_u32_e32 v46, 29, v113
	v_sub_nc_u32_e32 v113, 30, v113
	v_lshlrev_b32_e32 v87, v46, v87
	v_lshlrev_b32_sdwa v46, v62, v10 dst_sel:DWORD dst_unused:UNUSED_PAD src0_sel:DWORD src1_sel:BYTE_1
	v_cndmask_b32_e32 v113, v58, v113, vcc_lo
	v_and_b32_e32 v87, 3, v87
	v_lshl_add_u32 v113, v113, 23, 0x37800000
	v_cndmask_b32_e32 v87, v112, v87, vcc_lo
	v_and_b32_e32 v112, 0x80000000, v46
	v_lshlrev_b32_e32 v87, 21, v87
	v_or3_b32 v87, v112, v113, v87
.LBB6_4444:                             ;   in Loop: Header=BB6_3292 Depth=3
	s_or_b32 exec_lo, exec_lo, s19
	v_mul_f32_e32 v112, v86, v87
	v_mov_b32_e32 v46, 0x8000
	s_mov_b32 s19, exec_lo
	v_and_b32_e32 v86, 0x7f800000, v112
	v_cmpx_ne_u32_e32 0x7f800000, v86
	s_cbranch_execz .LBB6_4452
; %bb.4445:                             ;   in Loop: Header=BB6_3292 Depth=3
	v_mov_b32_e32 v46, 0
	s_mov_b32 s22, exec_lo
	v_cmpx_ne_u32_e32 0, v112
	s_cbranch_execz .LBB6_4451
; %bb.4446:                             ;   in Loop: Header=BB6_3292 Depth=3
	v_bfe_u32 v87, v112, 23, 8
	v_and_b32_e32 v86, 0x7fffff, v112
	v_cmp_gt_u32_e64 s16, 0x71, v87
	v_sub_nc_u32_e32 v113, 0x70, v87
	v_cmp_eq_u32_e32 vcc_lo, 0, v87
	v_or_b32_e32 v46, 0x800000, v86
	v_cndmask_b32_e64 v113, 0, v113, s16
	v_cndmask_b32_e32 v86, v46, v86, vcc_lo
	v_cndmask_b32_e64 v113, v113, 0x6f, vcc_lo
	v_lshl_add_u32 v46, 0x200000, v113, -1
	v_lshlrev_b32_e64 v58, v113, 0x100000
	v_and_b32_e32 v46, v46, v86
	v_cmp_eq_u32_e64 s16, v46, v58
	v_lshrrev_b32_e32 v46, v113, v86
	v_add_nc_u32_e32 v86, 0xffffff91, v87
	v_lshrrev_b32_e32 v87, 23, v46
	v_cndmask_b32_e64 v86, v86, 0xffffff92, vcc_lo
	v_xor_b32_e32 v87, 1, v87
	v_add_nc_u32_e32 v86, v113, v86
	v_bfe_u32 v113, v46, 21, 1
	v_add_nc_u32_e32 v113, -1, v113
	v_cndmask_b32_e64 v113, 0, v113, s16
	s_mov_b32 s16, exec_lo
	v_add_nc_u32_e32 v113, v113, v46
	v_and_b32_e32 v113, 0x1fffff, v113
	v_add_nc_u32_e32 v113, v113, v46
                                        ; implicit-def: $vgpr46
	v_cmpx_ne_u32_e64 v86, v87
	s_xor_b32 s16, exec_lo, s16
; %bb.4447:                             ;   in Loop: Header=BB6_3292 Depth=3
	v_cmp_lt_u32_e32 vcc_lo, 0xffffff, v113
	v_sub_nc_u32_e32 v86, v86, v87
	v_cndmask_b32_e64 v87, 0, 1, vcc_lo
	v_add_co_ci_u32_e64 v46, null, 0, v86, vcc_lo
	v_lshrrev_b32_e32 v113, v87, v113
; %bb.4448:                             ;   in Loop: Header=BB6_3292 Depth=3
	s_andn2_saveexec_b32 s16, s16
; %bb.4449:                             ;   in Loop: Header=BB6_3292 Depth=3
	v_bfe_u32 v46, v113, 23, 1
; %bb.4450:                             ;   in Loop: Header=BB6_3292 Depth=3
	s_or_b32 exec_lo, exec_lo, s16
	v_and_b32_sdwa v86, v112, v60 dst_sel:DWORD dst_unused:UNUSED_PAD src0_sel:BYTE_3 src1_sel:DWORD
	v_lshrrev_b32_e32 v87, 21, v113
	v_min_i32_e32 v112, 31, v46
	v_cmp_gt_i32_e32 vcc_lo, 32, v46
	v_lshlrev_b32_e32 v112, 2, v112
	v_cndmask_b32_e32 v87, 3, v87, vcc_lo
	v_and_b32_e32 v112, 0xfc, v112
	v_or_b32_e32 v113, v46, v87
	v_and_b32_e32 v87, 3, v87
	v_cmp_ne_u32_e32 vcc_lo, 0, v113
	v_or3_b32 v86, v86, v112, v87
	v_lshlrev_b32_e32 v86, 8, v86
	v_cndmask_b32_e32 v46, 0, v86, vcc_lo
.LBB6_4451:                             ;   in Loop: Header=BB6_3292 Depth=3
	s_or_b32 exec_lo, exec_lo, s22
.LBB6_4452:                             ;   in Loop: Header=BB6_3292 Depth=3
	s_or_b32 exec_lo, exec_lo, s19
	v_and_b32_sdwa v87, v14, v63 dst_sel:DWORD dst_unused:UNUSED_PAD src0_sel:WORD_1 src1_sel:DWORD
	s_mov_b32 s19, 0
	s_mov_b32 s16, exec_lo
	v_cmpx_lt_i16_e32 0x7f, v87
	s_xor_b32 s16, exec_lo, s16
	s_cbranch_execz .LBB6_4802
; %bb.4453:                             ;   in Loop: Header=BB6_3292 Depth=3
	s_mov_b32 s19, -1
	s_mov_b32 s22, exec_lo
	v_cmpx_eq_u16_e32 0x80, v87
; %bb.4454:                             ;   in Loop: Header=BB6_3292 Depth=3
	s_xor_b32 s19, exec_lo, -1
; %bb.4455:                             ;   in Loop: Header=BB6_3292 Depth=3
	s_or_b32 exec_lo, exec_lo, s22
	s_and_b32 s19, s19, exec_lo
                                        ; implicit-def: $vgpr87
	s_or_saveexec_b32 s16, s16
	v_mov_b32_e32 v86, 0x7f800001
	s_xor_b32 exec_lo, exec_lo, s16
	s_cbranch_execnz .LBB6_4803
.LBB6_4456:                             ;   in Loop: Header=BB6_3292 Depth=3
	s_or_b32 exec_lo, exec_lo, s16
	s_and_saveexec_b32 s16, s19
	s_cbranch_execz .LBB6_4458
.LBB6_4457:                             ;   in Loop: Header=BB6_3292 Depth=3
	v_bfe_u32 v86, v14, 16, 2
	v_bfe_u32 v87, v14, 18, 5
	v_ffbh_u32_e32 v112, v86
	v_cmp_eq_u32_e32 vcc_lo, 0, v87
	v_min_u32_e32 v112, 32, v112
	v_subrev_nc_u32_e32 v113, 29, v112
	v_sub_nc_u32_e32 v112, 30, v112
	v_lshlrev_b32_sdwa v113, v113, v14 dst_sel:DWORD dst_unused:UNUSED_PAD src0_sel:DWORD src1_sel:WORD_1
	v_cndmask_b32_e32 v87, v87, v112, vcc_lo
	v_lshlrev_b32_e32 v112, 8, v14
	v_and_b32_e32 v113, 3, v113
	v_lshl_add_u32 v87, v87, 23, 0x37800000
	v_and_b32_e32 v112, 0x80000000, v112
	v_cndmask_b32_e32 v86, v86, v113, vcc_lo
	v_lshlrev_b32_e32 v86, 21, v86
	v_or3_b32 v86, v112, v87, v86
.LBB6_4458:                             ;   in Loop: Header=BB6_3292 Depth=3
	s_or_b32 exec_lo, exec_lo, s16
	v_and_b32_sdwa v112, v10, v63 dst_sel:DWORD dst_unused:UNUSED_PAD src0_sel:WORD_1 src1_sel:DWORD
	s_mov_b32 s19, 0
	s_mov_b32 s16, exec_lo
	v_cmpx_lt_i16_e32 0x7f, v112
	s_xor_b32 s16, exec_lo, s16
	s_cbranch_execz .LBB6_4804
; %bb.4459:                             ;   in Loop: Header=BB6_3292 Depth=3
	s_mov_b32 s19, -1
	s_mov_b32 s22, exec_lo
	v_cmpx_eq_u16_e32 0x80, v112
; %bb.4460:                             ;   in Loop: Header=BB6_3292 Depth=3
	s_xor_b32 s19, exec_lo, -1
; %bb.4461:                             ;   in Loop: Header=BB6_3292 Depth=3
	s_or_b32 exec_lo, exec_lo, s22
	s_and_b32 s19, s19, exec_lo
                                        ; implicit-def: $vgpr112
	s_or_saveexec_b32 s16, s16
	v_mov_b32_e32 v87, 0x7f800001
	s_xor_b32 exec_lo, exec_lo, s16
	s_cbranch_execnz .LBB6_4805
.LBB6_4462:                             ;   in Loop: Header=BB6_3292 Depth=3
	s_or_b32 exec_lo, exec_lo, s16
	s_and_saveexec_b32 s16, s19
	s_cbranch_execz .LBB6_4464
.LBB6_4463:                             ;   in Loop: Header=BB6_3292 Depth=3
	v_bfe_u32 v87, v10, 16, 2
	v_bfe_u32 v112, v10, 18, 5
	v_ffbh_u32_e32 v113, v87
	v_cmp_eq_u32_e32 vcc_lo, 0, v112
	v_min_u32_e32 v113, 32, v113
	v_subrev_nc_u32_e32 v58, 29, v113
	v_sub_nc_u32_e32 v113, 30, v113
	v_lshlrev_b32_sdwa v58, v58, v10 dst_sel:DWORD dst_unused:UNUSED_PAD src0_sel:DWORD src1_sel:WORD_1
	v_cndmask_b32_e32 v112, v112, v113, vcc_lo
	v_lshlrev_b32_e32 v113, 8, v10
	v_and_b32_e32 v58, 3, v58
	v_lshl_add_u32 v112, v112, 23, 0x37800000
	v_and_b32_e32 v113, 0x80000000, v113
	v_cndmask_b32_e32 v87, v87, v58, vcc_lo
	v_lshlrev_b32_e32 v87, 21, v87
	v_or3_b32 v87, v113, v112, v87
.LBB6_4464:                             ;   in Loop: Header=BB6_3292 Depth=3
	s_or_b32 exec_lo, exec_lo, s16
	v_mul_f32_e32 v112, v86, v87
	v_mov_b32_e32 v58, 0x80
	s_mov_b32 s19, exec_lo
	v_and_b32_e32 v86, 0x7f800000, v112
	v_cmpx_ne_u32_e32 0x7f800000, v86
	s_cbranch_execz .LBB6_4472
; %bb.4465:                             ;   in Loop: Header=BB6_3292 Depth=3
	v_mov_b32_e32 v58, 0
	s_mov_b32 s22, exec_lo
	v_cmpx_ne_u32_e32 0, v112
	s_cbranch_execz .LBB6_4471
; %bb.4466:                             ;   in Loop: Header=BB6_3292 Depth=3
	v_bfe_u32 v87, v112, 23, 8
	v_and_b32_e32 v86, 0x7fffff, v112
	v_cmp_gt_u32_e64 s16, 0x71, v87
	v_sub_nc_u32_e32 v113, 0x70, v87
	v_cmp_eq_u32_e32 vcc_lo, 0, v87
	v_or_b32_e32 v58, 0x800000, v86
	v_cndmask_b32_e64 v113, 0, v113, s16
	v_cndmask_b32_e32 v86, v58, v86, vcc_lo
	v_cndmask_b32_e64 v113, v113, 0x6f, vcc_lo
	v_lshl_add_u32 v58, 0x200000, v113, -1
	v_lshlrev_b32_e64 v79, v113, 0x100000
	v_and_b32_e32 v58, v58, v86
	v_cmp_eq_u32_e64 s16, v58, v79
	v_lshrrev_b32_e32 v58, v113, v86
	v_add_nc_u32_e32 v86, 0xffffff91, v87
	v_lshrrev_b32_e32 v87, 23, v58
	v_cndmask_b32_e64 v86, v86, 0xffffff92, vcc_lo
	v_xor_b32_e32 v87, 1, v87
	v_add_nc_u32_e32 v86, v113, v86
	v_bfe_u32 v113, v58, 21, 1
	v_add_nc_u32_e32 v113, -1, v113
	v_cndmask_b32_e64 v113, 0, v113, s16
	s_mov_b32 s16, exec_lo
	v_add_nc_u32_e32 v113, v113, v58
	v_and_b32_e32 v113, 0x1fffff, v113
	v_add_nc_u32_e32 v113, v113, v58
                                        ; implicit-def: $vgpr58
	v_cmpx_ne_u32_e64 v86, v87
	s_xor_b32 s16, exec_lo, s16
; %bb.4467:                             ;   in Loop: Header=BB6_3292 Depth=3
	v_cmp_lt_u32_e32 vcc_lo, 0xffffff, v113
	v_sub_nc_u32_e32 v86, v86, v87
	v_cndmask_b32_e64 v87, 0, 1, vcc_lo
	v_add_co_ci_u32_e64 v58, null, 0, v86, vcc_lo
	v_lshrrev_b32_e32 v113, v87, v113
; %bb.4468:                             ;   in Loop: Header=BB6_3292 Depth=3
	s_andn2_saveexec_b32 s16, s16
; %bb.4469:                             ;   in Loop: Header=BB6_3292 Depth=3
	v_bfe_u32 v58, v113, 23, 1
; %bb.4470:                             ;   in Loop: Header=BB6_3292 Depth=3
	s_or_b32 exec_lo, exec_lo, s16
	v_and_b32_sdwa v86, v112, v60 dst_sel:DWORD dst_unused:UNUSED_PAD src0_sel:BYTE_3 src1_sel:DWORD
	v_lshrrev_b32_e32 v87, 21, v113
	v_min_i32_e32 v112, 31, v58
	v_cmp_gt_i32_e32 vcc_lo, 32, v58
	v_lshlrev_b32_e32 v112, 2, v112
	v_cndmask_b32_e32 v87, 3, v87, vcc_lo
	v_and_b32_e32 v112, 0xfc, v112
	v_or_b32_e32 v113, v58, v87
	v_and_b32_e32 v87, 3, v87
	v_cmp_ne_u32_e32 vcc_lo, 0, v113
	v_or3_b32 v86, v112, v86, v87
	v_cndmask_b32_e32 v58, 0, v86, vcc_lo
.LBB6_4471:                             ;   in Loop: Header=BB6_3292 Depth=3
	s_or_b32 exec_lo, exec_lo, s22
.LBB6_4472:                             ;   in Loop: Header=BB6_3292 Depth=3
	s_or_b32 exec_lo, exec_lo, s19
	v_cmp_gt_i16_sdwa s19, v14, v59 src0_sel:BYTE_3 src1_sel:DWORD
	s_mov_b32 s16, 0
	s_and_saveexec_b32 s22, s19
	s_xor_b32 s19, exec_lo, s22
	s_cbranch_execz .LBB6_4806
; %bb.4473:                             ;   in Loop: Header=BB6_3292 Depth=3
	v_cmp_eq_u16_sdwa s23, v14, v60 src0_sel:BYTE_3 src1_sel:DWORD
	s_mov_b32 s16, -1
	s_and_saveexec_b32 s22, s23
; %bb.4474:                             ;   in Loop: Header=BB6_3292 Depth=3
	s_xor_b32 s16, exec_lo, -1
; %bb.4475:                             ;   in Loop: Header=BB6_3292 Depth=3
	s_or_b32 exec_lo, exec_lo, s22
	s_and_b32 s16, s16, exec_lo
	s_or_saveexec_b32 s19, s19
	v_mov_b32_e32 v86, 0x7f800001
	s_xor_b32 exec_lo, exec_lo, s19
	s_cbranch_execnz .LBB6_4807
.LBB6_4476:                             ;   in Loop: Header=BB6_3292 Depth=3
	s_or_b32 exec_lo, exec_lo, s19
	s_and_saveexec_b32 s19, s16
	s_cbranch_execz .LBB6_4478
.LBB6_4477:                             ;   in Loop: Header=BB6_3292 Depth=3
	v_bfe_u32 v86, v14, 24, 2
	v_bfe_u32 v113, v14, 26, 5
	v_ffbh_u32_e32 v87, v86
	v_cmp_eq_u32_e32 vcc_lo, 0, v113
	v_min_u32_e32 v87, 32, v87
	v_subrev_nc_u32_e32 v112, 29, v87
	v_sub_nc_u32_e32 v87, 30, v87
	v_lshlrev_b32_sdwa v112, v112, v14 dst_sel:DWORD dst_unused:UNUSED_PAD src0_sel:DWORD src1_sel:BYTE_3
	v_cndmask_b32_e32 v87, v113, v87, vcc_lo
	v_and_b32_e32 v14, 0x80000000, v14
	v_and_b32_e32 v112, 3, v112
	v_lshl_add_u32 v87, v87, 23, 0x37800000
	v_cndmask_b32_e32 v86, v86, v112, vcc_lo
	v_lshlrev_b32_e32 v86, 21, v86
	v_or3_b32 v86, v14, v87, v86
.LBB6_4478:                             ;   in Loop: Header=BB6_3292 Depth=3
	s_or_b32 exec_lo, exec_lo, s19
	v_cmp_gt_i16_sdwa s19, v10, v59 src0_sel:BYTE_3 src1_sel:DWORD
	s_mov_b32 s16, 0
	s_and_saveexec_b32 s22, s19
	s_xor_b32 s19, exec_lo, s22
	s_cbranch_execz .LBB6_4808
; %bb.4479:                             ;   in Loop: Header=BB6_3292 Depth=3
	v_cmp_eq_u16_sdwa s23, v10, v60 src0_sel:BYTE_3 src1_sel:DWORD
	s_mov_b32 s16, -1
	s_and_saveexec_b32 s22, s23
; %bb.4480:                             ;   in Loop: Header=BB6_3292 Depth=3
	s_xor_b32 s16, exec_lo, -1
; %bb.4481:                             ;   in Loop: Header=BB6_3292 Depth=3
	s_or_b32 exec_lo, exec_lo, s22
	s_and_b32 s16, s16, exec_lo
	s_or_saveexec_b32 s19, s19
	v_mov_b32_e32 v14, 0x7f800001
	s_xor_b32 exec_lo, exec_lo, s19
	s_cbranch_execnz .LBB6_4809
.LBB6_4482:                             ;   in Loop: Header=BB6_3292 Depth=3
	s_or_b32 exec_lo, exec_lo, s19
	s_and_saveexec_b32 s19, s16
	s_cbranch_execz .LBB6_4484
.LBB6_4483:                             ;   in Loop: Header=BB6_3292 Depth=3
	v_bfe_u32 v14, v10, 24, 2
	v_bfe_u32 v113, v10, 26, 5
	v_ffbh_u32_e32 v87, v14
	v_cmp_eq_u32_e32 vcc_lo, 0, v113
	v_min_u32_e32 v87, 32, v87
	v_subrev_nc_u32_e32 v112, 29, v87
	v_sub_nc_u32_e32 v87, 30, v87
	v_lshlrev_b32_sdwa v112, v112, v10 dst_sel:DWORD dst_unused:UNUSED_PAD src0_sel:DWORD src1_sel:BYTE_3
	v_cndmask_b32_e32 v87, v113, v87, vcc_lo
	v_and_b32_e32 v10, 0x80000000, v10
	v_and_b32_e32 v112, 3, v112
	v_lshl_add_u32 v87, v87, 23, 0x37800000
	v_cndmask_b32_e32 v14, v14, v112, vcc_lo
	v_lshlrev_b32_e32 v14, 21, v14
	v_or3_b32 v14, v10, v87, v14
.LBB6_4484:                             ;   in Loop: Header=BB6_3292 Depth=3
	s_or_b32 exec_lo, exec_lo, s19
	v_mul_f32_e32 v14, v86, v14
	v_and_b32_e32 v10, 0x7f800000, v14
	v_cmp_ne_u32_e32 vcc_lo, 0x7f800000, v10
	v_mov_b32_e32 v10, 0x8000
	s_and_saveexec_b32 s19, vcc_lo
	s_cbranch_execz .LBB6_4492
; %bb.4485:                             ;   in Loop: Header=BB6_3292 Depth=3
	v_mov_b32_e32 v10, 0
	s_mov_b32 s22, exec_lo
	v_cmpx_ne_u32_e32 0, v14
	s_cbranch_execz .LBB6_4491
; %bb.4486:                             ;   in Loop: Header=BB6_3292 Depth=3
	v_bfe_u32 v86, v14, 23, 8
	v_and_b32_e32 v10, 0x7fffff, v14
	v_cmp_gt_u32_e64 s16, 0x71, v86
	v_sub_nc_u32_e32 v87, 0x70, v86
	v_cmp_eq_u32_e32 vcc_lo, 0, v86
	v_or_b32_e32 v112, 0x800000, v10
	v_cndmask_b32_e64 v87, 0, v87, s16
	v_cndmask_b32_e32 v10, v112, v10, vcc_lo
	v_cndmask_b32_e64 v87, v87, 0x6f, vcc_lo
	v_lshl_add_u32 v112, 0x200000, v87, -1
	v_lshlrev_b32_e64 v113, v87, 0x100000
	v_and_b32_e32 v112, v112, v10
	v_cmp_eq_u32_e64 s16, v112, v113
	v_lshrrev_b32_e32 v112, v87, v10
	v_add_nc_u32_e32 v10, 0xffffff91, v86
	v_lshrrev_b32_e32 v86, 23, v112
	v_cndmask_b32_e64 v10, v10, 0xffffff92, vcc_lo
	v_xor_b32_e32 v86, 1, v86
	v_add_nc_u32_e32 v10, v87, v10
	v_bfe_u32 v87, v112, 21, 1
	v_add_nc_u32_e32 v87, -1, v87
	v_cndmask_b32_e64 v87, 0, v87, s16
	s_mov_b32 s16, exec_lo
	v_add_nc_u32_e32 v87, v87, v112
	v_and_b32_e32 v87, 0x1fffff, v87
	v_add_nc_u32_e32 v87, v87, v112
                                        ; implicit-def: $vgpr112
	v_cmpx_ne_u32_e64 v10, v86
	s_xor_b32 s16, exec_lo, s16
; %bb.4487:                             ;   in Loop: Header=BB6_3292 Depth=3
	v_cmp_lt_u32_e32 vcc_lo, 0xffffff, v87
	v_sub_nc_u32_e32 v10, v10, v86
	v_cndmask_b32_e64 v86, 0, 1, vcc_lo
	v_add_co_ci_u32_e64 v112, null, 0, v10, vcc_lo
	v_lshrrev_b32_e32 v87, v86, v87
; %bb.4488:                             ;   in Loop: Header=BB6_3292 Depth=3
	s_andn2_saveexec_b32 s16, s16
; %bb.4489:                             ;   in Loop: Header=BB6_3292 Depth=3
	v_bfe_u32 v112, v87, 23, 1
; %bb.4490:                             ;   in Loop: Header=BB6_3292 Depth=3
	s_or_b32 exec_lo, exec_lo, s16
	v_and_b32_sdwa v10, v14, v60 dst_sel:DWORD dst_unused:UNUSED_PAD src0_sel:BYTE_3 src1_sel:DWORD
	v_lshrrev_b32_e32 v14, 21, v87
	v_min_i32_e32 v86, 31, v112
	v_cmp_gt_i32_e32 vcc_lo, 32, v112
	v_lshlrev_b32_e32 v86, 2, v86
	v_cndmask_b32_e32 v14, 3, v14, vcc_lo
	v_and_b32_e32 v86, 0xfc, v86
	v_or_b32_e32 v87, v112, v14
	v_and_b32_e32 v14, 3, v14
	v_cmp_ne_u32_e32 vcc_lo, 0, v87
	v_or3_b32 v10, v10, v86, v14
	v_lshlrev_b32_e32 v10, 8, v10
	v_cndmask_b32_e32 v10, 0, v10, vcc_lo
.LBB6_4491:                             ;   in Loop: Header=BB6_3292 Depth=3
	s_or_b32 exec_lo, exec_lo, s22
.LBB6_4492:                             ;   in Loop: Header=BB6_3292 Depth=3
	s_or_b32 exec_lo, exec_lo, s19
	v_cmp_gt_i16_sdwa s16, v15, v59 src0_sel:BYTE_0 src1_sel:DWORD
	s_mov_b32 s19, 0
	s_and_saveexec_b32 s22, s16
	s_xor_b32 s16, exec_lo, s22
	s_cbranch_execz .LBB6_4810
; %bb.4493:                             ;   in Loop: Header=BB6_3292 Depth=3
	v_cmp_eq_u16_sdwa s23, v15, v60 src0_sel:BYTE_0 src1_sel:DWORD
	s_mov_b32 s19, -1
	s_and_saveexec_b32 s22, s23
; %bb.4494:                             ;   in Loop: Header=BB6_3292 Depth=3
	s_xor_b32 s19, exec_lo, -1
; %bb.4495:                             ;   in Loop: Header=BB6_3292 Depth=3
	s_or_b32 exec_lo, exec_lo, s22
	s_and_b32 s19, s19, exec_lo
	s_or_saveexec_b32 s16, s16
	v_mov_b32_e32 v14, 0x7f800001
	s_xor_b32 exec_lo, exec_lo, s16
	s_cbranch_execnz .LBB6_4811
.LBB6_4496:                             ;   in Loop: Header=BB6_3292 Depth=3
	s_or_b32 exec_lo, exec_lo, s16
	s_and_saveexec_b32 s16, s19
	s_cbranch_execz .LBB6_4498
.LBB6_4497:                             ;   in Loop: Header=BB6_3292 Depth=3
	v_and_b32_e32 v14, 3, v15
	v_bfe_u32 v86, v15, 2, 5
	v_ffbh_u32_e32 v87, v14
	v_cmp_eq_u32_e32 vcc_lo, 0, v86
	v_min_u32_e32 v87, 32, v87
	v_subrev_nc_u32_e32 v112, 29, v87
	v_sub_nc_u32_e32 v87, 30, v87
	v_lshlrev_b32_e32 v112, v112, v15
	v_cndmask_b32_e32 v86, v86, v87, vcc_lo
	v_lshlrev_b32_e32 v87, 24, v15
	v_and_b32_e32 v112, 3, v112
	v_lshl_add_u32 v86, v86, 23, 0x37800000
	v_and_b32_e32 v87, 0x80000000, v87
	v_cndmask_b32_e32 v14, v14, v112, vcc_lo
	v_lshlrev_b32_e32 v14, 21, v14
	v_or3_b32 v14, v87, v86, v14
.LBB6_4498:                             ;   in Loop: Header=BB6_3292 Depth=3
	s_or_b32 exec_lo, exec_lo, s16
	v_cmp_gt_i16_sdwa s16, v11, v59 src0_sel:BYTE_0 src1_sel:DWORD
	s_mov_b32 s19, 0
	s_and_saveexec_b32 s22, s16
	s_xor_b32 s16, exec_lo, s22
	s_cbranch_execz .LBB6_4812
; %bb.4499:                             ;   in Loop: Header=BB6_3292 Depth=3
	v_cmp_eq_u16_sdwa s23, v11, v60 src0_sel:BYTE_0 src1_sel:DWORD
	s_mov_b32 s19, -1
	s_and_saveexec_b32 s22, s23
; %bb.4500:                             ;   in Loop: Header=BB6_3292 Depth=3
	s_xor_b32 s19, exec_lo, -1
; %bb.4501:                             ;   in Loop: Header=BB6_3292 Depth=3
	s_or_b32 exec_lo, exec_lo, s22
	s_and_b32 s19, s19, exec_lo
	s_or_saveexec_b32 s16, s16
	v_mov_b32_e32 v86, 0x7f800001
	s_xor_b32 exec_lo, exec_lo, s16
	s_cbranch_execnz .LBB6_4813
.LBB6_4502:                             ;   in Loop: Header=BB6_3292 Depth=3
	s_or_b32 exec_lo, exec_lo, s16
	s_and_saveexec_b32 s16, s19
	s_cbranch_execz .LBB6_4504
.LBB6_4503:                             ;   in Loop: Header=BB6_3292 Depth=3
	v_and_b32_e32 v86, 3, v11
	v_bfe_u32 v87, v11, 2, 5
	v_ffbh_u32_e32 v112, v86
	v_cmp_eq_u32_e32 vcc_lo, 0, v87
	v_min_u32_e32 v112, 32, v112
	v_subrev_nc_u32_e32 v113, 29, v112
	v_sub_nc_u32_e32 v112, 30, v112
	v_lshlrev_b32_e32 v113, v113, v11
	v_cndmask_b32_e32 v87, v87, v112, vcc_lo
	v_lshlrev_b32_e32 v112, 24, v11
	v_and_b32_e32 v113, 3, v113
	v_lshl_add_u32 v87, v87, 23, 0x37800000
	v_and_b32_e32 v112, 0x80000000, v112
	v_cndmask_b32_e32 v86, v86, v113, vcc_lo
	v_lshlrev_b32_e32 v86, 21, v86
	v_or3_b32 v86, v112, v87, v86
.LBB6_4504:                             ;   in Loop: Header=BB6_3292 Depth=3
	s_or_b32 exec_lo, exec_lo, s16
	v_mul_f32_e32 v112, v14, v86
	v_and_b32_e32 v14, 0x7f800000, v112
	v_cmp_ne_u32_e32 vcc_lo, 0x7f800000, v14
	v_mov_b32_e32 v14, 0x80
	s_and_saveexec_b32 s19, vcc_lo
	s_cbranch_execz .LBB6_4512
; %bb.4505:                             ;   in Loop: Header=BB6_3292 Depth=3
	v_mov_b32_e32 v14, 0
	s_mov_b32 s22, exec_lo
	v_cmpx_ne_u32_e32 0, v112
	s_cbranch_execz .LBB6_4511
; %bb.4506:                             ;   in Loop: Header=BB6_3292 Depth=3
	v_bfe_u32 v86, v112, 23, 8
	v_and_b32_e32 v14, 0x7fffff, v112
	v_cmp_gt_u32_e64 s16, 0x71, v86
	v_sub_nc_u32_e32 v87, 0x70, v86
	v_cmp_eq_u32_e32 vcc_lo, 0, v86
	v_or_b32_e32 v113, 0x800000, v14
	v_cndmask_b32_e64 v87, 0, v87, s16
	v_cndmask_b32_e32 v14, v113, v14, vcc_lo
	v_cndmask_b32_e64 v87, v87, 0x6f, vcc_lo
	v_lshl_add_u32 v113, 0x200000, v87, -1
	v_lshlrev_b32_e64 v79, v87, 0x100000
	v_and_b32_e32 v113, v113, v14
	v_cmp_eq_u32_e64 s16, v113, v79
	v_lshrrev_b32_e32 v113, v87, v14
	v_add_nc_u32_e32 v14, 0xffffff91, v86
	v_lshrrev_b32_e32 v86, 23, v113
	v_cndmask_b32_e64 v14, v14, 0xffffff92, vcc_lo
	v_xor_b32_e32 v86, 1, v86
	v_add_nc_u32_e32 v14, v87, v14
	v_bfe_u32 v87, v113, 21, 1
	v_add_nc_u32_e32 v87, -1, v87
	v_cndmask_b32_e64 v87, 0, v87, s16
	s_mov_b32 s16, exec_lo
	v_add_nc_u32_e32 v87, v87, v113
	v_and_b32_e32 v87, 0x1fffff, v87
	v_add_nc_u32_e32 v87, v87, v113
                                        ; implicit-def: $vgpr113
	v_cmpx_ne_u32_e64 v14, v86
	s_xor_b32 s16, exec_lo, s16
; %bb.4507:                             ;   in Loop: Header=BB6_3292 Depth=3
	v_cmp_lt_u32_e32 vcc_lo, 0xffffff, v87
	v_sub_nc_u32_e32 v14, v14, v86
	v_cndmask_b32_e64 v86, 0, 1, vcc_lo
	v_add_co_ci_u32_e64 v113, null, 0, v14, vcc_lo
	v_lshrrev_b32_e32 v87, v86, v87
; %bb.4508:                             ;   in Loop: Header=BB6_3292 Depth=3
	s_andn2_saveexec_b32 s16, s16
; %bb.4509:                             ;   in Loop: Header=BB6_3292 Depth=3
	v_bfe_u32 v113, v87, 23, 1
; %bb.4510:                             ;   in Loop: Header=BB6_3292 Depth=3
	s_or_b32 exec_lo, exec_lo, s16
	v_lshrrev_b32_e32 v86, 21, v87
	v_min_i32_e32 v87, 31, v113
	v_cmp_gt_i32_e32 vcc_lo, 32, v113
	v_and_b32_sdwa v14, v112, v60 dst_sel:DWORD dst_unused:UNUSED_PAD src0_sel:BYTE_3 src1_sel:DWORD
	v_lshlrev_b32_e32 v87, 2, v87
	v_cndmask_b32_e32 v86, 3, v86, vcc_lo
	v_and_b32_e32 v87, 0xfc, v87
	v_or_b32_e32 v112, v113, v86
	v_and_b32_e32 v86, 3, v86
	v_cmp_ne_u32_e32 vcc_lo, 0, v112
	v_or3_b32 v14, v87, v14, v86
	v_cndmask_b32_e32 v14, 0, v14, vcc_lo
.LBB6_4511:                             ;   in Loop: Header=BB6_3292 Depth=3
	s_or_b32 exec_lo, exec_lo, s22
.LBB6_4512:                             ;   in Loop: Header=BB6_3292 Depth=3
	s_or_b32 exec_lo, exec_lo, s19
	v_cmp_gt_i16_sdwa s19, v15, v59 src0_sel:BYTE_1 src1_sel:DWORD
	s_mov_b32 s16, 0
	s_and_saveexec_b32 s22, s19
	s_xor_b32 s19, exec_lo, s22
	s_cbranch_execz .LBB6_4814
; %bb.4513:                             ;   in Loop: Header=BB6_3292 Depth=3
	v_cmp_eq_u16_sdwa s23, v15, v60 src0_sel:BYTE_1 src1_sel:DWORD
	s_mov_b32 s16, -1
	s_and_saveexec_b32 s22, s23
; %bb.4514:                             ;   in Loop: Header=BB6_3292 Depth=3
	s_xor_b32 s16, exec_lo, -1
; %bb.4515:                             ;   in Loop: Header=BB6_3292 Depth=3
	s_or_b32 exec_lo, exec_lo, s22
	s_and_b32 s16, s16, exec_lo
	s_or_saveexec_b32 s19, s19
	v_mov_b32_e32 v86, 0x7f800001
	s_xor_b32 exec_lo, exec_lo, s19
	s_cbranch_execnz .LBB6_4815
.LBB6_4516:                             ;   in Loop: Header=BB6_3292 Depth=3
	s_or_b32 exec_lo, exec_lo, s19
	s_and_saveexec_b32 s19, s16
	s_cbranch_execz .LBB6_4518
.LBB6_4517:                             ;   in Loop: Header=BB6_3292 Depth=3
	v_and_b32_sdwa v86, v61, v15 dst_sel:DWORD dst_unused:UNUSED_PAD src0_sel:DWORD src1_sel:BYTE_1
	v_and_b32_e32 v87, 3, v86
	v_bfe_u32 v79, v86, 2, 5
	v_ffbh_u32_e32 v112, v87
	v_cmp_eq_u32_e32 vcc_lo, 0, v79
	v_min_u32_e32 v112, 32, v112
	v_subrev_nc_u32_e32 v113, 29, v112
	v_sub_nc_u32_e32 v112, 30, v112
	v_lshlrev_b32_e32 v86, v113, v86
	v_lshlrev_b32_sdwa v113, v62, v15 dst_sel:DWORD dst_unused:UNUSED_PAD src0_sel:DWORD src1_sel:BYTE_1
	v_cndmask_b32_e32 v112, v79, v112, vcc_lo
	v_and_b32_e32 v86, 3, v86
	v_lshl_add_u32 v112, v112, 23, 0x37800000
	v_cndmask_b32_e32 v86, v87, v86, vcc_lo
	v_and_b32_e32 v87, 0x80000000, v113
	v_lshlrev_b32_e32 v86, 21, v86
	v_or3_b32 v86, v87, v112, v86
.LBB6_4518:                             ;   in Loop: Header=BB6_3292 Depth=3
	s_or_b32 exec_lo, exec_lo, s19
	v_cmp_gt_i16_sdwa s19, v11, v59 src0_sel:BYTE_1 src1_sel:DWORD
	s_mov_b32 s16, 0
	s_and_saveexec_b32 s22, s19
	s_xor_b32 s19, exec_lo, s22
	s_cbranch_execz .LBB6_4816
; %bb.4519:                             ;   in Loop: Header=BB6_3292 Depth=3
	v_cmp_eq_u16_sdwa s23, v11, v60 src0_sel:BYTE_1 src1_sel:DWORD
	s_mov_b32 s16, -1
	s_and_saveexec_b32 s22, s23
; %bb.4520:                             ;   in Loop: Header=BB6_3292 Depth=3
	s_xor_b32 s16, exec_lo, -1
; %bb.4521:                             ;   in Loop: Header=BB6_3292 Depth=3
	s_or_b32 exec_lo, exec_lo, s22
	s_and_b32 s16, s16, exec_lo
	s_or_saveexec_b32 s19, s19
	v_mov_b32_e32 v87, 0x7f800001
	s_xor_b32 exec_lo, exec_lo, s19
	s_cbranch_execnz .LBB6_4817
.LBB6_4522:                             ;   in Loop: Header=BB6_3292 Depth=3
	s_or_b32 exec_lo, exec_lo, s19
	s_and_saveexec_b32 s19, s16
	s_cbranch_execz .LBB6_4524
.LBB6_4523:                             ;   in Loop: Header=BB6_3292 Depth=3
	v_and_b32_sdwa v87, v61, v11 dst_sel:DWORD dst_unused:UNUSED_PAD src0_sel:DWORD src1_sel:BYTE_1
	v_and_b32_e32 v112, 3, v87
	v_bfe_u32 v90, v87, 2, 5
	v_ffbh_u32_e32 v113, v112
	v_cmp_eq_u32_e32 vcc_lo, 0, v90
	v_min_u32_e32 v113, 32, v113
	v_subrev_nc_u32_e32 v79, 29, v113
	v_sub_nc_u32_e32 v113, 30, v113
	v_lshlrev_b32_e32 v87, v79, v87
	v_lshlrev_b32_sdwa v79, v62, v11 dst_sel:DWORD dst_unused:UNUSED_PAD src0_sel:DWORD src1_sel:BYTE_1
	v_cndmask_b32_e32 v113, v90, v113, vcc_lo
	v_and_b32_e32 v87, 3, v87
	v_lshl_add_u32 v113, v113, 23, 0x37800000
	v_cndmask_b32_e32 v87, v112, v87, vcc_lo
	v_and_b32_e32 v112, 0x80000000, v79
	v_lshlrev_b32_e32 v87, 21, v87
	v_or3_b32 v87, v112, v113, v87
.LBB6_4524:                             ;   in Loop: Header=BB6_3292 Depth=3
	s_or_b32 exec_lo, exec_lo, s19
	v_mul_f32_e32 v113, v86, v87
	v_mov_b32_e32 v112, 0x8000
	s_mov_b32 s19, exec_lo
	v_and_b32_e32 v86, 0x7f800000, v113
	v_cmpx_ne_u32_e32 0x7f800000, v86
	s_cbranch_execz .LBB6_4532
; %bb.4525:                             ;   in Loop: Header=BB6_3292 Depth=3
	v_mov_b32_e32 v112, 0
	s_mov_b32 s22, exec_lo
	v_cmpx_ne_u32_e32 0, v113
	s_cbranch_execz .LBB6_4531
; %bb.4526:                             ;   in Loop: Header=BB6_3292 Depth=3
	v_bfe_u32 v87, v113, 23, 8
	v_and_b32_e32 v86, 0x7fffff, v113
	v_cmp_gt_u32_e64 s16, 0x71, v87
	v_sub_nc_u32_e32 v112, 0x70, v87
	v_cmp_eq_u32_e32 vcc_lo, 0, v87
	v_or_b32_e32 v79, 0x800000, v86
	v_cndmask_b32_e64 v112, 0, v112, s16
	v_cndmask_b32_e32 v86, v79, v86, vcc_lo
	v_cndmask_b32_e64 v112, v112, 0x6f, vcc_lo
	v_lshl_add_u32 v79, 0x200000, v112, -1
	v_lshlrev_b32_e64 v90, v112, 0x100000
	v_and_b32_e32 v79, v79, v86
	v_cmp_eq_u32_e64 s16, v79, v90
	v_lshrrev_b32_e32 v79, v112, v86
	v_add_nc_u32_e32 v86, 0xffffff91, v87
                                        ; implicit-def: $vgpr90
	v_lshrrev_b32_e32 v87, 23, v79
	v_cndmask_b32_e64 v86, v86, 0xffffff92, vcc_lo
	v_xor_b32_e32 v87, 1, v87
	v_add_nc_u32_e32 v86, v112, v86
	v_bfe_u32 v112, v79, 21, 1
	v_add_nc_u32_e32 v112, -1, v112
	v_cndmask_b32_e64 v112, 0, v112, s16
	s_mov_b32 s16, exec_lo
	v_add_nc_u32_e32 v112, v112, v79
	v_and_b32_e32 v112, 0x1fffff, v112
	v_add_nc_u32_e32 v112, v112, v79
	v_cmpx_ne_u32_e64 v86, v87
	s_xor_b32 s16, exec_lo, s16
; %bb.4527:                             ;   in Loop: Header=BB6_3292 Depth=3
	v_cmp_lt_u32_e32 vcc_lo, 0xffffff, v112
	v_sub_nc_u32_e32 v86, v86, v87
	v_cndmask_b32_e64 v87, 0, 1, vcc_lo
	v_add_co_ci_u32_e64 v90, null, 0, v86, vcc_lo
	v_lshrrev_b32_e32 v112, v87, v112
; %bb.4528:                             ;   in Loop: Header=BB6_3292 Depth=3
	s_andn2_saveexec_b32 s16, s16
; %bb.4529:                             ;   in Loop: Header=BB6_3292 Depth=3
	v_bfe_u32 v90, v112, 23, 1
; %bb.4530:                             ;   in Loop: Header=BB6_3292 Depth=3
	s_or_b32 exec_lo, exec_lo, s16
	v_lshrrev_b32_e32 v87, 21, v112
	v_min_i32_e32 v112, 31, v90
	v_cmp_gt_i32_e32 vcc_lo, 32, v90
	v_and_b32_sdwa v86, v113, v60 dst_sel:DWORD dst_unused:UNUSED_PAD src0_sel:BYTE_3 src1_sel:DWORD
	v_lshlrev_b32_e32 v112, 2, v112
	v_cndmask_b32_e32 v87, 3, v87, vcc_lo
	v_and_b32_e32 v112, 0xfc, v112
	v_or_b32_e32 v113, v90, v87
	v_and_b32_e32 v87, 3, v87
	v_cmp_ne_u32_e32 vcc_lo, 0, v113
	v_or3_b32 v86, v86, v112, v87
	v_lshlrev_b32_e32 v86, 8, v86
	v_cndmask_b32_e32 v112, 0, v86, vcc_lo
.LBB6_4531:                             ;   in Loop: Header=BB6_3292 Depth=3
	s_or_b32 exec_lo, exec_lo, s22
.LBB6_4532:                             ;   in Loop: Header=BB6_3292 Depth=3
	s_or_b32 exec_lo, exec_lo, s19
	v_and_b32_sdwa v87, v15, v63 dst_sel:DWORD dst_unused:UNUSED_PAD src0_sel:WORD_1 src1_sel:DWORD
	s_mov_b32 s19, 0
	s_mov_b32 s16, exec_lo
	v_cmpx_lt_i16_e32 0x7f, v87
	s_xor_b32 s16, exec_lo, s16
	s_cbranch_execz .LBB6_4818
; %bb.4533:                             ;   in Loop: Header=BB6_3292 Depth=3
	s_mov_b32 s19, -1
	s_mov_b32 s22, exec_lo
	v_cmpx_eq_u16_e32 0x80, v87
; %bb.4534:                             ;   in Loop: Header=BB6_3292 Depth=3
	s_xor_b32 s19, exec_lo, -1
; %bb.4535:                             ;   in Loop: Header=BB6_3292 Depth=3
	s_or_b32 exec_lo, exec_lo, s22
	s_and_b32 s19, s19, exec_lo
                                        ; implicit-def: $vgpr87
	s_or_saveexec_b32 s16, s16
	v_mov_b32_e32 v86, 0x7f800001
	s_xor_b32 exec_lo, exec_lo, s16
	s_cbranch_execnz .LBB6_4819
.LBB6_4536:                             ;   in Loop: Header=BB6_3292 Depth=3
	s_or_b32 exec_lo, exec_lo, s16
	s_and_saveexec_b32 s16, s19
	s_cbranch_execz .LBB6_4538
.LBB6_4537:                             ;   in Loop: Header=BB6_3292 Depth=3
	v_bfe_u32 v86, v15, 16, 2
	v_bfe_u32 v87, v15, 18, 5
	v_ffbh_u32_e32 v113, v86
	v_cmp_eq_u32_e32 vcc_lo, 0, v87
	v_min_u32_e32 v113, 32, v113
	v_subrev_nc_u32_e32 v79, 29, v113
	v_sub_nc_u32_e32 v113, 30, v113
	v_lshlrev_b32_sdwa v79, v79, v15 dst_sel:DWORD dst_unused:UNUSED_PAD src0_sel:DWORD src1_sel:WORD_1
	v_cndmask_b32_e32 v87, v87, v113, vcc_lo
	v_lshlrev_b32_e32 v113, 8, v15
	v_and_b32_e32 v79, 3, v79
	v_lshl_add_u32 v87, v87, 23, 0x37800000
	v_and_b32_e32 v113, 0x80000000, v113
	v_cndmask_b32_e32 v86, v86, v79, vcc_lo
	v_lshlrev_b32_e32 v86, 21, v86
	v_or3_b32 v86, v113, v87, v86
.LBB6_4538:                             ;   in Loop: Header=BB6_3292 Depth=3
	s_or_b32 exec_lo, exec_lo, s16
	v_and_b32_sdwa v113, v11, v63 dst_sel:DWORD dst_unused:UNUSED_PAD src0_sel:WORD_1 src1_sel:DWORD
	s_mov_b32 s19, 0
	s_mov_b32 s16, exec_lo
	v_cmpx_lt_i16_e32 0x7f, v113
	s_xor_b32 s16, exec_lo, s16
	s_cbranch_execz .LBB6_4820
; %bb.4539:                             ;   in Loop: Header=BB6_3292 Depth=3
	s_mov_b32 s19, -1
	s_mov_b32 s22, exec_lo
	v_cmpx_eq_u16_e32 0x80, v113
; %bb.4540:                             ;   in Loop: Header=BB6_3292 Depth=3
	s_xor_b32 s19, exec_lo, -1
; %bb.4541:                             ;   in Loop: Header=BB6_3292 Depth=3
	s_or_b32 exec_lo, exec_lo, s22
	s_and_b32 s19, s19, exec_lo
                                        ; implicit-def: $vgpr113
	s_or_saveexec_b32 s16, s16
	v_mov_b32_e32 v87, 0x7f800001
	s_xor_b32 exec_lo, exec_lo, s16
	s_cbranch_execnz .LBB6_4821
.LBB6_4542:                             ;   in Loop: Header=BB6_3292 Depth=3
	s_or_b32 exec_lo, exec_lo, s16
	s_and_saveexec_b32 s16, s19
	s_cbranch_execz .LBB6_4544
.LBB6_4543:                             ;   in Loop: Header=BB6_3292 Depth=3
	v_bfe_u32 v87, v11, 16, 2
	v_bfe_u32 v113, v11, 18, 5
	v_ffbh_u32_e32 v79, v87
	v_cmp_eq_u32_e32 vcc_lo, 0, v113
	v_min_u32_e32 v79, 32, v79
	v_subrev_nc_u32_e32 v90, 29, v79
	v_sub_nc_u32_e32 v79, 30, v79
	v_lshlrev_b32_sdwa v90, v90, v11 dst_sel:DWORD dst_unused:UNUSED_PAD src0_sel:DWORD src1_sel:WORD_1
	v_cndmask_b32_e32 v113, v113, v79, vcc_lo
	v_lshlrev_b32_e32 v79, 8, v11
	v_and_b32_e32 v90, 3, v90
	v_lshl_add_u32 v113, v113, 23, 0x37800000
	v_and_b32_e32 v79, 0x80000000, v79
	v_cndmask_b32_e32 v87, v87, v90, vcc_lo
	v_lshlrev_b32_e32 v87, 21, v87
	v_or3_b32 v87, v79, v113, v87
.LBB6_4544:                             ;   in Loop: Header=BB6_3292 Depth=3
	s_or_b32 exec_lo, exec_lo, s16
	v_mul_f32_e32 v108, v86, v87
	v_mov_b32_e32 v113, 0x80
	s_mov_b32 s19, exec_lo
	v_and_b32_e32 v86, 0x7f800000, v108
	v_cmpx_ne_u32_e32 0x7f800000, v86
	s_cbranch_execz .LBB6_4552
; %bb.4545:                             ;   in Loop: Header=BB6_3292 Depth=3
	v_mov_b32_e32 v113, 0
	s_mov_b32 s22, exec_lo
	v_cmpx_ne_u32_e32 0, v108
	s_cbranch_execz .LBB6_4551
; %bb.4546:                             ;   in Loop: Header=BB6_3292 Depth=3
	v_bfe_u32 v87, v108, 23, 8
	v_and_b32_e32 v86, 0x7fffff, v108
	v_cmp_gt_u32_e64 s16, 0x71, v87
	v_sub_nc_u32_e32 v113, 0x70, v87
	v_cmp_eq_u32_e32 vcc_lo, 0, v87
	v_or_b32_e32 v79, 0x800000, v86
	v_cndmask_b32_e64 v113, 0, v113, s16
	v_cndmask_b32_e32 v86, v79, v86, vcc_lo
	v_cndmask_b32_e64 v113, v113, 0x6f, vcc_lo
	v_lshl_add_u32 v79, 0x200000, v113, -1
	v_lshlrev_b32_e64 v90, v113, 0x100000
	v_and_b32_e32 v79, v79, v86
	v_cmp_eq_u32_e64 s16, v79, v90
	v_lshrrev_b32_e32 v79, v113, v86
	v_add_nc_u32_e32 v86, 0xffffff91, v87
                                        ; implicit-def: $vgpr90
	v_lshrrev_b32_e32 v87, 23, v79
	v_cndmask_b32_e64 v86, v86, 0xffffff92, vcc_lo
	v_xor_b32_e32 v87, 1, v87
	v_add_nc_u32_e32 v86, v113, v86
	v_bfe_u32 v113, v79, 21, 1
	v_add_nc_u32_e32 v113, -1, v113
	v_cndmask_b32_e64 v113, 0, v113, s16
	s_mov_b32 s16, exec_lo
	v_add_nc_u32_e32 v113, v113, v79
	v_and_b32_e32 v113, 0x1fffff, v113
	v_add_nc_u32_e32 v113, v113, v79
	v_cmpx_ne_u32_e64 v86, v87
	s_xor_b32 s16, exec_lo, s16
; %bb.4547:                             ;   in Loop: Header=BB6_3292 Depth=3
	v_cmp_lt_u32_e32 vcc_lo, 0xffffff, v113
	v_sub_nc_u32_e32 v86, v86, v87
	v_cndmask_b32_e64 v87, 0, 1, vcc_lo
	v_add_co_ci_u32_e64 v90, null, 0, v86, vcc_lo
	v_lshrrev_b32_e32 v113, v87, v113
; %bb.4548:                             ;   in Loop: Header=BB6_3292 Depth=3
	s_andn2_saveexec_b32 s16, s16
; %bb.4549:                             ;   in Loop: Header=BB6_3292 Depth=3
	v_bfe_u32 v90, v113, 23, 1
; %bb.4550:                             ;   in Loop: Header=BB6_3292 Depth=3
	s_or_b32 exec_lo, exec_lo, s16
	v_lshrrev_b32_e32 v87, 21, v113
	v_min_i32_e32 v113, 31, v90
	v_cmp_gt_i32_e32 vcc_lo, 32, v90
	v_and_b32_sdwa v86, v108, v60 dst_sel:DWORD dst_unused:UNUSED_PAD src0_sel:BYTE_3 src1_sel:DWORD
	v_lshlrev_b32_e32 v113, 2, v113
	v_cndmask_b32_e32 v87, 3, v87, vcc_lo
	v_and_b32_e32 v113, 0xfc, v113
	v_or_b32_e32 v79, v90, v87
	v_and_b32_e32 v87, 3, v87
	v_cmp_ne_u32_e32 vcc_lo, 0, v79
	v_or3_b32 v86, v113, v86, v87
	v_cndmask_b32_e32 v113, 0, v86, vcc_lo
.LBB6_4551:                             ;   in Loop: Header=BB6_3292 Depth=3
	s_or_b32 exec_lo, exec_lo, s22
.LBB6_4552:                             ;   in Loop: Header=BB6_3292 Depth=3
	s_or_b32 exec_lo, exec_lo, s19
	v_cmp_gt_i16_sdwa s19, v15, v59 src0_sel:BYTE_3 src1_sel:DWORD
	s_mov_b32 s16, 0
	s_and_saveexec_b32 s22, s19
	s_xor_b32 s19, exec_lo, s22
	s_cbranch_execz .LBB6_4822
; %bb.4553:                             ;   in Loop: Header=BB6_3292 Depth=3
	v_cmp_eq_u16_sdwa s23, v15, v60 src0_sel:BYTE_3 src1_sel:DWORD
	s_mov_b32 s16, -1
	s_and_saveexec_b32 s22, s23
; %bb.4554:                             ;   in Loop: Header=BB6_3292 Depth=3
	s_xor_b32 s16, exec_lo, -1
; %bb.4555:                             ;   in Loop: Header=BB6_3292 Depth=3
	s_or_b32 exec_lo, exec_lo, s22
	s_and_b32 s16, s16, exec_lo
	s_or_saveexec_b32 s19, s19
	v_mov_b32_e32 v86, 0x7f800001
	s_xor_b32 exec_lo, exec_lo, s19
	s_cbranch_execnz .LBB6_4823
.LBB6_4556:                             ;   in Loop: Header=BB6_3292 Depth=3
	s_or_b32 exec_lo, exec_lo, s19
	s_and_saveexec_b32 s19, s16
	s_cbranch_execz .LBB6_4558
.LBB6_4557:                             ;   in Loop: Header=BB6_3292 Depth=3
	v_bfe_u32 v86, v15, 24, 2
	v_bfe_u32 v90, v15, 26, 5
	v_ffbh_u32_e32 v87, v86
	v_cmp_eq_u32_e32 vcc_lo, 0, v90
	v_min_u32_e32 v87, 32, v87
	v_subrev_nc_u32_e32 v79, 29, v87
	v_sub_nc_u32_e32 v87, 30, v87
	v_lshlrev_b32_sdwa v79, v79, v15 dst_sel:DWORD dst_unused:UNUSED_PAD src0_sel:DWORD src1_sel:BYTE_3
	v_cndmask_b32_e32 v87, v90, v87, vcc_lo
	v_and_b32_e32 v15, 0x80000000, v15
	v_and_b32_e32 v79, 3, v79
	v_lshl_add_u32 v87, v87, 23, 0x37800000
	v_cndmask_b32_e32 v86, v86, v79, vcc_lo
	v_lshlrev_b32_e32 v86, 21, v86
	v_or3_b32 v86, v15, v87, v86
.LBB6_4558:                             ;   in Loop: Header=BB6_3292 Depth=3
	s_or_b32 exec_lo, exec_lo, s19
	v_cmp_gt_i16_sdwa s19, v11, v59 src0_sel:BYTE_3 src1_sel:DWORD
	s_mov_b32 s16, 0
	s_and_saveexec_b32 s22, s19
	s_xor_b32 s19, exec_lo, s22
	s_cbranch_execz .LBB6_4824
; %bb.4559:                             ;   in Loop: Header=BB6_3292 Depth=3
	v_cmp_eq_u16_sdwa s23, v11, v60 src0_sel:BYTE_3 src1_sel:DWORD
	s_mov_b32 s16, -1
	s_and_saveexec_b32 s22, s23
; %bb.4560:                             ;   in Loop: Header=BB6_3292 Depth=3
	s_xor_b32 s16, exec_lo, -1
; %bb.4561:                             ;   in Loop: Header=BB6_3292 Depth=3
	s_or_b32 exec_lo, exec_lo, s22
	s_and_b32 s16, s16, exec_lo
	s_or_saveexec_b32 s19, s19
	v_mov_b32_e32 v15, 0x7f800001
	s_xor_b32 exec_lo, exec_lo, s19
	s_cbranch_execnz .LBB6_4825
.LBB6_4562:                             ;   in Loop: Header=BB6_3292 Depth=3
	s_or_b32 exec_lo, exec_lo, s19
	s_and_saveexec_b32 s19, s16
	s_cbranch_execz .LBB6_4564
.LBB6_4563:                             ;   in Loop: Header=BB6_3292 Depth=3
	v_bfe_u32 v15, v11, 24, 2
	v_bfe_u32 v90, v11, 26, 5
	v_ffbh_u32_e32 v87, v15
	v_cmp_eq_u32_e32 vcc_lo, 0, v90
	v_min_u32_e32 v87, 32, v87
	v_subrev_nc_u32_e32 v79, 29, v87
	v_sub_nc_u32_e32 v87, 30, v87
	v_lshlrev_b32_sdwa v79, v79, v11 dst_sel:DWORD dst_unused:UNUSED_PAD src0_sel:DWORD src1_sel:BYTE_3
	v_cndmask_b32_e32 v87, v90, v87, vcc_lo
	v_and_b32_e32 v11, 0x80000000, v11
	v_and_b32_e32 v79, 3, v79
	v_lshl_add_u32 v87, v87, 23, 0x37800000
	v_cndmask_b32_e32 v15, v15, v79, vcc_lo
	v_lshlrev_b32_e32 v15, 21, v15
	v_or3_b32 v15, v11, v87, v15
.LBB6_4564:                             ;   in Loop: Header=BB6_3292 Depth=3
	s_or_b32 exec_lo, exec_lo, s19
	v_mul_f32_e32 v11, v86, v15
	v_and_b32_e32 v15, 0x7f800000, v11
	v_cmp_ne_u32_e32 vcc_lo, 0x7f800000, v15
	v_mov_b32_e32 v15, 0x8000
	s_and_saveexec_b32 s19, vcc_lo
	s_cbranch_execz .LBB6_3291
; %bb.4565:                             ;   in Loop: Header=BB6_3292 Depth=3
	v_mov_b32_e32 v15, 0
	s_mov_b32 s22, exec_lo
	v_cmpx_ne_u32_e32 0, v11
	s_cbranch_execz .LBB6_3290
; %bb.4566:                             ;   in Loop: Header=BB6_3292 Depth=3
	v_bfe_u32 v86, v11, 23, 8
	v_and_b32_e32 v15, 0x7fffff, v11
	v_cmp_gt_u32_e64 s16, 0x71, v86
	v_sub_nc_u32_e32 v87, 0x70, v86
	v_cmp_eq_u32_e32 vcc_lo, 0, v86
	v_or_b32_e32 v79, 0x800000, v15
	v_cndmask_b32_e64 v87, 0, v87, s16
	v_cndmask_b32_e32 v15, v79, v15, vcc_lo
	v_cndmask_b32_e64 v87, v87, 0x6f, vcc_lo
	v_lshl_add_u32 v79, 0x200000, v87, -1
	v_lshlrev_b32_e64 v90, v87, 0x100000
	v_and_b32_e32 v79, v79, v15
	v_cmp_eq_u32_e64 s16, v79, v90
	v_lshrrev_b32_e32 v79, v87, v15
	v_add_nc_u32_e32 v15, 0xffffff91, v86
                                        ; implicit-def: $vgpr90
	v_lshrrev_b32_e32 v86, 23, v79
	v_cndmask_b32_e64 v15, v15, 0xffffff92, vcc_lo
	v_xor_b32_e32 v86, 1, v86
	v_add_nc_u32_e32 v15, v87, v15
	v_bfe_u32 v87, v79, 21, 1
	v_add_nc_u32_e32 v87, -1, v87
	v_cndmask_b32_e64 v87, 0, v87, s16
	s_mov_b32 s16, exec_lo
	v_add_nc_u32_e32 v87, v87, v79
	v_and_b32_e32 v87, 0x1fffff, v87
	v_add_nc_u32_e32 v87, v87, v79
	v_cmpx_ne_u32_e64 v15, v86
	s_xor_b32 s16, exec_lo, s16
; %bb.4567:                             ;   in Loop: Header=BB6_3292 Depth=3
	v_cmp_lt_u32_e32 vcc_lo, 0xffffff, v87
	v_sub_nc_u32_e32 v15, v15, v86
	v_cndmask_b32_e64 v86, 0, 1, vcc_lo
	v_add_co_ci_u32_e64 v90, null, 0, v15, vcc_lo
	v_lshrrev_b32_e32 v87, v86, v87
; %bb.4568:                             ;   in Loop: Header=BB6_3292 Depth=3
	s_andn2_saveexec_b32 s16, s16
	s_cbranch_execz .LBB6_3289
; %bb.4569:                             ;   in Loop: Header=BB6_3292 Depth=3
	v_bfe_u32 v90, v87, 23, 1
	s_branch .LBB6_3289
.LBB6_4570:                             ;   in Loop: Header=BB6_3292 Depth=3
	s_or_saveexec_b32 s16, s16
	v_mov_b32_e32 v1, 0x7f800001
	s_xor_b32 exec_lo, exec_lo, s16
	s_cbranch_execz .LBB6_3296
.LBB6_4571:                             ;   in Loop: Header=BB6_3292 Depth=3
	v_cmp_ne_u16_sdwa s22, v48, v2 src0_sel:BYTE_0 src1_sel:DWORD
	v_mov_b32_e32 v1, 0
	s_andn2_b32 s19, s19, exec_lo
	s_and_b32 s22, s22, exec_lo
	s_or_b32 s19, s19, s22
	s_or_b32 exec_lo, exec_lo, s16
	s_and_saveexec_b32 s16, s19
	s_cbranch_execnz .LBB6_3297
	s_branch .LBB6_3298
.LBB6_4572:                             ;   in Loop: Header=BB6_3292 Depth=3
	s_or_saveexec_b32 s16, s16
	v_mov_b32_e32 v4, 0x7f800001
	s_xor_b32 exec_lo, exec_lo, s16
	s_cbranch_execz .LBB6_3302
.LBB6_4573:                             ;   in Loop: Header=BB6_3292 Depth=3
	v_cmp_ne_u16_sdwa s22, v36, v2 src0_sel:BYTE_0 src1_sel:DWORD
	v_mov_b32_e32 v4, 0
	s_andn2_b32 s19, s19, exec_lo
	s_and_b32 s22, s22, exec_lo
	s_or_b32 s19, s19, s22
	s_or_b32 exec_lo, exec_lo, s16
	s_and_saveexec_b32 s16, s19
	s_cbranch_execnz .LBB6_3303
	s_branch .LBB6_3304
.LBB6_4574:                             ;   in Loop: Header=BB6_3292 Depth=3
	s_or_saveexec_b32 s16, s16
	v_mov_b32_e32 v1, 0x7f800001
	s_xor_b32 exec_lo, exec_lo, s16
	s_cbranch_execz .LBB6_3316
.LBB6_4575:                             ;   in Loop: Header=BB6_3292 Depth=3
	v_cmp_ne_u16_sdwa s22, v48, v2 src0_sel:BYTE_1 src1_sel:DWORD
	v_mov_b32_e32 v1, 0
	s_andn2_b32 s19, s19, exec_lo
	s_and_b32 s22, s22, exec_lo
	s_or_b32 s19, s19, s22
	s_or_b32 exec_lo, exec_lo, s16
	s_and_saveexec_b32 s16, s19
	s_cbranch_execnz .LBB6_3317
	s_branch .LBB6_3318
.LBB6_4576:                             ;   in Loop: Header=BB6_3292 Depth=3
	s_or_saveexec_b32 s16, s16
	v_mov_b32_e32 v4, 0x7f800001
	s_xor_b32 exec_lo, exec_lo, s16
	s_cbranch_execz .LBB6_3322
.LBB6_4577:                             ;   in Loop: Header=BB6_3292 Depth=3
	v_cmp_ne_u16_sdwa s22, v36, v2 src0_sel:BYTE_1 src1_sel:DWORD
	v_mov_b32_e32 v4, 0
	s_andn2_b32 s19, s19, exec_lo
	s_and_b32 s22, s22, exec_lo
	s_or_b32 s19, s19, s22
	s_or_b32 exec_lo, exec_lo, s16
	s_and_saveexec_b32 s16, s19
	s_cbranch_execnz .LBB6_3323
	s_branch .LBB6_3324
.LBB6_4578:                             ;   in Loop: Header=BB6_3292 Depth=3
	s_or_saveexec_b32 s16, s16
	v_mov_b32_e32 v1, 0x7f800001
	s_xor_b32 exec_lo, exec_lo, s16
	s_cbranch_execz .LBB6_3336
.LBB6_4579:                             ;   in Loop: Header=BB6_3292 Depth=3
	v_cmp_ne_u16_e32 vcc_lo, 0, v4
	v_mov_b32_e32 v1, 0
	s_andn2_b32 s19, s19, exec_lo
	s_and_b32 s22, vcc_lo, exec_lo
	s_or_b32 s19, s19, s22
	s_or_b32 exec_lo, exec_lo, s16
	s_and_saveexec_b32 s16, s19
	s_cbranch_execnz .LBB6_3337
	s_branch .LBB6_3338
.LBB6_4580:                             ;   in Loop: Header=BB6_3292 Depth=3
	s_or_saveexec_b32 s16, s16
	v_mov_b32_e32 v4, 0x7f800001
	s_xor_b32 exec_lo, exec_lo, s16
	s_cbranch_execz .LBB6_3342
.LBB6_4581:                             ;   in Loop: Header=BB6_3292 Depth=3
	v_cmp_ne_u16_e32 vcc_lo, 0, v5
	v_mov_b32_e32 v4, 0
	s_andn2_b32 s19, s19, exec_lo
	s_and_b32 s22, vcc_lo, exec_lo
	s_or_b32 s19, s19, s22
	s_or_b32 exec_lo, exec_lo, s16
	s_and_saveexec_b32 s16, s19
	s_cbranch_execnz .LBB6_3343
	s_branch .LBB6_3344
.LBB6_4582:                             ;   in Loop: Header=BB6_3292 Depth=3
	s_or_saveexec_b32 s16, s16
	v_mov_b32_e32 v1, 0x7f800001
	s_xor_b32 exec_lo, exec_lo, s16
	s_cbranch_execz .LBB6_3356
.LBB6_4583:                             ;   in Loop: Header=BB6_3292 Depth=3
	v_cmp_ne_u16_sdwa s22, v48, v2 src0_sel:BYTE_3 src1_sel:DWORD
	v_mov_b32_e32 v1, 0
	s_andn2_b32 s19, s19, exec_lo
	s_and_b32 s22, s22, exec_lo
	s_or_b32 s19, s19, s22
	s_or_b32 exec_lo, exec_lo, s16
	s_and_saveexec_b32 s16, s19
	s_cbranch_execnz .LBB6_3357
	s_branch .LBB6_3358
.LBB6_4584:                             ;   in Loop: Header=BB6_3292 Depth=3
	s_or_saveexec_b32 s16, s16
	v_mov_b32_e32 v4, 0x7f800001
	s_xor_b32 exec_lo, exec_lo, s16
	s_cbranch_execz .LBB6_3362
.LBB6_4585:                             ;   in Loop: Header=BB6_3292 Depth=3
	v_cmp_ne_u16_sdwa s22, v36, v2 src0_sel:BYTE_3 src1_sel:DWORD
	v_mov_b32_e32 v4, 0
	s_andn2_b32 s19, s19, exec_lo
	s_and_b32 s22, s22, exec_lo
	s_or_b32 s19, s19, s22
	s_or_b32 exec_lo, exec_lo, s16
	s_and_saveexec_b32 s16, s19
	s_cbranch_execnz .LBB6_3363
	s_branch .LBB6_3364
.LBB6_4586:                             ;   in Loop: Header=BB6_3292 Depth=3
	s_or_saveexec_b32 s16, s16
	v_mov_b32_e32 v1, 0x7f800001
	s_xor_b32 exec_lo, exec_lo, s16
	s_cbranch_execz .LBB6_3376
.LBB6_4587:                             ;   in Loop: Header=BB6_3292 Depth=3
	v_cmp_ne_u16_sdwa s22, v49, v2 src0_sel:BYTE_0 src1_sel:DWORD
	v_mov_b32_e32 v1, 0
	s_andn2_b32 s19, s19, exec_lo
	s_and_b32 s22, s22, exec_lo
	s_or_b32 s19, s19, s22
	s_or_b32 exec_lo, exec_lo, s16
	s_and_saveexec_b32 s16, s19
	s_cbranch_execnz .LBB6_3377
	s_branch .LBB6_3378
.LBB6_4588:                             ;   in Loop: Header=BB6_3292 Depth=3
	s_or_saveexec_b32 s16, s16
	v_mov_b32_e32 v4, 0x7f800001
	s_xor_b32 exec_lo, exec_lo, s16
	s_cbranch_execz .LBB6_3382
.LBB6_4589:                             ;   in Loop: Header=BB6_3292 Depth=3
	v_cmp_ne_u16_sdwa s22, v37, v2 src0_sel:BYTE_0 src1_sel:DWORD
	v_mov_b32_e32 v4, 0
	s_andn2_b32 s19, s19, exec_lo
	s_and_b32 s22, s22, exec_lo
	s_or_b32 s19, s19, s22
	s_or_b32 exec_lo, exec_lo, s16
	s_and_saveexec_b32 s16, s19
	s_cbranch_execnz .LBB6_3383
	s_branch .LBB6_3384
.LBB6_4590:                             ;   in Loop: Header=BB6_3292 Depth=3
	s_or_saveexec_b32 s16, s16
	v_mov_b32_e32 v1, 0x7f800001
	s_xor_b32 exec_lo, exec_lo, s16
	s_cbranch_execz .LBB6_3396
.LBB6_4591:                             ;   in Loop: Header=BB6_3292 Depth=3
	v_cmp_ne_u16_sdwa s22, v49, v2 src0_sel:BYTE_1 src1_sel:DWORD
	v_mov_b32_e32 v1, 0
	s_andn2_b32 s19, s19, exec_lo
	s_and_b32 s22, s22, exec_lo
	s_or_b32 s19, s19, s22
	s_or_b32 exec_lo, exec_lo, s16
	s_and_saveexec_b32 s16, s19
	s_cbranch_execnz .LBB6_3397
	s_branch .LBB6_3398
.LBB6_4592:                             ;   in Loop: Header=BB6_3292 Depth=3
	s_or_saveexec_b32 s16, s16
	v_mov_b32_e32 v4, 0x7f800001
	s_xor_b32 exec_lo, exec_lo, s16
	s_cbranch_execz .LBB6_3402
.LBB6_4593:                             ;   in Loop: Header=BB6_3292 Depth=3
	v_cmp_ne_u16_sdwa s22, v37, v2 src0_sel:BYTE_1 src1_sel:DWORD
	v_mov_b32_e32 v4, 0
	s_andn2_b32 s19, s19, exec_lo
	s_and_b32 s22, s22, exec_lo
	s_or_b32 s19, s19, s22
	s_or_b32 exec_lo, exec_lo, s16
	s_and_saveexec_b32 s16, s19
	s_cbranch_execnz .LBB6_3403
	s_branch .LBB6_3404
.LBB6_4594:                             ;   in Loop: Header=BB6_3292 Depth=3
	s_or_saveexec_b32 s16, s16
	v_mov_b32_e32 v1, 0x7f800001
	s_xor_b32 exec_lo, exec_lo, s16
	s_cbranch_execz .LBB6_3416
.LBB6_4595:                             ;   in Loop: Header=BB6_3292 Depth=3
	v_cmp_ne_u16_e32 vcc_lo, 0, v4
	v_mov_b32_e32 v1, 0
	s_andn2_b32 s19, s19, exec_lo
	s_and_b32 s22, vcc_lo, exec_lo
	s_or_b32 s19, s19, s22
	s_or_b32 exec_lo, exec_lo, s16
	s_and_saveexec_b32 s16, s19
	s_cbranch_execnz .LBB6_3417
	s_branch .LBB6_3418
.LBB6_4596:                             ;   in Loop: Header=BB6_3292 Depth=3
	s_or_saveexec_b32 s16, s16
	v_mov_b32_e32 v4, 0x7f800001
	s_xor_b32 exec_lo, exec_lo, s16
	s_cbranch_execz .LBB6_3422
.LBB6_4597:                             ;   in Loop: Header=BB6_3292 Depth=3
	v_cmp_ne_u16_e32 vcc_lo, 0, v5
	v_mov_b32_e32 v4, 0
	s_andn2_b32 s19, s19, exec_lo
	s_and_b32 s22, vcc_lo, exec_lo
	s_or_b32 s19, s19, s22
	s_or_b32 exec_lo, exec_lo, s16
	s_and_saveexec_b32 s16, s19
	s_cbranch_execnz .LBB6_3423
	s_branch .LBB6_3424
.LBB6_4598:                             ;   in Loop: Header=BB6_3292 Depth=3
	s_or_saveexec_b32 s16, s16
	v_mov_b32_e32 v1, 0x7f800001
	s_xor_b32 exec_lo, exec_lo, s16
	s_cbranch_execz .LBB6_3436
.LBB6_4599:                             ;   in Loop: Header=BB6_3292 Depth=3
	v_cmp_ne_u16_sdwa s22, v49, v2 src0_sel:BYTE_3 src1_sel:DWORD
	v_mov_b32_e32 v1, 0
	s_andn2_b32 s19, s19, exec_lo
	s_and_b32 s22, s22, exec_lo
	s_or_b32 s19, s19, s22
	s_or_b32 exec_lo, exec_lo, s16
	s_and_saveexec_b32 s16, s19
	s_cbranch_execnz .LBB6_3437
	s_branch .LBB6_3438
.LBB6_4600:                             ;   in Loop: Header=BB6_3292 Depth=3
	s_or_saveexec_b32 s16, s16
	v_mov_b32_e32 v4, 0x7f800001
	s_xor_b32 exec_lo, exec_lo, s16
	s_cbranch_execz .LBB6_3442
.LBB6_4601:                             ;   in Loop: Header=BB6_3292 Depth=3
	v_cmp_ne_u16_sdwa s22, v37, v2 src0_sel:BYTE_3 src1_sel:DWORD
	v_mov_b32_e32 v4, 0
	s_andn2_b32 s19, s19, exec_lo
	s_and_b32 s22, s22, exec_lo
	s_or_b32 s19, s19, s22
	s_or_b32 exec_lo, exec_lo, s16
	s_and_saveexec_b32 s16, s19
	s_cbranch_execnz .LBB6_3443
	s_branch .LBB6_3444
.LBB6_4602:                             ;   in Loop: Header=BB6_3292 Depth=3
	s_or_saveexec_b32 s16, s16
	v_mov_b32_e32 v1, 0x7f800001
	s_xor_b32 exec_lo, exec_lo, s16
	s_cbranch_execz .LBB6_3456
.LBB6_4603:                             ;   in Loop: Header=BB6_3292 Depth=3
	v_cmp_ne_u16_sdwa s22, v50, v2 src0_sel:BYTE_0 src1_sel:DWORD
	v_mov_b32_e32 v1, 0
	s_andn2_b32 s19, s19, exec_lo
	s_and_b32 s22, s22, exec_lo
	s_or_b32 s19, s19, s22
	s_or_b32 exec_lo, exec_lo, s16
	s_and_saveexec_b32 s16, s19
	s_cbranch_execnz .LBB6_3457
	s_branch .LBB6_3458
.LBB6_4604:                             ;   in Loop: Header=BB6_3292 Depth=3
	s_or_saveexec_b32 s16, s16
	v_mov_b32_e32 v4, 0x7f800001
	s_xor_b32 exec_lo, exec_lo, s16
	s_cbranch_execz .LBB6_3462
.LBB6_4605:                             ;   in Loop: Header=BB6_3292 Depth=3
	v_cmp_ne_u16_sdwa s22, v38, v2 src0_sel:BYTE_0 src1_sel:DWORD
	v_mov_b32_e32 v4, 0
	s_andn2_b32 s19, s19, exec_lo
	s_and_b32 s22, s22, exec_lo
	s_or_b32 s19, s19, s22
	s_or_b32 exec_lo, exec_lo, s16
	s_and_saveexec_b32 s16, s19
	s_cbranch_execnz .LBB6_3463
	s_branch .LBB6_3464
.LBB6_4606:                             ;   in Loop: Header=BB6_3292 Depth=3
	s_or_saveexec_b32 s16, s16
	v_mov_b32_e32 v1, 0x7f800001
	s_xor_b32 exec_lo, exec_lo, s16
	s_cbranch_execz .LBB6_3476
.LBB6_4607:                             ;   in Loop: Header=BB6_3292 Depth=3
	v_cmp_ne_u16_sdwa s22, v50, v2 src0_sel:BYTE_1 src1_sel:DWORD
	v_mov_b32_e32 v1, 0
	s_andn2_b32 s19, s19, exec_lo
	s_and_b32 s22, s22, exec_lo
	s_or_b32 s19, s19, s22
	s_or_b32 exec_lo, exec_lo, s16
	s_and_saveexec_b32 s16, s19
	s_cbranch_execnz .LBB6_3477
	s_branch .LBB6_3478
.LBB6_4608:                             ;   in Loop: Header=BB6_3292 Depth=3
	s_or_saveexec_b32 s16, s16
	v_mov_b32_e32 v4, 0x7f800001
	s_xor_b32 exec_lo, exec_lo, s16
	s_cbranch_execz .LBB6_3482
.LBB6_4609:                             ;   in Loop: Header=BB6_3292 Depth=3
	v_cmp_ne_u16_sdwa s22, v38, v2 src0_sel:BYTE_1 src1_sel:DWORD
	v_mov_b32_e32 v4, 0
	s_andn2_b32 s19, s19, exec_lo
	s_and_b32 s22, s22, exec_lo
	s_or_b32 s19, s19, s22
	s_or_b32 exec_lo, exec_lo, s16
	s_and_saveexec_b32 s16, s19
	s_cbranch_execnz .LBB6_3483
	s_branch .LBB6_3484
.LBB6_4610:                             ;   in Loop: Header=BB6_3292 Depth=3
	s_or_saveexec_b32 s16, s16
	v_mov_b32_e32 v1, 0x7f800001
	s_xor_b32 exec_lo, exec_lo, s16
	s_cbranch_execz .LBB6_3496
.LBB6_4611:                             ;   in Loop: Header=BB6_3292 Depth=3
	v_cmp_ne_u16_e32 vcc_lo, 0, v4
	v_mov_b32_e32 v1, 0
	s_andn2_b32 s19, s19, exec_lo
	s_and_b32 s22, vcc_lo, exec_lo
	s_or_b32 s19, s19, s22
	s_or_b32 exec_lo, exec_lo, s16
	s_and_saveexec_b32 s16, s19
	s_cbranch_execnz .LBB6_3497
	s_branch .LBB6_3498
.LBB6_4612:                             ;   in Loop: Header=BB6_3292 Depth=3
	s_or_saveexec_b32 s16, s16
	v_mov_b32_e32 v4, 0x7f800001
	s_xor_b32 exec_lo, exec_lo, s16
	s_cbranch_execz .LBB6_3502
.LBB6_4613:                             ;   in Loop: Header=BB6_3292 Depth=3
	v_cmp_ne_u16_e32 vcc_lo, 0, v5
	v_mov_b32_e32 v4, 0
	s_andn2_b32 s19, s19, exec_lo
	s_and_b32 s22, vcc_lo, exec_lo
	s_or_b32 s19, s19, s22
	s_or_b32 exec_lo, exec_lo, s16
	s_and_saveexec_b32 s16, s19
	s_cbranch_execnz .LBB6_3503
	s_branch .LBB6_3504
.LBB6_4614:                             ;   in Loop: Header=BB6_3292 Depth=3
	s_or_saveexec_b32 s16, s16
	v_mov_b32_e32 v1, 0x7f800001
	s_xor_b32 exec_lo, exec_lo, s16
	s_cbranch_execz .LBB6_3516
.LBB6_4615:                             ;   in Loop: Header=BB6_3292 Depth=3
	v_cmp_ne_u16_sdwa s22, v50, v2 src0_sel:BYTE_3 src1_sel:DWORD
	v_mov_b32_e32 v1, 0
	s_andn2_b32 s19, s19, exec_lo
	s_and_b32 s22, s22, exec_lo
	s_or_b32 s19, s19, s22
	s_or_b32 exec_lo, exec_lo, s16
	s_and_saveexec_b32 s16, s19
	s_cbranch_execnz .LBB6_3517
	s_branch .LBB6_3518
.LBB6_4616:                             ;   in Loop: Header=BB6_3292 Depth=3
	s_or_saveexec_b32 s16, s16
	v_mov_b32_e32 v4, 0x7f800001
	s_xor_b32 exec_lo, exec_lo, s16
	s_cbranch_execz .LBB6_3522
.LBB6_4617:                             ;   in Loop: Header=BB6_3292 Depth=3
	v_cmp_ne_u16_sdwa s22, v38, v2 src0_sel:BYTE_3 src1_sel:DWORD
	v_mov_b32_e32 v4, 0
	s_andn2_b32 s19, s19, exec_lo
	s_and_b32 s22, s22, exec_lo
	s_or_b32 s19, s19, s22
	s_or_b32 exec_lo, exec_lo, s16
	s_and_saveexec_b32 s16, s19
	s_cbranch_execnz .LBB6_3523
	s_branch .LBB6_3524
.LBB6_4618:                             ;   in Loop: Header=BB6_3292 Depth=3
	s_or_saveexec_b32 s16, s16
	v_mov_b32_e32 v1, 0x7f800001
	s_xor_b32 exec_lo, exec_lo, s16
	s_cbranch_execz .LBB6_3536
.LBB6_4619:                             ;   in Loop: Header=BB6_3292 Depth=3
	v_cmp_ne_u16_sdwa s22, v51, v2 src0_sel:BYTE_0 src1_sel:DWORD
	v_mov_b32_e32 v1, 0
	s_andn2_b32 s19, s19, exec_lo
	s_and_b32 s22, s22, exec_lo
	s_or_b32 s19, s19, s22
	s_or_b32 exec_lo, exec_lo, s16
	s_and_saveexec_b32 s16, s19
	s_cbranch_execnz .LBB6_3537
	s_branch .LBB6_3538
.LBB6_4620:                             ;   in Loop: Header=BB6_3292 Depth=3
	s_or_saveexec_b32 s16, s16
	v_mov_b32_e32 v4, 0x7f800001
	s_xor_b32 exec_lo, exec_lo, s16
	s_cbranch_execz .LBB6_3542
.LBB6_4621:                             ;   in Loop: Header=BB6_3292 Depth=3
	v_cmp_ne_u16_sdwa s22, v39, v2 src0_sel:BYTE_0 src1_sel:DWORD
	v_mov_b32_e32 v4, 0
	s_andn2_b32 s19, s19, exec_lo
	s_and_b32 s22, s22, exec_lo
	s_or_b32 s19, s19, s22
	s_or_b32 exec_lo, exec_lo, s16
	s_and_saveexec_b32 s16, s19
	s_cbranch_execnz .LBB6_3543
	s_branch .LBB6_3544
.LBB6_4622:                             ;   in Loop: Header=BB6_3292 Depth=3
	s_or_saveexec_b32 s16, s16
	v_mov_b32_e32 v1, 0x7f800001
	s_xor_b32 exec_lo, exec_lo, s16
	s_cbranch_execz .LBB6_3556
.LBB6_4623:                             ;   in Loop: Header=BB6_3292 Depth=3
	v_cmp_ne_u16_sdwa s22, v51, v2 src0_sel:BYTE_1 src1_sel:DWORD
	v_mov_b32_e32 v1, 0
	s_andn2_b32 s19, s19, exec_lo
	s_and_b32 s22, s22, exec_lo
	s_or_b32 s19, s19, s22
	s_or_b32 exec_lo, exec_lo, s16
	s_and_saveexec_b32 s16, s19
	s_cbranch_execnz .LBB6_3557
	s_branch .LBB6_3558
.LBB6_4624:                             ;   in Loop: Header=BB6_3292 Depth=3
	s_or_saveexec_b32 s16, s16
	v_mov_b32_e32 v4, 0x7f800001
	s_xor_b32 exec_lo, exec_lo, s16
	s_cbranch_execz .LBB6_3562
.LBB6_4625:                             ;   in Loop: Header=BB6_3292 Depth=3
	v_cmp_ne_u16_sdwa s22, v39, v2 src0_sel:BYTE_1 src1_sel:DWORD
	v_mov_b32_e32 v4, 0
	s_andn2_b32 s19, s19, exec_lo
	s_and_b32 s22, s22, exec_lo
	s_or_b32 s19, s19, s22
	s_or_b32 exec_lo, exec_lo, s16
	s_and_saveexec_b32 s16, s19
	s_cbranch_execnz .LBB6_3563
	s_branch .LBB6_3564
.LBB6_4626:                             ;   in Loop: Header=BB6_3292 Depth=3
	s_or_saveexec_b32 s16, s16
	v_mov_b32_e32 v1, 0x7f800001
	s_xor_b32 exec_lo, exec_lo, s16
	s_cbranch_execz .LBB6_3576
.LBB6_4627:                             ;   in Loop: Header=BB6_3292 Depth=3
	v_cmp_ne_u16_e32 vcc_lo, 0, v4
	v_mov_b32_e32 v1, 0
	s_andn2_b32 s19, s19, exec_lo
	s_and_b32 s22, vcc_lo, exec_lo
	s_or_b32 s19, s19, s22
	s_or_b32 exec_lo, exec_lo, s16
	s_and_saveexec_b32 s16, s19
	s_cbranch_execnz .LBB6_3577
	s_branch .LBB6_3578
.LBB6_4628:                             ;   in Loop: Header=BB6_3292 Depth=3
	s_or_saveexec_b32 s16, s16
	v_mov_b32_e32 v4, 0x7f800001
	s_xor_b32 exec_lo, exec_lo, s16
	s_cbranch_execz .LBB6_3582
.LBB6_4629:                             ;   in Loop: Header=BB6_3292 Depth=3
	v_cmp_ne_u16_e32 vcc_lo, 0, v5
	v_mov_b32_e32 v4, 0
	s_andn2_b32 s19, s19, exec_lo
	s_and_b32 s22, vcc_lo, exec_lo
	s_or_b32 s19, s19, s22
	s_or_b32 exec_lo, exec_lo, s16
	s_and_saveexec_b32 s16, s19
	s_cbranch_execnz .LBB6_3583
	s_branch .LBB6_3584
.LBB6_4630:                             ;   in Loop: Header=BB6_3292 Depth=3
	s_or_saveexec_b32 s16, s16
	v_mov_b32_e32 v1, 0x7f800001
	s_xor_b32 exec_lo, exec_lo, s16
	s_cbranch_execz .LBB6_3596
.LBB6_4631:                             ;   in Loop: Header=BB6_3292 Depth=3
	v_cmp_ne_u16_sdwa s22, v51, v2 src0_sel:BYTE_3 src1_sel:DWORD
	v_mov_b32_e32 v1, 0
	s_andn2_b32 s19, s19, exec_lo
	s_and_b32 s22, s22, exec_lo
	s_or_b32 s19, s19, s22
	s_or_b32 exec_lo, exec_lo, s16
	s_and_saveexec_b32 s16, s19
	s_cbranch_execnz .LBB6_3597
	s_branch .LBB6_3598
.LBB6_4632:                             ;   in Loop: Header=BB6_3292 Depth=3
	s_or_saveexec_b32 s16, s16
	v_mov_b32_e32 v4, 0x7f800001
	s_xor_b32 exec_lo, exec_lo, s16
	s_cbranch_execz .LBB6_3602
.LBB6_4633:                             ;   in Loop: Header=BB6_3292 Depth=3
	v_cmp_ne_u16_sdwa s22, v39, v2 src0_sel:BYTE_3 src1_sel:DWORD
	v_mov_b32_e32 v4, 0
	s_andn2_b32 s19, s19, exec_lo
	s_and_b32 s22, s22, exec_lo
	s_or_b32 s19, s19, s22
	s_or_b32 exec_lo, exec_lo, s16
	s_and_saveexec_b32 s16, s19
	s_cbranch_execnz .LBB6_3603
	s_branch .LBB6_3604
.LBB6_4634:                             ;   in Loop: Header=BB6_3292 Depth=3
	s_or_saveexec_b32 s16, s16
	v_mov_b32_e32 v1, 0x7f800001
	s_xor_b32 exec_lo, exec_lo, s16
	s_cbranch_execz .LBB6_3616
.LBB6_4635:                             ;   in Loop: Header=BB6_3292 Depth=3
	v_cmp_ne_u16_sdwa s22, v32, v2 src0_sel:BYTE_0 src1_sel:DWORD
	v_mov_b32_e32 v1, 0
	s_andn2_b32 s19, s19, exec_lo
	s_and_b32 s22, s22, exec_lo
	s_or_b32 s19, s19, s22
	s_or_b32 exec_lo, exec_lo, s16
	s_and_saveexec_b32 s16, s19
	s_cbranch_execnz .LBB6_3617
	s_branch .LBB6_3618
.LBB6_4636:                             ;   in Loop: Header=BB6_3292 Depth=3
	s_or_saveexec_b32 s16, s16
	v_mov_b32_e32 v4, 0x7f800001
	s_xor_b32 exec_lo, exec_lo, s16
	s_cbranch_execz .LBB6_3622
.LBB6_4637:                             ;   in Loop: Header=BB6_3292 Depth=3
	v_cmp_ne_u16_sdwa s22, v24, v2 src0_sel:BYTE_0 src1_sel:DWORD
	v_mov_b32_e32 v4, 0
	s_andn2_b32 s19, s19, exec_lo
	s_and_b32 s22, s22, exec_lo
	s_or_b32 s19, s19, s22
	s_or_b32 exec_lo, exec_lo, s16
	s_and_saveexec_b32 s16, s19
	s_cbranch_execnz .LBB6_3623
	s_branch .LBB6_3624
.LBB6_4638:                             ;   in Loop: Header=BB6_3292 Depth=3
	s_or_saveexec_b32 s19, s19
	v_mov_b32_e32 v1, 0x7f800001
	s_xor_b32 exec_lo, exec_lo, s19
	s_cbranch_execz .LBB6_3636
.LBB6_4639:                             ;   in Loop: Header=BB6_3292 Depth=3
	v_cmp_ne_u16_sdwa s22, v32, v2 src0_sel:BYTE_1 src1_sel:DWORD
	v_mov_b32_e32 v1, 0
	s_andn2_b32 s16, s16, exec_lo
	s_and_b32 s22, s22, exec_lo
	s_or_b32 s16, s16, s22
	s_or_b32 exec_lo, exec_lo, s19
	s_and_saveexec_b32 s19, s16
	s_cbranch_execnz .LBB6_3637
	s_branch .LBB6_3638
.LBB6_4640:                             ;   in Loop: Header=BB6_3292 Depth=3
	s_or_saveexec_b32 s19, s19
	v_mov_b32_e32 v4, 0x7f800001
	s_xor_b32 exec_lo, exec_lo, s19
	s_cbranch_execz .LBB6_3642
.LBB6_4641:                             ;   in Loop: Header=BB6_3292 Depth=3
	v_cmp_ne_u16_sdwa s22, v24, v2 src0_sel:BYTE_1 src1_sel:DWORD
	v_mov_b32_e32 v4, 0
	s_andn2_b32 s16, s16, exec_lo
	s_and_b32 s22, s22, exec_lo
	s_or_b32 s16, s16, s22
	s_or_b32 exec_lo, exec_lo, s19
	s_and_saveexec_b32 s19, s16
	s_cbranch_execnz .LBB6_3643
	s_branch .LBB6_3644
.LBB6_4642:                             ;   in Loop: Header=BB6_3292 Depth=3
	s_or_saveexec_b32 s16, s16
	v_mov_b32_e32 v1, 0x7f800001
	s_xor_b32 exec_lo, exec_lo, s16
	s_cbranch_execz .LBB6_3656
.LBB6_4643:                             ;   in Loop: Header=BB6_3292 Depth=3
	v_cmp_ne_u16_e32 vcc_lo, 0, v4
	v_mov_b32_e32 v1, 0
	s_andn2_b32 s19, s19, exec_lo
	s_and_b32 s22, vcc_lo, exec_lo
	s_or_b32 s19, s19, s22
	s_or_b32 exec_lo, exec_lo, s16
	s_and_saveexec_b32 s16, s19
	s_cbranch_execnz .LBB6_3657
	s_branch .LBB6_3658
.LBB6_4644:                             ;   in Loop: Header=BB6_3292 Depth=3
	s_or_saveexec_b32 s16, s16
	v_mov_b32_e32 v4, 0x7f800001
	s_xor_b32 exec_lo, exec_lo, s16
	s_cbranch_execz .LBB6_3662
.LBB6_4645:                             ;   in Loop: Header=BB6_3292 Depth=3
	v_cmp_ne_u16_e32 vcc_lo, 0, v5
	v_mov_b32_e32 v4, 0
	s_andn2_b32 s19, s19, exec_lo
	s_and_b32 s22, vcc_lo, exec_lo
	s_or_b32 s19, s19, s22
	s_or_b32 exec_lo, exec_lo, s16
	s_and_saveexec_b32 s16, s19
	s_cbranch_execnz .LBB6_3663
	s_branch .LBB6_3664
.LBB6_4646:                             ;   in Loop: Header=BB6_3292 Depth=3
	s_or_saveexec_b32 s19, s19
	v_mov_b32_e32 v1, 0x7f800001
	s_xor_b32 exec_lo, exec_lo, s19
	s_cbranch_execz .LBB6_3676
.LBB6_4647:                             ;   in Loop: Header=BB6_3292 Depth=3
	v_cmp_ne_u16_sdwa s22, v32, v2 src0_sel:BYTE_3 src1_sel:DWORD
	v_mov_b32_e32 v1, 0
	s_andn2_b32 s16, s16, exec_lo
	s_and_b32 s22, s22, exec_lo
	s_or_b32 s16, s16, s22
	s_or_b32 exec_lo, exec_lo, s19
	s_and_saveexec_b32 s19, s16
	s_cbranch_execnz .LBB6_3677
	s_branch .LBB6_3678
.LBB6_4648:                             ;   in Loop: Header=BB6_3292 Depth=3
	s_or_saveexec_b32 s19, s19
	v_mov_b32_e32 v4, 0x7f800001
	s_xor_b32 exec_lo, exec_lo, s19
	s_cbranch_execz .LBB6_3682
.LBB6_4649:                             ;   in Loop: Header=BB6_3292 Depth=3
	v_cmp_ne_u16_sdwa s22, v24, v2 src0_sel:BYTE_3 src1_sel:DWORD
	v_mov_b32_e32 v4, 0
	s_andn2_b32 s16, s16, exec_lo
	s_and_b32 s22, s22, exec_lo
	s_or_b32 s16, s16, s22
	s_or_b32 exec_lo, exec_lo, s19
	s_and_saveexec_b32 s19, s16
	s_cbranch_execnz .LBB6_3683
	s_branch .LBB6_3684
.LBB6_4650:                             ;   in Loop: Header=BB6_3292 Depth=3
	s_or_saveexec_b32 s16, s16
	v_mov_b32_e32 v1, 0x7f800001
	s_xor_b32 exec_lo, exec_lo, s16
	s_cbranch_execz .LBB6_3696
.LBB6_4651:                             ;   in Loop: Header=BB6_3292 Depth=3
	v_cmp_ne_u16_sdwa s22, v33, v2 src0_sel:BYTE_0 src1_sel:DWORD
	v_mov_b32_e32 v1, 0
	s_andn2_b32 s19, s19, exec_lo
	s_and_b32 s22, s22, exec_lo
	s_or_b32 s19, s19, s22
	s_or_b32 exec_lo, exec_lo, s16
	s_and_saveexec_b32 s16, s19
	s_cbranch_execnz .LBB6_3697
	s_branch .LBB6_3698
.LBB6_4652:                             ;   in Loop: Header=BB6_3292 Depth=3
	s_or_saveexec_b32 s16, s16
	v_mov_b32_e32 v4, 0x7f800001
	s_xor_b32 exec_lo, exec_lo, s16
	s_cbranch_execz .LBB6_3702
.LBB6_4653:                             ;   in Loop: Header=BB6_3292 Depth=3
	v_cmp_ne_u16_sdwa s22, v25, v2 src0_sel:BYTE_0 src1_sel:DWORD
	v_mov_b32_e32 v4, 0
	s_andn2_b32 s19, s19, exec_lo
	s_and_b32 s22, s22, exec_lo
	s_or_b32 s19, s19, s22
	s_or_b32 exec_lo, exec_lo, s16
	s_and_saveexec_b32 s16, s19
	s_cbranch_execnz .LBB6_3703
	s_branch .LBB6_3704
.LBB6_4654:                             ;   in Loop: Header=BB6_3292 Depth=3
	s_or_saveexec_b32 s19, s19
	v_mov_b32_e32 v1, 0x7f800001
	s_xor_b32 exec_lo, exec_lo, s19
	s_cbranch_execz .LBB6_3716
.LBB6_4655:                             ;   in Loop: Header=BB6_3292 Depth=3
	v_cmp_ne_u16_sdwa s22, v33, v2 src0_sel:BYTE_1 src1_sel:DWORD
	v_mov_b32_e32 v1, 0
	s_andn2_b32 s16, s16, exec_lo
	s_and_b32 s22, s22, exec_lo
	s_or_b32 s16, s16, s22
	s_or_b32 exec_lo, exec_lo, s19
	s_and_saveexec_b32 s19, s16
	s_cbranch_execnz .LBB6_3717
	s_branch .LBB6_3718
.LBB6_4656:                             ;   in Loop: Header=BB6_3292 Depth=3
	s_or_saveexec_b32 s19, s19
	v_mov_b32_e32 v4, 0x7f800001
	s_xor_b32 exec_lo, exec_lo, s19
	s_cbranch_execz .LBB6_3722
.LBB6_4657:                             ;   in Loop: Header=BB6_3292 Depth=3
	v_cmp_ne_u16_sdwa s22, v25, v2 src0_sel:BYTE_1 src1_sel:DWORD
	v_mov_b32_e32 v4, 0
	s_andn2_b32 s16, s16, exec_lo
	s_and_b32 s22, s22, exec_lo
	s_or_b32 s16, s16, s22
	s_or_b32 exec_lo, exec_lo, s19
	s_and_saveexec_b32 s19, s16
	s_cbranch_execnz .LBB6_3723
	s_branch .LBB6_3724
.LBB6_4658:                             ;   in Loop: Header=BB6_3292 Depth=3
	s_or_saveexec_b32 s16, s16
	v_mov_b32_e32 v1, 0x7f800001
	s_xor_b32 exec_lo, exec_lo, s16
	s_cbranch_execz .LBB6_3736
.LBB6_4659:                             ;   in Loop: Header=BB6_3292 Depth=3
	v_cmp_ne_u16_e32 vcc_lo, 0, v4
	v_mov_b32_e32 v1, 0
	s_andn2_b32 s19, s19, exec_lo
	s_and_b32 s22, vcc_lo, exec_lo
	s_or_b32 s19, s19, s22
	s_or_b32 exec_lo, exec_lo, s16
	s_and_saveexec_b32 s16, s19
	s_cbranch_execnz .LBB6_3737
	s_branch .LBB6_3738
.LBB6_4660:                             ;   in Loop: Header=BB6_3292 Depth=3
	s_or_saveexec_b32 s16, s16
	v_mov_b32_e32 v4, 0x7f800001
	s_xor_b32 exec_lo, exec_lo, s16
	s_cbranch_execz .LBB6_3742
.LBB6_4661:                             ;   in Loop: Header=BB6_3292 Depth=3
	v_cmp_ne_u16_e32 vcc_lo, 0, v5
	v_mov_b32_e32 v4, 0
	s_andn2_b32 s19, s19, exec_lo
	s_and_b32 s22, vcc_lo, exec_lo
	s_or_b32 s19, s19, s22
	s_or_b32 exec_lo, exec_lo, s16
	s_and_saveexec_b32 s16, s19
	s_cbranch_execnz .LBB6_3743
	s_branch .LBB6_3744
.LBB6_4662:                             ;   in Loop: Header=BB6_3292 Depth=3
	s_or_saveexec_b32 s19, s19
	v_mov_b32_e32 v1, 0x7f800001
	s_xor_b32 exec_lo, exec_lo, s19
	s_cbranch_execz .LBB6_3756
.LBB6_4663:                             ;   in Loop: Header=BB6_3292 Depth=3
	v_cmp_ne_u16_sdwa s22, v33, v2 src0_sel:BYTE_3 src1_sel:DWORD
	v_mov_b32_e32 v1, 0
	s_andn2_b32 s16, s16, exec_lo
	s_and_b32 s22, s22, exec_lo
	s_or_b32 s16, s16, s22
	s_or_b32 exec_lo, exec_lo, s19
	s_and_saveexec_b32 s19, s16
	s_cbranch_execnz .LBB6_3757
	s_branch .LBB6_3758
.LBB6_4664:                             ;   in Loop: Header=BB6_3292 Depth=3
	s_or_saveexec_b32 s19, s19
	v_mov_b32_e32 v4, 0x7f800001
	s_xor_b32 exec_lo, exec_lo, s19
	s_cbranch_execz .LBB6_3762
.LBB6_4665:                             ;   in Loop: Header=BB6_3292 Depth=3
	v_cmp_ne_u16_sdwa s22, v25, v2 src0_sel:BYTE_3 src1_sel:DWORD
	v_mov_b32_e32 v4, 0
	s_andn2_b32 s16, s16, exec_lo
	s_and_b32 s22, s22, exec_lo
	s_or_b32 s16, s16, s22
	s_or_b32 exec_lo, exec_lo, s19
	s_and_saveexec_b32 s19, s16
	s_cbranch_execnz .LBB6_3763
	s_branch .LBB6_3764
.LBB6_4666:                             ;   in Loop: Header=BB6_3292 Depth=3
	s_or_saveexec_b32 s16, s16
	v_mov_b32_e32 v1, 0x7f800001
	s_xor_b32 exec_lo, exec_lo, s16
	s_cbranch_execz .LBB6_3776
.LBB6_4667:                             ;   in Loop: Header=BB6_3292 Depth=3
	v_cmp_ne_u16_sdwa s22, v34, v2 src0_sel:BYTE_0 src1_sel:DWORD
	v_mov_b32_e32 v1, 0
	s_andn2_b32 s19, s19, exec_lo
	s_and_b32 s22, s22, exec_lo
	s_or_b32 s19, s19, s22
	s_or_b32 exec_lo, exec_lo, s16
	s_and_saveexec_b32 s16, s19
	s_cbranch_execnz .LBB6_3777
	s_branch .LBB6_3778
.LBB6_4668:                             ;   in Loop: Header=BB6_3292 Depth=3
	s_or_saveexec_b32 s16, s16
	v_mov_b32_e32 v4, 0x7f800001
	s_xor_b32 exec_lo, exec_lo, s16
	s_cbranch_execz .LBB6_3782
.LBB6_4669:                             ;   in Loop: Header=BB6_3292 Depth=3
	v_cmp_ne_u16_sdwa s22, v26, v2 src0_sel:BYTE_0 src1_sel:DWORD
	v_mov_b32_e32 v4, 0
	s_andn2_b32 s19, s19, exec_lo
	s_and_b32 s22, s22, exec_lo
	s_or_b32 s19, s19, s22
	s_or_b32 exec_lo, exec_lo, s16
	s_and_saveexec_b32 s16, s19
	s_cbranch_execnz .LBB6_3783
	s_branch .LBB6_3784
.LBB6_4670:                             ;   in Loop: Header=BB6_3292 Depth=3
	s_or_saveexec_b32 s19, s19
	v_mov_b32_e32 v1, 0x7f800001
	s_xor_b32 exec_lo, exec_lo, s19
	s_cbranch_execz .LBB6_3796
.LBB6_4671:                             ;   in Loop: Header=BB6_3292 Depth=3
	v_cmp_ne_u16_sdwa s22, v34, v2 src0_sel:BYTE_1 src1_sel:DWORD
	v_mov_b32_e32 v1, 0
	s_andn2_b32 s16, s16, exec_lo
	s_and_b32 s22, s22, exec_lo
	s_or_b32 s16, s16, s22
	s_or_b32 exec_lo, exec_lo, s19
	s_and_saveexec_b32 s19, s16
	s_cbranch_execnz .LBB6_3797
	s_branch .LBB6_3798
.LBB6_4672:                             ;   in Loop: Header=BB6_3292 Depth=3
	s_or_saveexec_b32 s19, s19
	v_mov_b32_e32 v4, 0x7f800001
	s_xor_b32 exec_lo, exec_lo, s19
	s_cbranch_execz .LBB6_3802
.LBB6_4673:                             ;   in Loop: Header=BB6_3292 Depth=3
	v_cmp_ne_u16_sdwa s22, v26, v2 src0_sel:BYTE_1 src1_sel:DWORD
	v_mov_b32_e32 v4, 0
	s_andn2_b32 s16, s16, exec_lo
	s_and_b32 s22, s22, exec_lo
	s_or_b32 s16, s16, s22
	s_or_b32 exec_lo, exec_lo, s19
	s_and_saveexec_b32 s19, s16
	s_cbranch_execnz .LBB6_3803
	s_branch .LBB6_3804
.LBB6_4674:                             ;   in Loop: Header=BB6_3292 Depth=3
	s_or_saveexec_b32 s16, s16
	v_mov_b32_e32 v1, 0x7f800001
	s_xor_b32 exec_lo, exec_lo, s16
	s_cbranch_execz .LBB6_3816
.LBB6_4675:                             ;   in Loop: Header=BB6_3292 Depth=3
	v_cmp_ne_u16_e32 vcc_lo, 0, v5
	v_mov_b32_e32 v1, 0
	s_andn2_b32 s19, s19, exec_lo
	s_and_b32 s22, vcc_lo, exec_lo
	s_or_b32 s19, s19, s22
	s_or_b32 exec_lo, exec_lo, s16
	s_and_saveexec_b32 s16, s19
	s_cbranch_execnz .LBB6_3817
	s_branch .LBB6_3818
.LBB6_4676:                             ;   in Loop: Header=BB6_3292 Depth=3
	s_or_saveexec_b32 s16, s16
	v_mov_b32_e32 v5, 0x7f800001
	s_xor_b32 exec_lo, exec_lo, s16
	s_cbranch_execz .LBB6_3822
.LBB6_4677:                             ;   in Loop: Header=BB6_3292 Depth=3
	v_cmp_ne_u16_e32 vcc_lo, 0, v31
	v_mov_b32_e32 v5, 0
	s_andn2_b32 s19, s19, exec_lo
	s_and_b32 s22, vcc_lo, exec_lo
	s_or_b32 s19, s19, s22
	s_or_b32 exec_lo, exec_lo, s16
	s_and_saveexec_b32 s16, s19
	s_cbranch_execnz .LBB6_3823
	s_branch .LBB6_3824
.LBB6_4678:                             ;   in Loop: Header=BB6_3292 Depth=3
	s_or_saveexec_b32 s19, s19
	v_mov_b32_e32 v1, 0x7f800001
	s_xor_b32 exec_lo, exec_lo, s19
	s_cbranch_execz .LBB6_3836
.LBB6_4679:                             ;   in Loop: Header=BB6_3292 Depth=3
	v_cmp_ne_u16_sdwa s22, v34, v2 src0_sel:BYTE_3 src1_sel:DWORD
	v_mov_b32_e32 v1, 0
	s_andn2_b32 s16, s16, exec_lo
	s_and_b32 s22, s22, exec_lo
	s_or_b32 s16, s16, s22
	s_or_b32 exec_lo, exec_lo, s19
	s_and_saveexec_b32 s19, s16
	s_cbranch_execnz .LBB6_3837
	s_branch .LBB6_3838
.LBB6_4680:                             ;   in Loop: Header=BB6_3292 Depth=3
	s_or_saveexec_b32 s19, s19
	v_mov_b32_e32 v31, 0x7f800001
	s_xor_b32 exec_lo, exec_lo, s19
	s_cbranch_execz .LBB6_3842
.LBB6_4681:                             ;   in Loop: Header=BB6_3292 Depth=3
	v_cmp_ne_u16_sdwa s22, v26, v2 src0_sel:BYTE_3 src1_sel:DWORD
	v_mov_b32_e32 v31, 0
	s_andn2_b32 s16, s16, exec_lo
	s_and_b32 s22, s22, exec_lo
	s_or_b32 s16, s16, s22
	s_or_b32 exec_lo, exec_lo, s19
	s_and_saveexec_b32 s19, s16
	s_cbranch_execnz .LBB6_3843
	s_branch .LBB6_3844
.LBB6_4682:                             ;   in Loop: Header=BB6_3292 Depth=3
	s_or_saveexec_b32 s16, s16
	v_mov_b32_e32 v1, 0x7f800001
	s_xor_b32 exec_lo, exec_lo, s16
	s_cbranch_execz .LBB6_3856
.LBB6_4683:                             ;   in Loop: Header=BB6_3292 Depth=3
	v_cmp_ne_u16_sdwa s22, v35, v2 src0_sel:BYTE_0 src1_sel:DWORD
	v_mov_b32_e32 v1, 0
	s_andn2_b32 s19, s19, exec_lo
	s_and_b32 s22, s22, exec_lo
	s_or_b32 s19, s19, s22
	s_or_b32 exec_lo, exec_lo, s16
	s_and_saveexec_b32 s16, s19
	s_cbranch_execnz .LBB6_3857
	s_branch .LBB6_3858
.LBB6_4684:                             ;   in Loop: Header=BB6_3292 Depth=3
	s_or_saveexec_b32 s16, s16
	v_mov_b32_e32 v31, 0x7f800001
	s_xor_b32 exec_lo, exec_lo, s16
	s_cbranch_execz .LBB6_3862
.LBB6_4685:                             ;   in Loop: Header=BB6_3292 Depth=3
	v_cmp_ne_u16_sdwa s22, v27, v2 src0_sel:BYTE_0 src1_sel:DWORD
	v_mov_b32_e32 v31, 0
	s_andn2_b32 s19, s19, exec_lo
	s_and_b32 s22, s22, exec_lo
	s_or_b32 s19, s19, s22
	s_or_b32 exec_lo, exec_lo, s16
	s_and_saveexec_b32 s16, s19
	s_cbranch_execnz .LBB6_3863
	s_branch .LBB6_3864
.LBB6_4686:                             ;   in Loop: Header=BB6_3292 Depth=3
	s_or_saveexec_b32 s19, s19
	v_mov_b32_e32 v1, 0x7f800001
	s_xor_b32 exec_lo, exec_lo, s19
	s_cbranch_execz .LBB6_3876
.LBB6_4687:                             ;   in Loop: Header=BB6_3292 Depth=3
	v_cmp_ne_u16_sdwa s22, v35, v2 src0_sel:BYTE_1 src1_sel:DWORD
	v_mov_b32_e32 v1, 0
	s_andn2_b32 s16, s16, exec_lo
	s_and_b32 s22, s22, exec_lo
	s_or_b32 s16, s16, s22
	s_or_b32 exec_lo, exec_lo, s19
	s_and_saveexec_b32 s19, s16
	s_cbranch_execnz .LBB6_3877
	s_branch .LBB6_3878
.LBB6_4688:                             ;   in Loop: Header=BB6_3292 Depth=3
	s_or_saveexec_b32 s19, s19
	v_mov_b32_e32 v31, 0x7f800001
	s_xor_b32 exec_lo, exec_lo, s19
	s_cbranch_execz .LBB6_3882
.LBB6_4689:                             ;   in Loop: Header=BB6_3292 Depth=3
	v_cmp_ne_u16_sdwa s22, v27, v2 src0_sel:BYTE_1 src1_sel:DWORD
	v_mov_b32_e32 v31, 0
	s_andn2_b32 s16, s16, exec_lo
	s_and_b32 s22, s22, exec_lo
	s_or_b32 s16, s16, s22
	s_or_b32 exec_lo, exec_lo, s19
	s_and_saveexec_b32 s19, s16
	s_cbranch_execnz .LBB6_3883
	s_branch .LBB6_3884
.LBB6_4690:                             ;   in Loop: Header=BB6_3292 Depth=3
	s_or_saveexec_b32 s16, s16
	v_mov_b32_e32 v1, 0x7f800001
	s_xor_b32 exec_lo, exec_lo, s16
	s_cbranch_execz .LBB6_3896
.LBB6_4691:                             ;   in Loop: Header=BB6_3292 Depth=3
	v_cmp_ne_u16_e32 vcc_lo, 0, v31
	v_mov_b32_e32 v1, 0
	s_andn2_b32 s19, s19, exec_lo
	s_and_b32 s22, vcc_lo, exec_lo
	s_or_b32 s19, s19, s22
	s_or_b32 exec_lo, exec_lo, s16
	s_and_saveexec_b32 s16, s19
	s_cbranch_execnz .LBB6_3897
	s_branch .LBB6_3898
.LBB6_4692:                             ;   in Loop: Header=BB6_3292 Depth=3
	s_or_saveexec_b32 s16, s16
	v_mov_b32_e32 v31, 0x7f800001
	s_xor_b32 exec_lo, exec_lo, s16
	s_cbranch_execz .LBB6_3902
.LBB6_4693:                             ;   in Loop: Header=BB6_3292 Depth=3
	v_cmp_ne_u16_e32 vcc_lo, 0, v83
	v_mov_b32_e32 v31, 0
	s_andn2_b32 s19, s19, exec_lo
	s_and_b32 s22, vcc_lo, exec_lo
	s_or_b32 s19, s19, s22
	s_or_b32 exec_lo, exec_lo, s16
	s_and_saveexec_b32 s16, s19
	s_cbranch_execnz .LBB6_3903
	s_branch .LBB6_3904
.LBB6_4694:                             ;   in Loop: Header=BB6_3292 Depth=3
	s_or_saveexec_b32 s19, s19
	v_mov_b32_e32 v1, 0x7f800001
	s_xor_b32 exec_lo, exec_lo, s19
	s_cbranch_execz .LBB6_3916
.LBB6_4695:                             ;   in Loop: Header=BB6_3292 Depth=3
	v_cmp_ne_u16_sdwa s22, v35, v2 src0_sel:BYTE_3 src1_sel:DWORD
	v_mov_b32_e32 v1, 0
	s_andn2_b32 s16, s16, exec_lo
	s_and_b32 s22, s22, exec_lo
	s_or_b32 s16, s16, s22
	s_or_b32 exec_lo, exec_lo, s19
	s_and_saveexec_b32 s19, s16
	s_cbranch_execnz .LBB6_3917
	s_branch .LBB6_3918
.LBB6_4696:                             ;   in Loop: Header=BB6_3292 Depth=3
	s_or_saveexec_b32 s19, s19
	v_mov_b32_e32 v31, 0x7f800001
	s_xor_b32 exec_lo, exec_lo, s19
	s_cbranch_execz .LBB6_3922
.LBB6_4697:                             ;   in Loop: Header=BB6_3292 Depth=3
	v_cmp_ne_u16_sdwa s22, v27, v2 src0_sel:BYTE_3 src1_sel:DWORD
	v_mov_b32_e32 v31, 0
	s_andn2_b32 s16, s16, exec_lo
	s_and_b32 s22, s22, exec_lo
	s_or_b32 s16, s16, s22
	s_or_b32 exec_lo, exec_lo, s19
	s_and_saveexec_b32 s19, s16
	s_cbranch_execnz .LBB6_3923
	s_branch .LBB6_3924
.LBB6_4698:                             ;   in Loop: Header=BB6_3292 Depth=3
	s_or_saveexec_b32 s16, s16
	v_mov_b32_e32 v1, 0x7f800001
	s_xor_b32 exec_lo, exec_lo, s16
	s_cbranch_execz .LBB6_3936
.LBB6_4699:                             ;   in Loop: Header=BB6_3292 Depth=3
	v_cmp_ne_u16_sdwa s22, v20, v2 src0_sel:BYTE_0 src1_sel:DWORD
	v_mov_b32_e32 v1, 0
	s_andn2_b32 s19, s19, exec_lo
	s_and_b32 s22, s22, exec_lo
	s_or_b32 s19, s19, s22
	s_or_b32 exec_lo, exec_lo, s16
	s_and_saveexec_b32 s16, s19
	s_cbranch_execnz .LBB6_3937
	s_branch .LBB6_3938
.LBB6_4700:                             ;   in Loop: Header=BB6_3292 Depth=3
	s_or_saveexec_b32 s16, s16
	v_mov_b32_e32 v31, 0x7f800001
	s_xor_b32 exec_lo, exec_lo, s16
	s_cbranch_execz .LBB6_3942
.LBB6_4701:                             ;   in Loop: Header=BB6_3292 Depth=3
	v_cmp_ne_u16_sdwa s22, v16, v2 src0_sel:BYTE_0 src1_sel:DWORD
	v_mov_b32_e32 v31, 0
	s_andn2_b32 s19, s19, exec_lo
	s_and_b32 s22, s22, exec_lo
	s_or_b32 s19, s19, s22
	s_or_b32 exec_lo, exec_lo, s16
	s_and_saveexec_b32 s16, s19
	s_cbranch_execnz .LBB6_3943
	s_branch .LBB6_3944
.LBB6_4702:                             ;   in Loop: Header=BB6_3292 Depth=3
	s_or_saveexec_b32 s19, s19
	v_mov_b32_e32 v1, 0x7f800001
	s_xor_b32 exec_lo, exec_lo, s19
	s_cbranch_execz .LBB6_3956
.LBB6_4703:                             ;   in Loop: Header=BB6_3292 Depth=3
	v_cmp_ne_u16_sdwa s22, v20, v2 src0_sel:BYTE_1 src1_sel:DWORD
	v_mov_b32_e32 v1, 0
	s_andn2_b32 s16, s16, exec_lo
	s_and_b32 s22, s22, exec_lo
	s_or_b32 s16, s16, s22
	s_or_b32 exec_lo, exec_lo, s19
	s_and_saveexec_b32 s19, s16
	s_cbranch_execnz .LBB6_3957
	s_branch .LBB6_3958
.LBB6_4704:                             ;   in Loop: Header=BB6_3292 Depth=3
	s_or_saveexec_b32 s19, s19
	v_mov_b32_e32 v31, 0x7f800001
	s_xor_b32 exec_lo, exec_lo, s19
	s_cbranch_execz .LBB6_3962
.LBB6_4705:                             ;   in Loop: Header=BB6_3292 Depth=3
	v_cmp_ne_u16_sdwa s22, v16, v2 src0_sel:BYTE_1 src1_sel:DWORD
	v_mov_b32_e32 v31, 0
	s_andn2_b32 s16, s16, exec_lo
	s_and_b32 s22, s22, exec_lo
	s_or_b32 s16, s16, s22
	s_or_b32 exec_lo, exec_lo, s19
	s_and_saveexec_b32 s19, s16
	s_cbranch_execnz .LBB6_3963
	s_branch .LBB6_3964
.LBB6_4706:                             ;   in Loop: Header=BB6_3292 Depth=3
	s_or_saveexec_b32 s16, s16
	v_mov_b32_e32 v1, 0x7f800001
	s_xor_b32 exec_lo, exec_lo, s16
	s_cbranch_execz .LBB6_3976
.LBB6_4707:                             ;   in Loop: Header=BB6_3292 Depth=3
	v_cmp_ne_u16_e32 vcc_lo, 0, v31
	v_mov_b32_e32 v1, 0
	s_andn2_b32 s19, s19, exec_lo
	s_and_b32 s22, vcc_lo, exec_lo
	s_or_b32 s19, s19, s22
	s_or_b32 exec_lo, exec_lo, s16
	s_and_saveexec_b32 s16, s19
	s_cbranch_execnz .LBB6_3977
	s_branch .LBB6_3978
.LBB6_4708:                             ;   in Loop: Header=BB6_3292 Depth=3
	s_or_saveexec_b32 s16, s16
	v_mov_b32_e32 v31, 0x7f800001
	s_xor_b32 exec_lo, exec_lo, s16
	s_cbranch_execz .LBB6_3982
.LBB6_4709:                             ;   in Loop: Header=BB6_3292 Depth=3
	v_cmp_ne_u16_e32 vcc_lo, 0, v86
	v_mov_b32_e32 v31, 0
	s_andn2_b32 s19, s19, exec_lo
	s_and_b32 s22, vcc_lo, exec_lo
	s_or_b32 s19, s19, s22
	s_or_b32 exec_lo, exec_lo, s16
	s_and_saveexec_b32 s16, s19
	s_cbranch_execnz .LBB6_3983
	s_branch .LBB6_3984
.LBB6_4710:                             ;   in Loop: Header=BB6_3292 Depth=3
	s_or_saveexec_b32 s19, s19
	v_mov_b32_e32 v1, 0x7f800001
	s_xor_b32 exec_lo, exec_lo, s19
	s_cbranch_execz .LBB6_3996
.LBB6_4711:                             ;   in Loop: Header=BB6_3292 Depth=3
	v_cmp_ne_u16_sdwa s22, v20, v2 src0_sel:BYTE_3 src1_sel:DWORD
	v_mov_b32_e32 v1, 0
	s_andn2_b32 s16, s16, exec_lo
	s_and_b32 s22, s22, exec_lo
	s_or_b32 s16, s16, s22
	s_or_b32 exec_lo, exec_lo, s19
	s_and_saveexec_b32 s19, s16
	s_cbranch_execnz .LBB6_3997
	s_branch .LBB6_3998
.LBB6_4712:                             ;   in Loop: Header=BB6_3292 Depth=3
	s_or_saveexec_b32 s19, s19
	v_mov_b32_e32 v20, 0x7f800001
	s_xor_b32 exec_lo, exec_lo, s19
	s_cbranch_execz .LBB6_4002
.LBB6_4713:                             ;   in Loop: Header=BB6_3292 Depth=3
	v_cmp_ne_u16_sdwa s22, v16, v2 src0_sel:BYTE_3 src1_sel:DWORD
	v_mov_b32_e32 v20, 0
	s_andn2_b32 s16, s16, exec_lo
	s_and_b32 s22, s22, exec_lo
	s_or_b32 s16, s16, s22
	s_or_b32 exec_lo, exec_lo, s19
	s_and_saveexec_b32 s19, s16
	s_cbranch_execnz .LBB6_4003
	s_branch .LBB6_4004
.LBB6_4714:                             ;   in Loop: Header=BB6_3292 Depth=3
	s_or_saveexec_b32 s16, s16
	v_mov_b32_e32 v1, 0x7f800001
	s_xor_b32 exec_lo, exec_lo, s16
	s_cbranch_execz .LBB6_4016
.LBB6_4715:                             ;   in Loop: Header=BB6_3292 Depth=3
	v_cmp_ne_u16_sdwa s22, v21, v2 src0_sel:BYTE_0 src1_sel:DWORD
	v_mov_b32_e32 v1, 0
	s_andn2_b32 s19, s19, exec_lo
	s_and_b32 s22, s22, exec_lo
	s_or_b32 s19, s19, s22
	s_or_b32 exec_lo, exec_lo, s16
	s_and_saveexec_b32 s16, s19
	s_cbranch_execnz .LBB6_4017
	s_branch .LBB6_4018
.LBB6_4716:                             ;   in Loop: Header=BB6_3292 Depth=3
	s_or_saveexec_b32 s16, s16
	v_mov_b32_e32 v20, 0x7f800001
	s_xor_b32 exec_lo, exec_lo, s16
	s_cbranch_execz .LBB6_4022
.LBB6_4717:                             ;   in Loop: Header=BB6_3292 Depth=3
	v_cmp_ne_u16_sdwa s22, v17, v2 src0_sel:BYTE_0 src1_sel:DWORD
	v_mov_b32_e32 v20, 0
	s_andn2_b32 s19, s19, exec_lo
	s_and_b32 s22, s22, exec_lo
	s_or_b32 s19, s19, s22
	s_or_b32 exec_lo, exec_lo, s16
	s_and_saveexec_b32 s16, s19
	s_cbranch_execnz .LBB6_4023
	s_branch .LBB6_4024
.LBB6_4718:                             ;   in Loop: Header=BB6_3292 Depth=3
	s_or_saveexec_b32 s19, s19
	v_mov_b32_e32 v1, 0x7f800001
	s_xor_b32 exec_lo, exec_lo, s19
	s_cbranch_execz .LBB6_4036
.LBB6_4719:                             ;   in Loop: Header=BB6_3292 Depth=3
	v_cmp_ne_u16_sdwa s22, v21, v2 src0_sel:BYTE_1 src1_sel:DWORD
	v_mov_b32_e32 v1, 0
	s_andn2_b32 s16, s16, exec_lo
	s_and_b32 s22, s22, exec_lo
	s_or_b32 s16, s16, s22
	s_or_b32 exec_lo, exec_lo, s19
	s_and_saveexec_b32 s19, s16
	s_cbranch_execnz .LBB6_4037
	s_branch .LBB6_4038
.LBB6_4720:                             ;   in Loop: Header=BB6_3292 Depth=3
	s_or_saveexec_b32 s19, s19
	v_mov_b32_e32 v86, 0x7f800001
	s_xor_b32 exec_lo, exec_lo, s19
	s_cbranch_execz .LBB6_4042
.LBB6_4721:                             ;   in Loop: Header=BB6_3292 Depth=3
	v_cmp_ne_u16_sdwa s22, v17, v2 src0_sel:BYTE_1 src1_sel:DWORD
	v_mov_b32_e32 v86, 0
	s_andn2_b32 s16, s16, exec_lo
	s_and_b32 s22, s22, exec_lo
	s_or_b32 s16, s16, s22
	s_or_b32 exec_lo, exec_lo, s19
	s_and_saveexec_b32 s19, s16
	s_cbranch_execnz .LBB6_4043
	s_branch .LBB6_4044
.LBB6_4722:                             ;   in Loop: Header=BB6_3292 Depth=3
	s_or_saveexec_b32 s16, s16
	v_mov_b32_e32 v86, 0x7f800001
	s_xor_b32 exec_lo, exec_lo, s16
	s_cbranch_execz .LBB6_4056
.LBB6_4723:                             ;   in Loop: Header=BB6_3292 Depth=3
	v_cmp_ne_u16_e32 vcc_lo, 0, v87
	v_mov_b32_e32 v86, 0
	s_andn2_b32 s19, s19, exec_lo
	s_and_b32 s22, vcc_lo, exec_lo
	s_or_b32 s19, s19, s22
	s_or_b32 exec_lo, exec_lo, s16
	s_and_saveexec_b32 s16, s19
	s_cbranch_execnz .LBB6_4057
	s_branch .LBB6_4058
.LBB6_4724:                             ;   in Loop: Header=BB6_3292 Depth=3
	s_or_saveexec_b32 s16, s16
	v_mov_b32_e32 v87, 0x7f800001
	s_xor_b32 exec_lo, exec_lo, s16
	s_cbranch_execz .LBB6_4062
.LBB6_4725:                             ;   in Loop: Header=BB6_3292 Depth=3
	v_cmp_ne_u16_e32 vcc_lo, 0, v98
	v_mov_b32_e32 v87, 0
	s_andn2_b32 s19, s19, exec_lo
	s_and_b32 s22, vcc_lo, exec_lo
	s_or_b32 s19, s19, s22
	s_or_b32 exec_lo, exec_lo, s16
	s_and_saveexec_b32 s16, s19
	s_cbranch_execnz .LBB6_4063
	s_branch .LBB6_4064
.LBB6_4726:                             ;   in Loop: Header=BB6_3292 Depth=3
	s_or_saveexec_b32 s19, s19
	v_mov_b32_e32 v86, 0x7f800001
	s_xor_b32 exec_lo, exec_lo, s19
	s_cbranch_execz .LBB6_4076
.LBB6_4727:                             ;   in Loop: Header=BB6_3292 Depth=3
	v_cmp_ne_u16_sdwa s22, v21, v2 src0_sel:BYTE_3 src1_sel:DWORD
	v_mov_b32_e32 v86, 0
	s_andn2_b32 s16, s16, exec_lo
	s_and_b32 s22, s22, exec_lo
	s_or_b32 s16, s16, s22
	s_or_b32 exec_lo, exec_lo, s19
	s_and_saveexec_b32 s19, s16
	s_cbranch_execnz .LBB6_4077
	s_branch .LBB6_4078
.LBB6_4728:                             ;   in Loop: Header=BB6_3292 Depth=3
	s_or_saveexec_b32 s19, s19
	v_mov_b32_e32 v21, 0x7f800001
	s_xor_b32 exec_lo, exec_lo, s19
	s_cbranch_execz .LBB6_4082
.LBB6_4729:                             ;   in Loop: Header=BB6_3292 Depth=3
	v_cmp_ne_u16_sdwa s22, v17, v2 src0_sel:BYTE_3 src1_sel:DWORD
	v_mov_b32_e32 v21, 0
	s_andn2_b32 s16, s16, exec_lo
	s_and_b32 s22, s22, exec_lo
	s_or_b32 s16, s16, s22
	s_or_b32 exec_lo, exec_lo, s19
	s_and_saveexec_b32 s19, s16
	s_cbranch_execnz .LBB6_4083
	s_branch .LBB6_4084
.LBB6_4730:                             ;   in Loop: Header=BB6_3292 Depth=3
	s_or_saveexec_b32 s16, s16
	v_mov_b32_e32 v21, 0x7f800001
	s_xor_b32 exec_lo, exec_lo, s16
	s_cbranch_execz .LBB6_4096
.LBB6_4731:                             ;   in Loop: Header=BB6_3292 Depth=3
	v_cmp_ne_u16_sdwa s22, v22, v2 src0_sel:BYTE_0 src1_sel:DWORD
	v_mov_b32_e32 v21, 0
	s_andn2_b32 s19, s19, exec_lo
	s_and_b32 s22, s22, exec_lo
	s_or_b32 s19, s19, s22
	s_or_b32 exec_lo, exec_lo, s16
	s_and_saveexec_b32 s16, s19
	s_cbranch_execnz .LBB6_4097
	s_branch .LBB6_4098
.LBB6_4732:                             ;   in Loop: Header=BB6_3292 Depth=3
	s_or_saveexec_b32 s16, s16
	v_mov_b32_e32 v86, 0x7f800001
	s_xor_b32 exec_lo, exec_lo, s16
	s_cbranch_execz .LBB6_4102
.LBB6_4733:                             ;   in Loop: Header=BB6_3292 Depth=3
	v_cmp_ne_u16_sdwa s22, v18, v2 src0_sel:BYTE_0 src1_sel:DWORD
	v_mov_b32_e32 v86, 0
	s_andn2_b32 s19, s19, exec_lo
	s_and_b32 s22, s22, exec_lo
	s_or_b32 s19, s19, s22
	s_or_b32 exec_lo, exec_lo, s16
	s_and_saveexec_b32 s16, s19
	s_cbranch_execnz .LBB6_4103
	s_branch .LBB6_4104
.LBB6_4734:                             ;   in Loop: Header=BB6_3292 Depth=3
	s_or_saveexec_b32 s19, s19
	v_mov_b32_e32 v86, 0x7f800001
	s_xor_b32 exec_lo, exec_lo, s19
	s_cbranch_execz .LBB6_4116
.LBB6_4735:                             ;   in Loop: Header=BB6_3292 Depth=3
	v_cmp_ne_u16_sdwa s22, v22, v2 src0_sel:BYTE_1 src1_sel:DWORD
	v_mov_b32_e32 v86, 0
	s_andn2_b32 s16, s16, exec_lo
	s_and_b32 s22, s22, exec_lo
	s_or_b32 s16, s16, s22
	s_or_b32 exec_lo, exec_lo, s19
	s_and_saveexec_b32 s19, s16
	s_cbranch_execnz .LBB6_4117
	s_branch .LBB6_4118
.LBB6_4736:                             ;   in Loop: Header=BB6_3292 Depth=3
	s_or_saveexec_b32 s19, s19
	v_mov_b32_e32 v87, 0x7f800001
	s_xor_b32 exec_lo, exec_lo, s19
	s_cbranch_execz .LBB6_4122
.LBB6_4737:                             ;   in Loop: Header=BB6_3292 Depth=3
	v_cmp_ne_u16_sdwa s22, v18, v2 src0_sel:BYTE_1 src1_sel:DWORD
	v_mov_b32_e32 v87, 0
	s_andn2_b32 s16, s16, exec_lo
	s_and_b32 s22, s22, exec_lo
	s_or_b32 s16, s16, s22
	s_or_b32 exec_lo, exec_lo, s19
	s_and_saveexec_b32 s19, s16
	s_cbranch_execnz .LBB6_4123
	s_branch .LBB6_4124
.LBB6_4738:                             ;   in Loop: Header=BB6_3292 Depth=3
	s_or_saveexec_b32 s16, s16
	v_mov_b32_e32 v86, 0x7f800001
	s_xor_b32 exec_lo, exec_lo, s16
	s_cbranch_execz .LBB6_4136
.LBB6_4739:                             ;   in Loop: Header=BB6_3292 Depth=3
	v_cmp_ne_u16_e32 vcc_lo, 0, v87
	v_mov_b32_e32 v86, 0
	s_andn2_b32 s19, s19, exec_lo
	s_and_b32 s22, vcc_lo, exec_lo
	s_or_b32 s19, s19, s22
	s_or_b32 exec_lo, exec_lo, s16
	s_and_saveexec_b32 s16, s19
	s_cbranch_execnz .LBB6_4137
	s_branch .LBB6_4138
.LBB6_4740:                             ;   in Loop: Header=BB6_3292 Depth=3
	s_or_saveexec_b32 s16, s16
	v_mov_b32_e32 v87, 0x7f800001
	s_xor_b32 exec_lo, exec_lo, s16
	s_cbranch_execz .LBB6_4142
.LBB6_4741:                             ;   in Loop: Header=BB6_3292 Depth=3
	v_cmp_ne_u16_e32 vcc_lo, 0, v98
	v_mov_b32_e32 v87, 0
	s_andn2_b32 s19, s19, exec_lo
	s_and_b32 s22, vcc_lo, exec_lo
	s_or_b32 s19, s19, s22
	s_or_b32 exec_lo, exec_lo, s16
	s_and_saveexec_b32 s16, s19
	s_cbranch_execnz .LBB6_4143
	s_branch .LBB6_4144
.LBB6_4742:                             ;   in Loop: Header=BB6_3292 Depth=3
	s_or_saveexec_b32 s19, s19
	v_mov_b32_e32 v86, 0x7f800001
	s_xor_b32 exec_lo, exec_lo, s19
	s_cbranch_execz .LBB6_4156
.LBB6_4743:                             ;   in Loop: Header=BB6_3292 Depth=3
	v_cmp_ne_u16_sdwa s22, v22, v2 src0_sel:BYTE_3 src1_sel:DWORD
	v_mov_b32_e32 v86, 0
	s_andn2_b32 s16, s16, exec_lo
	s_and_b32 s22, s22, exec_lo
	s_or_b32 s16, s16, s22
	s_or_b32 exec_lo, exec_lo, s19
	s_and_saveexec_b32 s19, s16
	s_cbranch_execnz .LBB6_4157
	s_branch .LBB6_4158
.LBB6_4744:                             ;   in Loop: Header=BB6_3292 Depth=3
	s_or_saveexec_b32 s19, s19
	v_mov_b32_e32 v22, 0x7f800001
	s_xor_b32 exec_lo, exec_lo, s19
	s_cbranch_execz .LBB6_4162
.LBB6_4745:                             ;   in Loop: Header=BB6_3292 Depth=3
	v_cmp_ne_u16_sdwa s22, v18, v2 src0_sel:BYTE_3 src1_sel:DWORD
	v_mov_b32_e32 v22, 0
	s_andn2_b32 s16, s16, exec_lo
	s_and_b32 s22, s22, exec_lo
	s_or_b32 s16, s16, s22
	s_or_b32 exec_lo, exec_lo, s19
	s_and_saveexec_b32 s19, s16
	s_cbranch_execnz .LBB6_4163
	s_branch .LBB6_4164
.LBB6_4746:                             ;   in Loop: Header=BB6_3292 Depth=3
	s_or_saveexec_b32 s16, s16
	v_mov_b32_e32 v22, 0x7f800001
	s_xor_b32 exec_lo, exec_lo, s16
	s_cbranch_execz .LBB6_4176
.LBB6_4747:                             ;   in Loop: Header=BB6_3292 Depth=3
	v_cmp_ne_u16_sdwa s22, v23, v2 src0_sel:BYTE_0 src1_sel:DWORD
	v_mov_b32_e32 v22, 0
	s_andn2_b32 s19, s19, exec_lo
	s_and_b32 s22, s22, exec_lo
	s_or_b32 s19, s19, s22
	s_or_b32 exec_lo, exec_lo, s16
	s_and_saveexec_b32 s16, s19
	s_cbranch_execnz .LBB6_4177
	s_branch .LBB6_4178
.LBB6_4748:                             ;   in Loop: Header=BB6_3292 Depth=3
	s_or_saveexec_b32 s16, s16
	v_mov_b32_e32 v86, 0x7f800001
	s_xor_b32 exec_lo, exec_lo, s16
	s_cbranch_execz .LBB6_4182
.LBB6_4749:                             ;   in Loop: Header=BB6_3292 Depth=3
	v_cmp_ne_u16_sdwa s22, v19, v2 src0_sel:BYTE_0 src1_sel:DWORD
	v_mov_b32_e32 v86, 0
	s_andn2_b32 s19, s19, exec_lo
	s_and_b32 s22, s22, exec_lo
	s_or_b32 s19, s19, s22
	s_or_b32 exec_lo, exec_lo, s16
	s_and_saveexec_b32 s16, s19
	s_cbranch_execnz .LBB6_4183
	s_branch .LBB6_4184
.LBB6_4750:                             ;   in Loop: Header=BB6_3292 Depth=3
	s_or_saveexec_b32 s19, s19
	v_mov_b32_e32 v86, 0x7f800001
	s_xor_b32 exec_lo, exec_lo, s19
	s_cbranch_execz .LBB6_4196
.LBB6_4751:                             ;   in Loop: Header=BB6_3292 Depth=3
	v_cmp_ne_u16_sdwa s22, v23, v2 src0_sel:BYTE_1 src1_sel:DWORD
	v_mov_b32_e32 v86, 0
	s_andn2_b32 s16, s16, exec_lo
	s_and_b32 s22, s22, exec_lo
	s_or_b32 s16, s16, s22
	s_or_b32 exec_lo, exec_lo, s19
	s_and_saveexec_b32 s19, s16
	s_cbranch_execnz .LBB6_4197
	s_branch .LBB6_4198
.LBB6_4752:                             ;   in Loop: Header=BB6_3292 Depth=3
	s_or_saveexec_b32 s19, s19
	v_mov_b32_e32 v87, 0x7f800001
	s_xor_b32 exec_lo, exec_lo, s19
	s_cbranch_execz .LBB6_4202
.LBB6_4753:                             ;   in Loop: Header=BB6_3292 Depth=3
	v_cmp_ne_u16_sdwa s22, v19, v2 src0_sel:BYTE_1 src1_sel:DWORD
	v_mov_b32_e32 v87, 0
	s_andn2_b32 s16, s16, exec_lo
	s_and_b32 s22, s22, exec_lo
	s_or_b32 s16, s16, s22
	s_or_b32 exec_lo, exec_lo, s19
	s_and_saveexec_b32 s19, s16
	s_cbranch_execnz .LBB6_4203
	s_branch .LBB6_4204
.LBB6_4754:                             ;   in Loop: Header=BB6_3292 Depth=3
	s_or_saveexec_b32 s16, s16
	v_mov_b32_e32 v86, 0x7f800001
	s_xor_b32 exec_lo, exec_lo, s16
	s_cbranch_execz .LBB6_4216
.LBB6_4755:                             ;   in Loop: Header=BB6_3292 Depth=3
	v_cmp_ne_u16_e32 vcc_lo, 0, v87
	v_mov_b32_e32 v86, 0
	s_andn2_b32 s19, s19, exec_lo
	s_and_b32 s22, vcc_lo, exec_lo
	s_or_b32 s19, s19, s22
	s_or_b32 exec_lo, exec_lo, s16
	s_and_saveexec_b32 s16, s19
	s_cbranch_execnz .LBB6_4217
	s_branch .LBB6_4218
.LBB6_4756:                             ;   in Loop: Header=BB6_3292 Depth=3
	s_or_saveexec_b32 s16, s16
	v_mov_b32_e32 v87, 0x7f800001
	s_xor_b32 exec_lo, exec_lo, s16
	s_cbranch_execz .LBB6_4222
.LBB6_4757:                             ;   in Loop: Header=BB6_3292 Depth=3
	v_cmp_ne_u16_e32 vcc_lo, 0, v98
	v_mov_b32_e32 v87, 0
	s_andn2_b32 s19, s19, exec_lo
	s_and_b32 s22, vcc_lo, exec_lo
	s_or_b32 s19, s19, s22
	s_or_b32 exec_lo, exec_lo, s16
	s_and_saveexec_b32 s16, s19
	s_cbranch_execnz .LBB6_4223
	s_branch .LBB6_4224
.LBB6_4758:                             ;   in Loop: Header=BB6_3292 Depth=3
	s_or_saveexec_b32 s19, s19
	v_mov_b32_e32 v86, 0x7f800001
	s_xor_b32 exec_lo, exec_lo, s19
	s_cbranch_execz .LBB6_4236
.LBB6_4759:                             ;   in Loop: Header=BB6_3292 Depth=3
	v_cmp_ne_u16_sdwa s22, v23, v2 src0_sel:BYTE_3 src1_sel:DWORD
	v_mov_b32_e32 v86, 0
	s_andn2_b32 s16, s16, exec_lo
	s_and_b32 s22, s22, exec_lo
	s_or_b32 s16, s16, s22
	s_or_b32 exec_lo, exec_lo, s19
	s_and_saveexec_b32 s19, s16
	s_cbranch_execnz .LBB6_4237
	s_branch .LBB6_4238
.LBB6_4760:                             ;   in Loop: Header=BB6_3292 Depth=3
	s_or_saveexec_b32 s19, s19
	v_mov_b32_e32 v23, 0x7f800001
	s_xor_b32 exec_lo, exec_lo, s19
	s_cbranch_execz .LBB6_4242
.LBB6_4761:                             ;   in Loop: Header=BB6_3292 Depth=3
	v_cmp_ne_u16_sdwa s22, v19, v2 src0_sel:BYTE_3 src1_sel:DWORD
	v_mov_b32_e32 v23, 0
	s_andn2_b32 s16, s16, exec_lo
	s_and_b32 s22, s22, exec_lo
	s_or_b32 s16, s16, s22
	s_or_b32 exec_lo, exec_lo, s19
	s_and_saveexec_b32 s19, s16
	s_cbranch_execnz .LBB6_4243
	s_branch .LBB6_4244
.LBB6_4762:                             ;   in Loop: Header=BB6_3292 Depth=3
	s_or_saveexec_b32 s16, s16
	v_mov_b32_e32 v23, 0x7f800001
	s_xor_b32 exec_lo, exec_lo, s16
	s_cbranch_execz .LBB6_4256
.LBB6_4763:                             ;   in Loop: Header=BB6_3292 Depth=3
	v_cmp_ne_u16_sdwa s22, v12, v2 src0_sel:BYTE_0 src1_sel:DWORD
	v_mov_b32_e32 v23, 0
	s_andn2_b32 s19, s19, exec_lo
	s_and_b32 s22, s22, exec_lo
	s_or_b32 s19, s19, s22
	s_or_b32 exec_lo, exec_lo, s16
	s_and_saveexec_b32 s16, s19
	s_cbranch_execnz .LBB6_4257
	s_branch .LBB6_4258
.LBB6_4764:                             ;   in Loop: Header=BB6_3292 Depth=3
	s_or_saveexec_b32 s16, s16
	v_mov_b32_e32 v86, 0x7f800001
	s_xor_b32 exec_lo, exec_lo, s16
	s_cbranch_execz .LBB6_4262
.LBB6_4765:                             ;   in Loop: Header=BB6_3292 Depth=3
	v_cmp_ne_u16_sdwa s22, v8, v2 src0_sel:BYTE_0 src1_sel:DWORD
	v_mov_b32_e32 v86, 0
	s_andn2_b32 s19, s19, exec_lo
	s_and_b32 s22, s22, exec_lo
	s_or_b32 s19, s19, s22
	s_or_b32 exec_lo, exec_lo, s16
	s_and_saveexec_b32 s16, s19
	s_cbranch_execnz .LBB6_4263
	s_branch .LBB6_4264
.LBB6_4766:                             ;   in Loop: Header=BB6_3292 Depth=3
	s_or_saveexec_b32 s19, s19
	v_mov_b32_e32 v86, 0x7f800001
	s_xor_b32 exec_lo, exec_lo, s19
	s_cbranch_execz .LBB6_4276
.LBB6_4767:                             ;   in Loop: Header=BB6_3292 Depth=3
	v_cmp_ne_u16_sdwa s22, v12, v2 src0_sel:BYTE_1 src1_sel:DWORD
	v_mov_b32_e32 v86, 0
	s_andn2_b32 s16, s16, exec_lo
	s_and_b32 s22, s22, exec_lo
	s_or_b32 s16, s16, s22
	s_or_b32 exec_lo, exec_lo, s19
	s_and_saveexec_b32 s19, s16
	s_cbranch_execnz .LBB6_4277
	s_branch .LBB6_4278
.LBB6_4768:                             ;   in Loop: Header=BB6_3292 Depth=3
	s_or_saveexec_b32 s19, s19
	v_mov_b32_e32 v87, 0x7f800001
	s_xor_b32 exec_lo, exec_lo, s19
	s_cbranch_execz .LBB6_4282
.LBB6_4769:                             ;   in Loop: Header=BB6_3292 Depth=3
	v_cmp_ne_u16_sdwa s22, v8, v2 src0_sel:BYTE_1 src1_sel:DWORD
	v_mov_b32_e32 v87, 0
	s_andn2_b32 s16, s16, exec_lo
	s_and_b32 s22, s22, exec_lo
	s_or_b32 s16, s16, s22
	s_or_b32 exec_lo, exec_lo, s19
	s_and_saveexec_b32 s19, s16
	s_cbranch_execnz .LBB6_4283
	s_branch .LBB6_4284
.LBB6_4770:                             ;   in Loop: Header=BB6_3292 Depth=3
	s_or_saveexec_b32 s16, s16
	v_mov_b32_e32 v86, 0x7f800001
	s_xor_b32 exec_lo, exec_lo, s16
	s_cbranch_execz .LBB6_4296
.LBB6_4771:                             ;   in Loop: Header=BB6_3292 Depth=3
	v_cmp_ne_u16_e32 vcc_lo, 0, v87
	v_mov_b32_e32 v86, 0
	s_andn2_b32 s19, s19, exec_lo
	s_and_b32 s22, vcc_lo, exec_lo
	s_or_b32 s19, s19, s22
	s_or_b32 exec_lo, exec_lo, s16
	s_and_saveexec_b32 s16, s19
	s_cbranch_execnz .LBB6_4297
	s_branch .LBB6_4298
.LBB6_4772:                             ;   in Loop: Header=BB6_3292 Depth=3
	s_or_saveexec_b32 s16, s16
	v_mov_b32_e32 v87, 0x7f800001
	s_xor_b32 exec_lo, exec_lo, s16
	s_cbranch_execz .LBB6_4302
.LBB6_4773:                             ;   in Loop: Header=BB6_3292 Depth=3
	v_cmp_ne_u16_e32 vcc_lo, 0, v99
	v_mov_b32_e32 v87, 0
	s_andn2_b32 s19, s19, exec_lo
	s_and_b32 s22, vcc_lo, exec_lo
	s_or_b32 s19, s19, s22
	s_or_b32 exec_lo, exec_lo, s16
	s_and_saveexec_b32 s16, s19
	s_cbranch_execnz .LBB6_4303
	s_branch .LBB6_4304
.LBB6_4774:                             ;   in Loop: Header=BB6_3292 Depth=3
	s_or_saveexec_b32 s19, s19
	v_mov_b32_e32 v86, 0x7f800001
	s_xor_b32 exec_lo, exec_lo, s19
	s_cbranch_execz .LBB6_4316
.LBB6_4775:                             ;   in Loop: Header=BB6_3292 Depth=3
	v_cmp_ne_u16_sdwa s22, v12, v2 src0_sel:BYTE_3 src1_sel:DWORD
	v_mov_b32_e32 v86, 0
	s_andn2_b32 s16, s16, exec_lo
	s_and_b32 s22, s22, exec_lo
	s_or_b32 s16, s16, s22
	s_or_b32 exec_lo, exec_lo, s19
	s_and_saveexec_b32 s19, s16
	s_cbranch_execnz .LBB6_4317
	s_branch .LBB6_4318
.LBB6_4776:                             ;   in Loop: Header=BB6_3292 Depth=3
	s_or_saveexec_b32 s19, s19
	v_mov_b32_e32 v12, 0x7f800001
	s_xor_b32 exec_lo, exec_lo, s19
	s_cbranch_execz .LBB6_4322
.LBB6_4777:                             ;   in Loop: Header=BB6_3292 Depth=3
	v_cmp_ne_u16_sdwa s22, v8, v2 src0_sel:BYTE_3 src1_sel:DWORD
	v_mov_b32_e32 v12, 0
	s_andn2_b32 s16, s16, exec_lo
	s_and_b32 s22, s22, exec_lo
	s_or_b32 s16, s16, s22
	s_or_b32 exec_lo, exec_lo, s19
	s_and_saveexec_b32 s19, s16
	s_cbranch_execnz .LBB6_4323
	s_branch .LBB6_4324
.LBB6_4778:                             ;   in Loop: Header=BB6_3292 Depth=3
	s_or_saveexec_b32 s16, s16
	v_mov_b32_e32 v12, 0x7f800001
	s_xor_b32 exec_lo, exec_lo, s16
	s_cbranch_execz .LBB6_4336
.LBB6_4779:                             ;   in Loop: Header=BB6_3292 Depth=3
	v_cmp_ne_u16_sdwa s22, v13, v2 src0_sel:BYTE_0 src1_sel:DWORD
	v_mov_b32_e32 v12, 0
	s_andn2_b32 s19, s19, exec_lo
	s_and_b32 s22, s22, exec_lo
	s_or_b32 s19, s19, s22
	s_or_b32 exec_lo, exec_lo, s16
	s_and_saveexec_b32 s16, s19
	s_cbranch_execnz .LBB6_4337
	s_branch .LBB6_4338
.LBB6_4780:                             ;   in Loop: Header=BB6_3292 Depth=3
	s_or_saveexec_b32 s16, s16
	v_mov_b32_e32 v86, 0x7f800001
	s_xor_b32 exec_lo, exec_lo, s16
	s_cbranch_execz .LBB6_4342
.LBB6_4781:                             ;   in Loop: Header=BB6_3292 Depth=3
	v_cmp_ne_u16_sdwa s22, v9, v2 src0_sel:BYTE_0 src1_sel:DWORD
	v_mov_b32_e32 v86, 0
	s_andn2_b32 s19, s19, exec_lo
	s_and_b32 s22, s22, exec_lo
	s_or_b32 s19, s19, s22
	s_or_b32 exec_lo, exec_lo, s16
	s_and_saveexec_b32 s16, s19
	s_cbranch_execnz .LBB6_4343
	s_branch .LBB6_4344
.LBB6_4782:                             ;   in Loop: Header=BB6_3292 Depth=3
	s_or_saveexec_b32 s19, s19
	v_mov_b32_e32 v86, 0x7f800001
	s_xor_b32 exec_lo, exec_lo, s19
	s_cbranch_execz .LBB6_4356
.LBB6_4783:                             ;   in Loop: Header=BB6_3292 Depth=3
	v_cmp_ne_u16_sdwa s22, v13, v2 src0_sel:BYTE_1 src1_sel:DWORD
	v_mov_b32_e32 v86, 0
	s_andn2_b32 s16, s16, exec_lo
	s_and_b32 s22, s22, exec_lo
	s_or_b32 s16, s16, s22
	s_or_b32 exec_lo, exec_lo, s19
	s_and_saveexec_b32 s19, s16
	s_cbranch_execnz .LBB6_4357
	s_branch .LBB6_4358
.LBB6_4784:                             ;   in Loop: Header=BB6_3292 Depth=3
	s_or_saveexec_b32 s19, s19
	v_mov_b32_e32 v87, 0x7f800001
	s_xor_b32 exec_lo, exec_lo, s19
	s_cbranch_execz .LBB6_4362
.LBB6_4785:                             ;   in Loop: Header=BB6_3292 Depth=3
	v_cmp_ne_u16_sdwa s22, v9, v2 src0_sel:BYTE_1 src1_sel:DWORD
	v_mov_b32_e32 v87, 0
	s_andn2_b32 s16, s16, exec_lo
	s_and_b32 s22, s22, exec_lo
	s_or_b32 s16, s16, s22
	s_or_b32 exec_lo, exec_lo, s19
	s_and_saveexec_b32 s19, s16
	s_cbranch_execnz .LBB6_4363
	s_branch .LBB6_4364
.LBB6_4786:                             ;   in Loop: Header=BB6_3292 Depth=3
	s_or_saveexec_b32 s16, s16
	v_mov_b32_e32 v86, 0x7f800001
	s_xor_b32 exec_lo, exec_lo, s16
	s_cbranch_execz .LBB6_4376
.LBB6_4787:                             ;   in Loop: Header=BB6_3292 Depth=3
	v_cmp_ne_u16_e32 vcc_lo, 0, v87
	v_mov_b32_e32 v86, 0
	s_andn2_b32 s19, s19, exec_lo
	s_and_b32 s22, vcc_lo, exec_lo
	s_or_b32 s19, s19, s22
	s_or_b32 exec_lo, exec_lo, s16
	s_and_saveexec_b32 s16, s19
	s_cbranch_execnz .LBB6_4377
	s_branch .LBB6_4378
.LBB6_4788:                             ;   in Loop: Header=BB6_3292 Depth=3
	s_or_saveexec_b32 s16, s16
	v_mov_b32_e32 v87, 0x7f800001
	s_xor_b32 exec_lo, exec_lo, s16
	s_cbranch_execz .LBB6_4382
.LBB6_4789:                             ;   in Loop: Header=BB6_3292 Depth=3
	v_cmp_ne_u16_e32 vcc_lo, 0, v112
	v_mov_b32_e32 v87, 0
	s_andn2_b32 s19, s19, exec_lo
	s_and_b32 s22, vcc_lo, exec_lo
	s_or_b32 s19, s19, s22
	s_or_b32 exec_lo, exec_lo, s16
	s_and_saveexec_b32 s16, s19
	s_cbranch_execnz .LBB6_4383
	s_branch .LBB6_4384
.LBB6_4790:                             ;   in Loop: Header=BB6_3292 Depth=3
	s_or_saveexec_b32 s19, s19
	v_mov_b32_e32 v86, 0x7f800001
	s_xor_b32 exec_lo, exec_lo, s19
	s_cbranch_execz .LBB6_4396
.LBB6_4791:                             ;   in Loop: Header=BB6_3292 Depth=3
	v_cmp_ne_u16_sdwa s22, v13, v2 src0_sel:BYTE_3 src1_sel:DWORD
	v_mov_b32_e32 v86, 0
	s_andn2_b32 s16, s16, exec_lo
	s_and_b32 s22, s22, exec_lo
	s_or_b32 s16, s16, s22
	s_or_b32 exec_lo, exec_lo, s19
	s_and_saveexec_b32 s19, s16
	s_cbranch_execnz .LBB6_4397
	s_branch .LBB6_4398
.LBB6_4792:                             ;   in Loop: Header=BB6_3292 Depth=3
	s_or_saveexec_b32 s19, s19
	v_mov_b32_e32 v13, 0x7f800001
	s_xor_b32 exec_lo, exec_lo, s19
	s_cbranch_execz .LBB6_4402
.LBB6_4793:                             ;   in Loop: Header=BB6_3292 Depth=3
	v_cmp_ne_u16_sdwa s22, v9, v2 src0_sel:BYTE_3 src1_sel:DWORD
	v_mov_b32_e32 v13, 0
	s_andn2_b32 s16, s16, exec_lo
	s_and_b32 s22, s22, exec_lo
	s_or_b32 s16, s16, s22
	s_or_b32 exec_lo, exec_lo, s19
	s_and_saveexec_b32 s19, s16
	s_cbranch_execnz .LBB6_4403
	s_branch .LBB6_4404
.LBB6_4794:                             ;   in Loop: Header=BB6_3292 Depth=3
	s_or_saveexec_b32 s16, s16
	v_mov_b32_e32 v13, 0x7f800001
	s_xor_b32 exec_lo, exec_lo, s16
	s_cbranch_execz .LBB6_4416
.LBB6_4795:                             ;   in Loop: Header=BB6_3292 Depth=3
	v_cmp_ne_u16_sdwa s22, v14, v2 src0_sel:BYTE_0 src1_sel:DWORD
	v_mov_b32_e32 v13, 0
	s_andn2_b32 s19, s19, exec_lo
	s_and_b32 s22, s22, exec_lo
	s_or_b32 s19, s19, s22
	s_or_b32 exec_lo, exec_lo, s16
	s_and_saveexec_b32 s16, s19
	s_cbranch_execnz .LBB6_4417
	s_branch .LBB6_4418
.LBB6_4796:                             ;   in Loop: Header=BB6_3292 Depth=3
	s_or_saveexec_b32 s16, s16
	v_mov_b32_e32 v86, 0x7f800001
	s_xor_b32 exec_lo, exec_lo, s16
	s_cbranch_execz .LBB6_4422
.LBB6_4797:                             ;   in Loop: Header=BB6_3292 Depth=3
	v_cmp_ne_u16_sdwa s22, v10, v2 src0_sel:BYTE_0 src1_sel:DWORD
	v_mov_b32_e32 v86, 0
	s_andn2_b32 s19, s19, exec_lo
	s_and_b32 s22, s22, exec_lo
	s_or_b32 s19, s19, s22
	s_or_b32 exec_lo, exec_lo, s16
	s_and_saveexec_b32 s16, s19
	s_cbranch_execnz .LBB6_4423
	s_branch .LBB6_4424
.LBB6_4798:                             ;   in Loop: Header=BB6_3292 Depth=3
	s_or_saveexec_b32 s19, s19
	v_mov_b32_e32 v86, 0x7f800001
	s_xor_b32 exec_lo, exec_lo, s19
	s_cbranch_execz .LBB6_4436
.LBB6_4799:                             ;   in Loop: Header=BB6_3292 Depth=3
	v_cmp_ne_u16_sdwa s22, v14, v2 src0_sel:BYTE_1 src1_sel:DWORD
	v_mov_b32_e32 v86, 0
	s_andn2_b32 s16, s16, exec_lo
	s_and_b32 s22, s22, exec_lo
	s_or_b32 s16, s16, s22
	s_or_b32 exec_lo, exec_lo, s19
	s_and_saveexec_b32 s19, s16
	s_cbranch_execnz .LBB6_4437
	s_branch .LBB6_4438
.LBB6_4800:                             ;   in Loop: Header=BB6_3292 Depth=3
	s_or_saveexec_b32 s19, s19
	v_mov_b32_e32 v87, 0x7f800001
	s_xor_b32 exec_lo, exec_lo, s19
	s_cbranch_execz .LBB6_4442
.LBB6_4801:                             ;   in Loop: Header=BB6_3292 Depth=3
	v_cmp_ne_u16_sdwa s22, v10, v2 src0_sel:BYTE_1 src1_sel:DWORD
	v_mov_b32_e32 v87, 0
	s_andn2_b32 s16, s16, exec_lo
	s_and_b32 s22, s22, exec_lo
	s_or_b32 s16, s16, s22
	s_or_b32 exec_lo, exec_lo, s19
	s_and_saveexec_b32 s19, s16
	s_cbranch_execnz .LBB6_4443
	s_branch .LBB6_4444
.LBB6_4802:                             ;   in Loop: Header=BB6_3292 Depth=3
	s_or_saveexec_b32 s16, s16
	v_mov_b32_e32 v86, 0x7f800001
	s_xor_b32 exec_lo, exec_lo, s16
	s_cbranch_execz .LBB6_4456
.LBB6_4803:                             ;   in Loop: Header=BB6_3292 Depth=3
	v_cmp_ne_u16_e32 vcc_lo, 0, v87
	v_mov_b32_e32 v86, 0
	s_andn2_b32 s19, s19, exec_lo
	s_and_b32 s22, vcc_lo, exec_lo
	s_or_b32 s19, s19, s22
	s_or_b32 exec_lo, exec_lo, s16
	s_and_saveexec_b32 s16, s19
	s_cbranch_execnz .LBB6_4457
	s_branch .LBB6_4458
.LBB6_4804:                             ;   in Loop: Header=BB6_3292 Depth=3
	s_or_saveexec_b32 s16, s16
	v_mov_b32_e32 v87, 0x7f800001
	s_xor_b32 exec_lo, exec_lo, s16
	s_cbranch_execz .LBB6_4462
.LBB6_4805:                             ;   in Loop: Header=BB6_3292 Depth=3
	v_cmp_ne_u16_e32 vcc_lo, 0, v112
	v_mov_b32_e32 v87, 0
	s_andn2_b32 s19, s19, exec_lo
	s_and_b32 s22, vcc_lo, exec_lo
	s_or_b32 s19, s19, s22
	s_or_b32 exec_lo, exec_lo, s16
	s_and_saveexec_b32 s16, s19
	s_cbranch_execnz .LBB6_4463
	s_branch .LBB6_4464
.LBB6_4806:                             ;   in Loop: Header=BB6_3292 Depth=3
	s_or_saveexec_b32 s19, s19
	v_mov_b32_e32 v86, 0x7f800001
	s_xor_b32 exec_lo, exec_lo, s19
	s_cbranch_execz .LBB6_4476
.LBB6_4807:                             ;   in Loop: Header=BB6_3292 Depth=3
	v_cmp_ne_u16_sdwa s22, v14, v2 src0_sel:BYTE_3 src1_sel:DWORD
	v_mov_b32_e32 v86, 0
	s_andn2_b32 s16, s16, exec_lo
	s_and_b32 s22, s22, exec_lo
	s_or_b32 s16, s16, s22
	s_or_b32 exec_lo, exec_lo, s19
	s_and_saveexec_b32 s19, s16
	s_cbranch_execnz .LBB6_4477
	s_branch .LBB6_4478
.LBB6_4808:                             ;   in Loop: Header=BB6_3292 Depth=3
	s_or_saveexec_b32 s19, s19
	v_mov_b32_e32 v14, 0x7f800001
	s_xor_b32 exec_lo, exec_lo, s19
	s_cbranch_execz .LBB6_4482
.LBB6_4809:                             ;   in Loop: Header=BB6_3292 Depth=3
	v_cmp_ne_u16_sdwa s22, v10, v2 src0_sel:BYTE_3 src1_sel:DWORD
	v_mov_b32_e32 v14, 0
	s_andn2_b32 s16, s16, exec_lo
	s_and_b32 s22, s22, exec_lo
	s_or_b32 s16, s16, s22
	s_or_b32 exec_lo, exec_lo, s19
	s_and_saveexec_b32 s19, s16
	s_cbranch_execnz .LBB6_4483
	s_branch .LBB6_4484
.LBB6_4810:                             ;   in Loop: Header=BB6_3292 Depth=3
	s_or_saveexec_b32 s16, s16
	v_mov_b32_e32 v14, 0x7f800001
	s_xor_b32 exec_lo, exec_lo, s16
	s_cbranch_execz .LBB6_4496
.LBB6_4811:                             ;   in Loop: Header=BB6_3292 Depth=3
	v_cmp_ne_u16_sdwa s22, v15, v2 src0_sel:BYTE_0 src1_sel:DWORD
	v_mov_b32_e32 v14, 0
	s_andn2_b32 s19, s19, exec_lo
	s_and_b32 s22, s22, exec_lo
	s_or_b32 s19, s19, s22
	s_or_b32 exec_lo, exec_lo, s16
	s_and_saveexec_b32 s16, s19
	s_cbranch_execnz .LBB6_4497
	s_branch .LBB6_4498
.LBB6_4812:                             ;   in Loop: Header=BB6_3292 Depth=3
	s_or_saveexec_b32 s16, s16
	v_mov_b32_e32 v86, 0x7f800001
	s_xor_b32 exec_lo, exec_lo, s16
	s_cbranch_execz .LBB6_4502
.LBB6_4813:                             ;   in Loop: Header=BB6_3292 Depth=3
	v_cmp_ne_u16_sdwa s22, v11, v2 src0_sel:BYTE_0 src1_sel:DWORD
	v_mov_b32_e32 v86, 0
	s_andn2_b32 s19, s19, exec_lo
	s_and_b32 s22, s22, exec_lo
	s_or_b32 s19, s19, s22
	s_or_b32 exec_lo, exec_lo, s16
	s_and_saveexec_b32 s16, s19
	s_cbranch_execnz .LBB6_4503
	s_branch .LBB6_4504
.LBB6_4814:                             ;   in Loop: Header=BB6_3292 Depth=3
	s_or_saveexec_b32 s19, s19
	v_mov_b32_e32 v86, 0x7f800001
	s_xor_b32 exec_lo, exec_lo, s19
	s_cbranch_execz .LBB6_4516
.LBB6_4815:                             ;   in Loop: Header=BB6_3292 Depth=3
	v_cmp_ne_u16_sdwa s22, v15, v2 src0_sel:BYTE_1 src1_sel:DWORD
	v_mov_b32_e32 v86, 0
	s_andn2_b32 s16, s16, exec_lo
	s_and_b32 s22, s22, exec_lo
	s_or_b32 s16, s16, s22
	s_or_b32 exec_lo, exec_lo, s19
	s_and_saveexec_b32 s19, s16
	s_cbranch_execnz .LBB6_4517
	s_branch .LBB6_4518
.LBB6_4816:                             ;   in Loop: Header=BB6_3292 Depth=3
	s_or_saveexec_b32 s19, s19
	v_mov_b32_e32 v87, 0x7f800001
	s_xor_b32 exec_lo, exec_lo, s19
	s_cbranch_execz .LBB6_4522
.LBB6_4817:                             ;   in Loop: Header=BB6_3292 Depth=3
	v_cmp_ne_u16_sdwa s22, v11, v2 src0_sel:BYTE_1 src1_sel:DWORD
	v_mov_b32_e32 v87, 0
	s_andn2_b32 s16, s16, exec_lo
	s_and_b32 s22, s22, exec_lo
	s_or_b32 s16, s16, s22
	s_or_b32 exec_lo, exec_lo, s19
	s_and_saveexec_b32 s19, s16
	s_cbranch_execnz .LBB6_4523
	s_branch .LBB6_4524
.LBB6_4818:                             ;   in Loop: Header=BB6_3292 Depth=3
	s_or_saveexec_b32 s16, s16
	v_mov_b32_e32 v86, 0x7f800001
	s_xor_b32 exec_lo, exec_lo, s16
	s_cbranch_execz .LBB6_4536
.LBB6_4819:                             ;   in Loop: Header=BB6_3292 Depth=3
	v_cmp_ne_u16_e32 vcc_lo, 0, v87
	v_mov_b32_e32 v86, 0
	s_andn2_b32 s19, s19, exec_lo
	s_and_b32 s22, vcc_lo, exec_lo
	s_or_b32 s19, s19, s22
	s_or_b32 exec_lo, exec_lo, s16
	s_and_saveexec_b32 s16, s19
	s_cbranch_execnz .LBB6_4537
	s_branch .LBB6_4538
.LBB6_4820:                             ;   in Loop: Header=BB6_3292 Depth=3
	s_or_saveexec_b32 s16, s16
	v_mov_b32_e32 v87, 0x7f800001
	s_xor_b32 exec_lo, exec_lo, s16
	s_cbranch_execz .LBB6_4542
.LBB6_4821:                             ;   in Loop: Header=BB6_3292 Depth=3
	v_cmp_ne_u16_e32 vcc_lo, 0, v113
	v_mov_b32_e32 v87, 0
	s_andn2_b32 s19, s19, exec_lo
	s_and_b32 s22, vcc_lo, exec_lo
	s_or_b32 s19, s19, s22
	s_or_b32 exec_lo, exec_lo, s16
	s_and_saveexec_b32 s16, s19
	s_cbranch_execnz .LBB6_4543
	s_branch .LBB6_4544
.LBB6_4822:                             ;   in Loop: Header=BB6_3292 Depth=3
	s_or_saveexec_b32 s19, s19
	v_mov_b32_e32 v86, 0x7f800001
	s_xor_b32 exec_lo, exec_lo, s19
	s_cbranch_execz .LBB6_4556
.LBB6_4823:                             ;   in Loop: Header=BB6_3292 Depth=3
	v_cmp_ne_u16_sdwa s22, v15, v2 src0_sel:BYTE_3 src1_sel:DWORD
	v_mov_b32_e32 v86, 0
	s_andn2_b32 s16, s16, exec_lo
	s_and_b32 s22, s22, exec_lo
	s_or_b32 s16, s16, s22
	s_or_b32 exec_lo, exec_lo, s19
	s_and_saveexec_b32 s19, s16
	s_cbranch_execnz .LBB6_4557
	s_branch .LBB6_4558
.LBB6_4824:                             ;   in Loop: Header=BB6_3292 Depth=3
	s_or_saveexec_b32 s19, s19
	v_mov_b32_e32 v15, 0x7f800001
	s_xor_b32 exec_lo, exec_lo, s19
	s_cbranch_execz .LBB6_4562
.LBB6_4825:                             ;   in Loop: Header=BB6_3292 Depth=3
	v_cmp_ne_u16_sdwa s22, v11, v2 src0_sel:BYTE_3 src1_sel:DWORD
	v_mov_b32_e32 v15, 0
	s_andn2_b32 s16, s16, exec_lo
	s_and_b32 s22, s22, exec_lo
	s_or_b32 s16, s16, s22
	s_or_b32 exec_lo, exec_lo, s19
	s_and_saveexec_b32 s19, s16
	s_cbranch_execnz .LBB6_4563
	s_branch .LBB6_4564
.LBB6_4826:                             ;   in Loop: Header=BB6_3207 Depth=2
	s_or_b32 exec_lo, exec_lo, s18
.LBB6_4827:                             ;   in Loop: Header=BB6_3207 Depth=2
	s_or_b32 exec_lo, exec_lo, s17
	v_lshlrev_b32_e32 v1, 11, v109
	v_mov_b32_e32 v4, 0
	s_mov_b32 s16, 0
	s_mov_b32 s19, exec_lo
                                        ; implicit-def: $vgpr5
                                        ; implicit-def: $vgpr16
                                        ; implicit-def: $vgpr8
	v_cmpx_ne_u32_e64 v95, v1
	s_cbranch_execz .LBB6_5221
; %bb.4828:                             ;   in Loop: Header=BB6_3207 Depth=2
	buffer_load_dword v5, off, s[0:3], s33 offset:200 ; 4-byte Folded Reload
	v_lshlrev_b32_e32 v4, 5, v121
	v_sub_nc_u32_e32 v8, v95, v1
	s_mov_b32 s72, exec_lo
	s_waitcnt vmcnt(1)
	v_ashrrev_i32_e32 v9, 31, v8
	v_lshrrev_b32_e32 v9, 23, v9
	v_add_nc_u32_e32 v9, v8, v9
	v_and_b32_e32 v20, 0xfffffe00, v9
	v_ashrrev_i32_e32 v9, 9, v9
	v_sub_nc_u32_e32 v22, v8, v20
	v_cmp_lt_i32_e64 s16, 15, v22
	v_add_co_ci_u32_e64 v9, null, 0, v9, s16
	s_waitcnt vmcnt(0)
	v_sub_nc_u32_e32 v4, v5, v4
	v_ashrrev_i32_e32 v5, 31, v4
	v_lshrrev_b32_e32 v5, 27, v5
	v_add_nc_u32_e32 v5, v4, v5
	v_and_b32_e32 v10, 0xffffffe0, v5
	v_sub_nc_u32_e32 v21, v4, v10
	v_ashrrev_i32_e32 v10, 5, v5
	v_lshlrev_b32_e32 v4, 4, v21
	v_sub_nc_u32_e32 v23, v9, v10
	v_lshl_add_u32 v5, v10, 9, v4
	v_sub_nc_u32_e32 v4, v8, v5
	v_cmpx_lt_i32_e32 15, v4
	s_cbranch_execz .LBB6_5218
; %bb.4829:                             ;   in Loop: Header=BB6_3207 Depth=2
	s_trap 2
	ds_read_b64 v[8:9], v0
	s_clause 0x1
	buffer_load_dword v12, off, s[0:3], s33 offset:232
	buffer_load_dword v13, off, s[0:3], s33 offset:236
	v_add_nc_u32_e32 v10, v5, v1
	s_mov_b32 s73, 0
	v_ashrrev_i32_e32 v11, 31, v10
	s_waitcnt vmcnt(1)
	v_add_co_u32 v5, vcc_lo, v10, v12
	s_waitcnt vmcnt(0)
	v_add_co_ci_u32_e64 v24, null, v11, v13, vcc_lo
	v_add_co_u32 v25, vcc_lo, v10, v114
	v_add_co_ci_u32_e64 v26, null, v11, v115, vcc_lo
	v_add_co_u32 v16, vcc_lo, v10, v101
	v_add_co_ci_u32_e64 v17, null, v11, v102, vcc_lo
	s_waitcnt lgkmcnt(0)
	v_add_co_u32 v18, vcc_lo, v8, v10
	v_add_co_ci_u32_e64 v19, null, v9, v11, vcc_lo
.LBB6_4830:                             ;   Parent Loop BB6_47 Depth=1
                                        ;     Parent Loop BB6_3207 Depth=2
                                        ; =>    This Loop Header: Depth=3
                                        ;         Child Loop BB6_5151 Depth 4
	global_load_dwordx4 v[12:15], v[16:17], off slc
	global_load_dwordx4 v[8:11], v[18:19], off slc
	s_mov_b32 s17, 0
	s_waitcnt vmcnt(1)
	v_cmp_gt_i16_sdwa s18, v12, v59 src0_sel:BYTE_0 src1_sel:DWORD
	s_and_saveexec_b32 s22, s18
	s_xor_b32 s18, exec_lo, s22
	s_cbranch_execz .LBB6_5153
; %bb.4831:                             ;   in Loop: Header=BB6_4830 Depth=3
	v_cmp_eq_u16_sdwa s23, v12, v60 src0_sel:BYTE_0 src1_sel:DWORD
	s_mov_b32 s17, -1
	s_and_saveexec_b32 s22, s23
; %bb.4832:                             ;   in Loop: Header=BB6_4830 Depth=3
	s_xor_b32 s17, exec_lo, -1
; %bb.4833:                             ;   in Loop: Header=BB6_4830 Depth=3
	s_or_b32 exec_lo, exec_lo, s22
	s_and_b32 s17, s17, exec_lo
	s_or_saveexec_b32 s18, s18
	v_mov_b32_e32 v27, 0x7f800001
	s_xor_b32 exec_lo, exec_lo, s18
	s_cbranch_execnz .LBB6_5154
.LBB6_4834:                             ;   in Loop: Header=BB6_4830 Depth=3
	s_or_b32 exec_lo, exec_lo, s18
	s_and_saveexec_b32 s18, s17
	s_cbranch_execz .LBB6_4836
.LBB6_4835:                             ;   in Loop: Header=BB6_4830 Depth=3
	v_and_b32_e32 v27, 3, v12
	v_bfe_u32 v30, v12, 2, 5
	v_lshlrev_b32_e32 v31, 24, v12
	v_ffbh_u32_e32 v28, v27
	v_cmp_eq_u32_e32 vcc_lo, 0, v30
	v_min_u32_e32 v28, 32, v28
	v_subrev_nc_u32_e32 v29, 29, v28
	v_sub_nc_u32_e32 v28, 30, v28
	v_lshlrev_b32_e32 v29, v29, v12
	v_cndmask_b32_e32 v28, v30, v28, vcc_lo
	v_and_b32_e32 v29, 3, v29
	v_lshl_add_u32 v28, v28, 23, 0x37800000
	v_cndmask_b32_e32 v27, v27, v29, vcc_lo
	v_and_b32_e32 v29, 0x80000000, v31
	v_lshlrev_b32_e32 v27, 21, v27
	v_or3_b32 v27, v29, v28, v27
.LBB6_4836:                             ;   in Loop: Header=BB6_4830 Depth=3
	s_or_b32 exec_lo, exec_lo, s18
	s_waitcnt vmcnt(0)
	v_cmp_gt_i16_sdwa s18, v8, v59 src0_sel:BYTE_0 src1_sel:DWORD
	s_mov_b32 s17, 0
	s_and_saveexec_b32 s22, s18
	s_xor_b32 s18, exec_lo, s22
	s_cbranch_execz .LBB6_5155
; %bb.4837:                             ;   in Loop: Header=BB6_4830 Depth=3
	v_cmp_eq_u16_sdwa s23, v8, v60 src0_sel:BYTE_0 src1_sel:DWORD
	s_mov_b32 s17, -1
	s_and_saveexec_b32 s22, s23
; %bb.4838:                             ;   in Loop: Header=BB6_4830 Depth=3
	s_xor_b32 s17, exec_lo, -1
; %bb.4839:                             ;   in Loop: Header=BB6_4830 Depth=3
	s_or_b32 exec_lo, exec_lo, s22
	s_and_b32 s17, s17, exec_lo
	s_or_saveexec_b32 s18, s18
	v_mov_b32_e32 v28, 0x7f800001
	s_xor_b32 exec_lo, exec_lo, s18
	s_cbranch_execnz .LBB6_5156
.LBB6_4840:                             ;   in Loop: Header=BB6_4830 Depth=3
	s_or_b32 exec_lo, exec_lo, s18
	s_and_saveexec_b32 s18, s17
	s_cbranch_execz .LBB6_4842
.LBB6_4841:                             ;   in Loop: Header=BB6_4830 Depth=3
	v_and_b32_e32 v28, 3, v8
	v_bfe_u32 v31, v8, 2, 5
	v_lshlrev_b32_e32 v32, 24, v8
	v_ffbh_u32_e32 v29, v28
	v_cmp_eq_u32_e32 vcc_lo, 0, v31
	v_min_u32_e32 v29, 32, v29
	v_subrev_nc_u32_e32 v30, 29, v29
	v_sub_nc_u32_e32 v29, 30, v29
	v_lshlrev_b32_e32 v30, v30, v8
	v_cndmask_b32_e32 v29, v31, v29, vcc_lo
	v_and_b32_e32 v30, 3, v30
	v_lshl_add_u32 v29, v29, 23, 0x37800000
	v_cndmask_b32_e32 v28, v28, v30, vcc_lo
	v_and_b32_e32 v30, 0x80000000, v32
	v_lshlrev_b32_e32 v28, 21, v28
	v_or3_b32 v28, v30, v29, v28
.LBB6_4842:                             ;   in Loop: Header=BB6_4830 Depth=3
	s_or_b32 exec_lo, exec_lo, s18
	v_mul_f32_e32 v28, v27, v28
	v_and_b32_e32 v27, 0x7f800000, v28
	v_cmp_ne_u32_e32 vcc_lo, 0x7f800000, v27
	v_mov_b32_e32 v27, 0x80
	s_and_saveexec_b32 s18, vcc_lo
	s_cbranch_execz .LBB6_4850
; %bb.4843:                             ;   in Loop: Header=BB6_4830 Depth=3
	v_mov_b32_e32 v27, 0
	s_mov_b32 s22, exec_lo
	v_cmpx_ne_u32_e32 0, v28
	s_cbranch_execz .LBB6_4849
; %bb.4844:                             ;   in Loop: Header=BB6_4830 Depth=3
	v_bfe_u32 v27, v28, 23, 8
	v_and_b32_e32 v29, 0x7fffff, v28
	v_sub_nc_u32_e32 v30, 0x70, v27
	v_cmp_gt_u32_e32 vcc_lo, 0x71, v27
	v_or_b32_e32 v31, 0x800000, v29
	v_cndmask_b32_e32 v30, 0, v30, vcc_lo
	v_cmp_eq_u32_e32 vcc_lo, 0, v27
	v_add_nc_u32_e32 v27, 0xffffff91, v27
	v_cndmask_b32_e64 v30, v30, 0x6f, vcc_lo
	v_cndmask_b32_e32 v29, v31, v29, vcc_lo
	v_cndmask_b32_e64 v27, v27, 0xffffff92, vcc_lo
	v_lshl_add_u32 v31, 0x200000, v30, -1
	v_lshrrev_b32_e32 v32, v30, v29
	v_lshlrev_b32_e64 v34, v30, 0x100000
	v_add_nc_u32_e32 v30, v30, v27
	v_and_b32_e32 v29, v31, v29
	v_bfe_u32 v33, v32, 21, 1
	v_cmp_eq_u32_e64 s17, v29, v34
	v_add_nc_u32_e32 v31, -1, v33
	v_cndmask_b32_e64 v29, 0, v31, s17
	v_lshrrev_b32_e32 v31, 23, v32
	s_mov_b32 s17, exec_lo
	v_add_nc_u32_e32 v29, v29, v32
	v_xor_b32_e32 v31, 1, v31
	v_and_b32_e32 v27, 0x1fffff, v29
	v_add_nc_u32_e32 v29, v27, v32
                                        ; implicit-def: $vgpr27
	v_cmpx_ne_u32_e64 v30, v31
	s_xor_b32 s17, exec_lo, s17
; %bb.4845:                             ;   in Loop: Header=BB6_4830 Depth=3
	v_cmp_lt_u32_e32 vcc_lo, 0xffffff, v29
	v_sub_nc_u32_e32 v27, v30, v31
	v_cndmask_b32_e64 v30, 0, 1, vcc_lo
	v_add_co_ci_u32_e64 v27, null, 0, v27, vcc_lo
	v_lshrrev_b32_e32 v29, v30, v29
; %bb.4846:                             ;   in Loop: Header=BB6_4830 Depth=3
	s_andn2_saveexec_b32 s17, s17
; %bb.4847:                             ;   in Loop: Header=BB6_4830 Depth=3
	v_bfe_u32 v27, v29, 23, 1
; %bb.4848:                             ;   in Loop: Header=BB6_4830 Depth=3
	s_or_b32 exec_lo, exec_lo, s17
	v_lshrrev_b32_e32 v29, 21, v29
	v_min_i32_e32 v30, 31, v27
	v_cmp_gt_i32_e32 vcc_lo, 32, v27
	v_and_b32_sdwa v28, v28, v60 dst_sel:DWORD dst_unused:UNUSED_PAD src0_sel:BYTE_3 src1_sel:DWORD
	v_lshlrev_b32_e32 v30, 2, v30
	v_cndmask_b32_e32 v29, 3, v29, vcc_lo
	v_and_b32_e32 v30, 0xfc, v30
	v_and_b32_e32 v31, 3, v29
	v_or_b32_e32 v27, v27, v29
	v_or3_b32 v28, v30, v28, v31
	v_cmp_ne_u32_e32 vcc_lo, 0, v27
	v_cndmask_b32_e32 v27, 0, v28, vcc_lo
.LBB6_4849:                             ;   in Loop: Header=BB6_4830 Depth=3
	s_or_b32 exec_lo, exec_lo, s22
.LBB6_4850:                             ;   in Loop: Header=BB6_4830 Depth=3
	s_or_b32 exec_lo, exec_lo, s18
	v_cmp_gt_i16_sdwa s18, v12, v59 src0_sel:BYTE_1 src1_sel:DWORD
	s_mov_b32 s17, 0
	s_and_saveexec_b32 s22, s18
	s_xor_b32 s18, exec_lo, s22
	s_cbranch_execz .LBB6_5157
; %bb.4851:                             ;   in Loop: Header=BB6_4830 Depth=3
	v_cmp_eq_u16_sdwa s23, v12, v60 src0_sel:BYTE_1 src1_sel:DWORD
	s_mov_b32 s17, -1
	s_and_saveexec_b32 s22, s23
; %bb.4852:                             ;   in Loop: Header=BB6_4830 Depth=3
	s_xor_b32 s17, exec_lo, -1
; %bb.4853:                             ;   in Loop: Header=BB6_4830 Depth=3
	s_or_b32 exec_lo, exec_lo, s22
	s_and_b32 s17, s17, exec_lo
	s_or_saveexec_b32 s18, s18
	v_mov_b32_e32 v28, 0x7f800001
	s_xor_b32 exec_lo, exec_lo, s18
	s_cbranch_execnz .LBB6_5158
.LBB6_4854:                             ;   in Loop: Header=BB6_4830 Depth=3
	s_or_b32 exec_lo, exec_lo, s18
	s_and_saveexec_b32 s18, s17
	s_cbranch_execz .LBB6_4856
.LBB6_4855:                             ;   in Loop: Header=BB6_4830 Depth=3
	v_and_b32_sdwa v28, v61, v12 dst_sel:DWORD dst_unused:UNUSED_PAD src0_sel:DWORD src1_sel:BYTE_1
	v_and_b32_e32 v29, 3, v28
	v_bfe_u32 v32, v28, 2, 5
	v_ffbh_u32_e32 v30, v29
	v_cmp_eq_u32_e32 vcc_lo, 0, v32
	v_min_u32_e32 v30, 32, v30
	v_subrev_nc_u32_e32 v31, 29, v30
	v_sub_nc_u32_e32 v30, 30, v30
	v_lshlrev_b32_e32 v28, v31, v28
	v_lshlrev_b32_sdwa v31, v62, v12 dst_sel:DWORD dst_unused:UNUSED_PAD src0_sel:DWORD src1_sel:BYTE_1
	v_cndmask_b32_e32 v30, v32, v30, vcc_lo
	v_and_b32_e32 v28, 3, v28
	v_lshl_add_u32 v30, v30, 23, 0x37800000
	v_cndmask_b32_e32 v28, v29, v28, vcc_lo
	v_and_b32_e32 v29, 0x80000000, v31
	v_lshlrev_b32_e32 v28, 21, v28
	v_or3_b32 v28, v29, v30, v28
.LBB6_4856:                             ;   in Loop: Header=BB6_4830 Depth=3
	s_or_b32 exec_lo, exec_lo, s18
	v_cmp_gt_i16_sdwa s18, v8, v59 src0_sel:BYTE_1 src1_sel:DWORD
	s_mov_b32 s17, 0
	s_and_saveexec_b32 s22, s18
	s_xor_b32 s18, exec_lo, s22
	s_cbranch_execz .LBB6_5159
; %bb.4857:                             ;   in Loop: Header=BB6_4830 Depth=3
	v_cmp_eq_u16_sdwa s23, v8, v60 src0_sel:BYTE_1 src1_sel:DWORD
	s_mov_b32 s17, -1
	s_and_saveexec_b32 s22, s23
; %bb.4858:                             ;   in Loop: Header=BB6_4830 Depth=3
	s_xor_b32 s17, exec_lo, -1
; %bb.4859:                             ;   in Loop: Header=BB6_4830 Depth=3
	s_or_b32 exec_lo, exec_lo, s22
	s_and_b32 s17, s17, exec_lo
	s_or_saveexec_b32 s18, s18
	v_mov_b32_e32 v29, 0x7f800001
	s_xor_b32 exec_lo, exec_lo, s18
	s_cbranch_execnz .LBB6_5160
.LBB6_4860:                             ;   in Loop: Header=BB6_4830 Depth=3
	s_or_b32 exec_lo, exec_lo, s18
	s_and_saveexec_b32 s18, s17
	s_cbranch_execz .LBB6_4862
.LBB6_4861:                             ;   in Loop: Header=BB6_4830 Depth=3
	v_and_b32_sdwa v29, v61, v8 dst_sel:DWORD dst_unused:UNUSED_PAD src0_sel:DWORD src1_sel:BYTE_1
	v_and_b32_e32 v30, 3, v29
	v_bfe_u32 v33, v29, 2, 5
	v_ffbh_u32_e32 v31, v30
	v_cmp_eq_u32_e32 vcc_lo, 0, v33
	v_min_u32_e32 v31, 32, v31
	v_subrev_nc_u32_e32 v32, 29, v31
	v_sub_nc_u32_e32 v31, 30, v31
	v_lshlrev_b32_e32 v29, v32, v29
	v_lshlrev_b32_sdwa v32, v62, v8 dst_sel:DWORD dst_unused:UNUSED_PAD src0_sel:DWORD src1_sel:BYTE_1
	v_cndmask_b32_e32 v31, v33, v31, vcc_lo
	v_and_b32_e32 v29, 3, v29
	v_lshl_add_u32 v31, v31, 23, 0x37800000
	v_cndmask_b32_e32 v29, v30, v29, vcc_lo
	v_and_b32_e32 v30, 0x80000000, v32
	v_lshlrev_b32_e32 v29, 21, v29
	v_or3_b32 v29, v30, v31, v29
.LBB6_4862:                             ;   in Loop: Header=BB6_4830 Depth=3
	s_or_b32 exec_lo, exec_lo, s18
	v_mul_f32_e32 v29, v28, v29
	v_and_b32_e32 v28, 0x7f800000, v29
	v_cmp_ne_u32_e32 vcc_lo, 0x7f800000, v28
	v_mov_b32_e32 v28, 0x8000
	s_and_saveexec_b32 s18, vcc_lo
	s_cbranch_execz .LBB6_4870
; %bb.4863:                             ;   in Loop: Header=BB6_4830 Depth=3
	v_mov_b32_e32 v28, 0
	s_mov_b32 s22, exec_lo
	v_cmpx_ne_u32_e32 0, v29
	s_cbranch_execz .LBB6_4869
; %bb.4864:                             ;   in Loop: Header=BB6_4830 Depth=3
	v_bfe_u32 v28, v29, 23, 8
	v_and_b32_e32 v30, 0x7fffff, v29
	v_sub_nc_u32_e32 v31, 0x70, v28
	v_cmp_gt_u32_e32 vcc_lo, 0x71, v28
	v_or_b32_e32 v32, 0x800000, v30
	v_cndmask_b32_e32 v31, 0, v31, vcc_lo
	v_cmp_eq_u32_e32 vcc_lo, 0, v28
	v_add_nc_u32_e32 v28, 0xffffff91, v28
	v_cndmask_b32_e64 v31, v31, 0x6f, vcc_lo
	v_cndmask_b32_e32 v30, v32, v30, vcc_lo
	v_cndmask_b32_e64 v28, v28, 0xffffff92, vcc_lo
	v_lshl_add_u32 v32, 0x200000, v31, -1
	v_lshrrev_b32_e32 v33, v31, v30
	v_lshlrev_b32_e64 v35, v31, 0x100000
	v_add_nc_u32_e32 v31, v31, v28
	v_and_b32_e32 v30, v32, v30
	v_bfe_u32 v34, v33, 21, 1
	v_cmp_eq_u32_e64 s17, v30, v35
	v_add_nc_u32_e32 v32, -1, v34
	v_cndmask_b32_e64 v30, 0, v32, s17
	v_lshrrev_b32_e32 v32, 23, v33
	s_mov_b32 s17, exec_lo
	v_add_nc_u32_e32 v30, v30, v33
	v_xor_b32_e32 v32, 1, v32
	v_and_b32_e32 v28, 0x1fffff, v30
	v_add_nc_u32_e32 v30, v28, v33
                                        ; implicit-def: $vgpr28
	v_cmpx_ne_u32_e64 v31, v32
	s_xor_b32 s17, exec_lo, s17
; %bb.4865:                             ;   in Loop: Header=BB6_4830 Depth=3
	v_cmp_lt_u32_e32 vcc_lo, 0xffffff, v30
	v_sub_nc_u32_e32 v28, v31, v32
	v_cndmask_b32_e64 v31, 0, 1, vcc_lo
	v_add_co_ci_u32_e64 v28, null, 0, v28, vcc_lo
	v_lshrrev_b32_e32 v30, v31, v30
; %bb.4866:                             ;   in Loop: Header=BB6_4830 Depth=3
	s_andn2_saveexec_b32 s17, s17
; %bb.4867:                             ;   in Loop: Header=BB6_4830 Depth=3
	v_bfe_u32 v28, v30, 23, 1
; %bb.4868:                             ;   in Loop: Header=BB6_4830 Depth=3
	s_or_b32 exec_lo, exec_lo, s17
	v_lshrrev_b32_e32 v30, 21, v30
	v_min_i32_e32 v31, 31, v28
	v_cmp_gt_i32_e32 vcc_lo, 32, v28
	v_and_b32_sdwa v29, v29, v60 dst_sel:DWORD dst_unused:UNUSED_PAD src0_sel:BYTE_3 src1_sel:DWORD
	v_lshlrev_b32_e32 v31, 2, v31
	v_cndmask_b32_e32 v30, 3, v30, vcc_lo
	v_and_b32_e32 v31, 0xfc, v31
	v_and_b32_e32 v32, 3, v30
	v_or_b32_e32 v28, v28, v30
	v_or3_b32 v29, v29, v31, v32
	v_cmp_ne_u32_e32 vcc_lo, 0, v28
	v_lshlrev_b32_e32 v29, 8, v29
	v_cndmask_b32_e32 v28, 0, v29, vcc_lo
.LBB6_4869:                             ;   in Loop: Header=BB6_4830 Depth=3
	s_or_b32 exec_lo, exec_lo, s22
.LBB6_4870:                             ;   in Loop: Header=BB6_4830 Depth=3
	s_or_b32 exec_lo, exec_lo, s18
	v_and_b32_sdwa v30, v12, v63 dst_sel:DWORD dst_unused:UNUSED_PAD src0_sel:WORD_1 src1_sel:DWORD
	s_mov_b32 s17, 0
	s_mov_b32 s18, exec_lo
	v_cmpx_lt_i16_e32 0x7f, v30
	s_xor_b32 s18, exec_lo, s18
	s_cbranch_execz .LBB6_5161
; %bb.4871:                             ;   in Loop: Header=BB6_4830 Depth=3
	s_mov_b32 s17, -1
	s_mov_b32 s22, exec_lo
	v_cmpx_eq_u16_e32 0x80, v30
; %bb.4872:                             ;   in Loop: Header=BB6_4830 Depth=3
	s_xor_b32 s17, exec_lo, -1
; %bb.4873:                             ;   in Loop: Header=BB6_4830 Depth=3
	s_or_b32 exec_lo, exec_lo, s22
	s_and_b32 s17, s17, exec_lo
                                        ; implicit-def: $vgpr30
	s_or_saveexec_b32 s18, s18
	v_mov_b32_e32 v29, 0x7f800001
	s_xor_b32 exec_lo, exec_lo, s18
	s_cbranch_execnz .LBB6_5162
.LBB6_4874:                             ;   in Loop: Header=BB6_4830 Depth=3
	s_or_b32 exec_lo, exec_lo, s18
	s_and_saveexec_b32 s18, s17
	s_cbranch_execz .LBB6_4876
.LBB6_4875:                             ;   in Loop: Header=BB6_4830 Depth=3
	v_bfe_u32 v29, v12, 16, 2
	v_bfe_u32 v32, v12, 18, 5
	v_lshlrev_b32_e32 v33, 8, v12
	v_ffbh_u32_e32 v30, v29
	v_cmp_eq_u32_e32 vcc_lo, 0, v32
	v_min_u32_e32 v30, 32, v30
	v_subrev_nc_u32_e32 v31, 29, v30
	v_sub_nc_u32_e32 v30, 30, v30
	v_lshlrev_b32_sdwa v31, v31, v12 dst_sel:DWORD dst_unused:UNUSED_PAD src0_sel:DWORD src1_sel:WORD_1
	v_cndmask_b32_e32 v30, v32, v30, vcc_lo
	v_and_b32_e32 v31, 3, v31
	v_lshl_add_u32 v30, v30, 23, 0x37800000
	v_cndmask_b32_e32 v29, v29, v31, vcc_lo
	v_and_b32_e32 v31, 0x80000000, v33
	v_lshlrev_b32_e32 v29, 21, v29
	v_or3_b32 v29, v31, v30, v29
.LBB6_4876:                             ;   in Loop: Header=BB6_4830 Depth=3
	s_or_b32 exec_lo, exec_lo, s18
	v_and_b32_sdwa v31, v8, v63 dst_sel:DWORD dst_unused:UNUSED_PAD src0_sel:WORD_1 src1_sel:DWORD
	s_mov_b32 s17, 0
	s_mov_b32 s18, exec_lo
	v_cmpx_lt_i16_e32 0x7f, v31
	s_xor_b32 s18, exec_lo, s18
	s_cbranch_execz .LBB6_5163
; %bb.4877:                             ;   in Loop: Header=BB6_4830 Depth=3
	s_mov_b32 s17, -1
	s_mov_b32 s22, exec_lo
	v_cmpx_eq_u16_e32 0x80, v31
; %bb.4878:                             ;   in Loop: Header=BB6_4830 Depth=3
	s_xor_b32 s17, exec_lo, -1
; %bb.4879:                             ;   in Loop: Header=BB6_4830 Depth=3
	s_or_b32 exec_lo, exec_lo, s22
	s_and_b32 s17, s17, exec_lo
                                        ; implicit-def: $vgpr31
	s_or_saveexec_b32 s18, s18
	v_mov_b32_e32 v30, 0x7f800001
	s_xor_b32 exec_lo, exec_lo, s18
	s_cbranch_execnz .LBB6_5164
.LBB6_4880:                             ;   in Loop: Header=BB6_4830 Depth=3
	s_or_b32 exec_lo, exec_lo, s18
	s_and_saveexec_b32 s18, s17
	s_cbranch_execz .LBB6_4882
.LBB6_4881:                             ;   in Loop: Header=BB6_4830 Depth=3
	v_and_b32_sdwa v30, v8, v72 dst_sel:DWORD dst_unused:UNUSED_PAD src0_sel:WORD_1 src1_sel:DWORD
	v_bfe_u32 v33, v8, 18, 5
	v_lshlrev_b32_sdwa v34, v62, v8 dst_sel:DWORD dst_unused:UNUSED_PAD src0_sel:DWORD src1_sel:WORD_1
	v_ffbh_u32_e32 v31, v30
	v_cmp_eq_u32_e32 vcc_lo, 0, v33
	v_min_u32_e32 v31, 32, v31
	v_subrev_nc_u32_e32 v32, 29, v31
	v_sub_nc_u32_e32 v31, 30, v31
	v_lshlrev_b32_sdwa v32, v32, v8 dst_sel:DWORD dst_unused:UNUSED_PAD src0_sel:DWORD src1_sel:WORD_1
	v_cndmask_b32_e32 v31, v33, v31, vcc_lo
	v_and_b32_e32 v32, 3, v32
	v_lshl_add_u32 v31, v31, 23, 0x37800000
	v_cndmask_b32_e32 v30, v30, v32, vcc_lo
	v_and_b32_e32 v32, 0x80000000, v34
	v_lshlrev_b32_e32 v30, 21, v30
	v_or3_b32 v30, v32, v31, v30
.LBB6_4882:                             ;   in Loop: Header=BB6_4830 Depth=3
	s_or_b32 exec_lo, exec_lo, s18
	v_mul_f32_e32 v30, v29, v30
	v_and_b32_e32 v29, 0x7f800000, v30
	v_cmp_ne_u32_e32 vcc_lo, 0x7f800000, v29
	v_mov_b32_e32 v29, 0x80
	s_and_saveexec_b32 s18, vcc_lo
	s_cbranch_execz .LBB6_4890
; %bb.4883:                             ;   in Loop: Header=BB6_4830 Depth=3
	v_mov_b32_e32 v29, 0
	s_mov_b32 s22, exec_lo
	v_cmpx_ne_u32_e32 0, v30
	s_cbranch_execz .LBB6_4889
; %bb.4884:                             ;   in Loop: Header=BB6_4830 Depth=3
	v_bfe_u32 v29, v30, 23, 8
	v_and_b32_e32 v31, 0x7fffff, v30
	v_sub_nc_u32_e32 v32, 0x70, v29
	v_cmp_gt_u32_e32 vcc_lo, 0x71, v29
	v_or_b32_e32 v33, 0x800000, v31
	v_cndmask_b32_e32 v32, 0, v32, vcc_lo
	v_cmp_eq_u32_e32 vcc_lo, 0, v29
	v_add_nc_u32_e32 v29, 0xffffff91, v29
	v_cndmask_b32_e64 v32, v32, 0x6f, vcc_lo
	v_cndmask_b32_e32 v31, v33, v31, vcc_lo
	v_cndmask_b32_e64 v29, v29, 0xffffff92, vcc_lo
	v_lshl_add_u32 v33, 0x200000, v32, -1
	v_lshrrev_b32_e32 v34, v32, v31
	v_lshlrev_b32_e64 v36, v32, 0x100000
	v_add_nc_u32_e32 v32, v32, v29
	v_and_b32_e32 v31, v33, v31
	v_bfe_u32 v35, v34, 21, 1
	v_cmp_eq_u32_e64 s17, v31, v36
	v_add_nc_u32_e32 v33, -1, v35
	v_cndmask_b32_e64 v31, 0, v33, s17
	v_lshrrev_b32_e32 v33, 23, v34
	s_mov_b32 s17, exec_lo
	v_add_nc_u32_e32 v31, v31, v34
	v_xor_b32_e32 v33, 1, v33
	v_and_b32_e32 v29, 0x1fffff, v31
	v_add_nc_u32_e32 v31, v29, v34
                                        ; implicit-def: $vgpr29
	v_cmpx_ne_u32_e64 v32, v33
	s_xor_b32 s17, exec_lo, s17
; %bb.4885:                             ;   in Loop: Header=BB6_4830 Depth=3
	v_cmp_lt_u32_e32 vcc_lo, 0xffffff, v31
	v_sub_nc_u32_e32 v29, v32, v33
	v_cndmask_b32_e64 v32, 0, 1, vcc_lo
	v_add_co_ci_u32_e64 v29, null, 0, v29, vcc_lo
	v_lshrrev_b32_e32 v31, v32, v31
; %bb.4886:                             ;   in Loop: Header=BB6_4830 Depth=3
	s_andn2_saveexec_b32 s17, s17
; %bb.4887:                             ;   in Loop: Header=BB6_4830 Depth=3
	v_bfe_u32 v29, v31, 23, 1
; %bb.4888:                             ;   in Loop: Header=BB6_4830 Depth=3
	s_or_b32 exec_lo, exec_lo, s17
	v_lshrrev_b32_e32 v31, 21, v31
	v_min_i32_e32 v32, 31, v29
	v_cmp_gt_i32_e32 vcc_lo, 32, v29
	v_and_b32_sdwa v30, v30, v60 dst_sel:DWORD dst_unused:UNUSED_PAD src0_sel:BYTE_3 src1_sel:DWORD
	v_lshlrev_b32_e32 v32, 2, v32
	v_cndmask_b32_e32 v31, 3, v31, vcc_lo
	v_and_b32_e32 v32, 0xfc, v32
	v_and_b32_e32 v33, 3, v31
	v_or_b32_e32 v29, v29, v31
	v_or3_b32 v30, v32, v30, v33
	v_cmp_ne_u32_e32 vcc_lo, 0, v29
	v_cndmask_b32_e32 v29, 0, v30, vcc_lo
.LBB6_4889:                             ;   in Loop: Header=BB6_4830 Depth=3
	s_or_b32 exec_lo, exec_lo, s22
.LBB6_4890:                             ;   in Loop: Header=BB6_4830 Depth=3
	s_or_b32 exec_lo, exec_lo, s18
	v_cmp_gt_i16_sdwa s18, v12, v59 src0_sel:BYTE_3 src1_sel:DWORD
	s_mov_b32 s17, 0
	s_and_saveexec_b32 s22, s18
	s_xor_b32 s18, exec_lo, s22
	s_cbranch_execz .LBB6_5165
; %bb.4891:                             ;   in Loop: Header=BB6_4830 Depth=3
	v_cmp_eq_u16_sdwa s23, v12, v60 src0_sel:BYTE_3 src1_sel:DWORD
	s_mov_b32 s17, -1
	s_and_saveexec_b32 s22, s23
; %bb.4892:                             ;   in Loop: Header=BB6_4830 Depth=3
	s_xor_b32 s17, exec_lo, -1
; %bb.4893:                             ;   in Loop: Header=BB6_4830 Depth=3
	s_or_b32 exec_lo, exec_lo, s22
	s_and_b32 s17, s17, exec_lo
	s_or_saveexec_b32 s18, s18
	v_mov_b32_e32 v30, 0x7f800001
	s_xor_b32 exec_lo, exec_lo, s18
	s_cbranch_execnz .LBB6_5166
.LBB6_4894:                             ;   in Loop: Header=BB6_4830 Depth=3
	s_or_b32 exec_lo, exec_lo, s18
	s_and_saveexec_b32 s18, s17
	s_cbranch_execz .LBB6_4896
.LBB6_4895:                             ;   in Loop: Header=BB6_4830 Depth=3
	v_bfe_u32 v30, v12, 24, 2
	v_bfe_u32 v33, v12, 26, 5
	v_ffbh_u32_e32 v31, v30
	v_cmp_eq_u32_e32 vcc_lo, 0, v33
	v_min_u32_e32 v31, 32, v31
	v_subrev_nc_u32_e32 v32, 29, v31
	v_sub_nc_u32_e32 v31, 30, v31
	v_lshlrev_b32_sdwa v32, v32, v12 dst_sel:DWORD dst_unused:UNUSED_PAD src0_sel:DWORD src1_sel:BYTE_3
	v_cndmask_b32_e32 v31, v33, v31, vcc_lo
	v_and_b32_e32 v12, 0x80000000, v12
	v_and_b32_e32 v32, 3, v32
	v_lshl_add_u32 v31, v31, 23, 0x37800000
	v_cndmask_b32_e32 v30, v30, v32, vcc_lo
	v_lshlrev_b32_e32 v30, 21, v30
	v_or3_b32 v30, v12, v31, v30
.LBB6_4896:                             ;   in Loop: Header=BB6_4830 Depth=3
	s_or_b32 exec_lo, exec_lo, s18
	v_cmp_gt_i16_sdwa s18, v8, v59 src0_sel:BYTE_3 src1_sel:DWORD
	s_mov_b32 s17, 0
	s_and_saveexec_b32 s22, s18
	s_xor_b32 s18, exec_lo, s22
	s_cbranch_execz .LBB6_5167
; %bb.4897:                             ;   in Loop: Header=BB6_4830 Depth=3
	v_cmp_eq_u16_sdwa s23, v8, v60 src0_sel:BYTE_3 src1_sel:DWORD
	s_mov_b32 s17, -1
	s_and_saveexec_b32 s22, s23
; %bb.4898:                             ;   in Loop: Header=BB6_4830 Depth=3
	s_xor_b32 s17, exec_lo, -1
; %bb.4899:                             ;   in Loop: Header=BB6_4830 Depth=3
	s_or_b32 exec_lo, exec_lo, s22
	s_and_b32 s17, s17, exec_lo
	s_or_saveexec_b32 s18, s18
	v_mov_b32_e32 v12, 0x7f800001
	s_xor_b32 exec_lo, exec_lo, s18
	s_cbranch_execnz .LBB6_5168
.LBB6_4900:                             ;   in Loop: Header=BB6_4830 Depth=3
	s_or_b32 exec_lo, exec_lo, s18
	s_and_saveexec_b32 s18, s17
	s_cbranch_execz .LBB6_4902
.LBB6_4901:                             ;   in Loop: Header=BB6_4830 Depth=3
	v_and_b32_sdwa v12, v8, v72 dst_sel:DWORD dst_unused:UNUSED_PAD src0_sel:BYTE_3 src1_sel:DWORD
	v_bfe_u32 v33, v8, 26, 5
	v_ffbh_u32_e32 v31, v12
	v_cmp_eq_u32_e32 vcc_lo, 0, v33
	v_min_u32_e32 v31, 32, v31
	v_subrev_nc_u32_e32 v32, 29, v31
	v_sub_nc_u32_e32 v31, 30, v31
	v_lshlrev_b32_sdwa v32, v32, v8 dst_sel:DWORD dst_unused:UNUSED_PAD src0_sel:DWORD src1_sel:BYTE_3
	v_cndmask_b32_e32 v31, v33, v31, vcc_lo
	v_and_b32_e32 v8, 0x80000000, v8
	v_and_b32_e32 v32, 3, v32
	v_lshl_add_u32 v31, v31, 23, 0x37800000
	v_cndmask_b32_e32 v12, v12, v32, vcc_lo
	v_lshlrev_b32_e32 v12, 21, v12
	v_or3_b32 v12, v8, v31, v12
.LBB6_4902:                             ;   in Loop: Header=BB6_4830 Depth=3
	s_or_b32 exec_lo, exec_lo, s18
	v_mul_f32_e32 v12, v30, v12
	v_and_b32_e32 v8, 0x7f800000, v12
	v_cmp_ne_u32_e32 vcc_lo, 0x7f800000, v8
	v_mov_b32_e32 v8, 0x8000
	s_and_saveexec_b32 s18, vcc_lo
	s_cbranch_execz .LBB6_4910
; %bb.4903:                             ;   in Loop: Header=BB6_4830 Depth=3
	v_mov_b32_e32 v8, 0
	s_mov_b32 s22, exec_lo
	v_cmpx_ne_u32_e32 0, v12
	s_cbranch_execz .LBB6_4909
; %bb.4904:                             ;   in Loop: Header=BB6_4830 Depth=3
	v_bfe_u32 v8, v12, 23, 8
	v_and_b32_e32 v30, 0x7fffff, v12
	v_sub_nc_u32_e32 v31, 0x70, v8
	v_cmp_gt_u32_e32 vcc_lo, 0x71, v8
	v_or_b32_e32 v32, 0x800000, v30
	v_cndmask_b32_e32 v31, 0, v31, vcc_lo
	v_cmp_eq_u32_e32 vcc_lo, 0, v8
	v_add_nc_u32_e32 v8, 0xffffff91, v8
	v_cndmask_b32_e64 v31, v31, 0x6f, vcc_lo
	v_cndmask_b32_e32 v30, v32, v30, vcc_lo
	v_cndmask_b32_e64 v8, v8, 0xffffff92, vcc_lo
	v_lshl_add_u32 v32, 0x200000, v31, -1
	v_lshrrev_b32_e32 v33, v31, v30
	v_lshlrev_b32_e64 v35, v31, 0x100000
	v_add_nc_u32_e32 v31, v31, v8
	v_and_b32_e32 v30, v32, v30
	v_bfe_u32 v34, v33, 21, 1
	v_cmp_eq_u32_e64 s17, v30, v35
	v_add_nc_u32_e32 v32, -1, v34
	v_cndmask_b32_e64 v30, 0, v32, s17
	v_lshrrev_b32_e32 v32, 23, v33
	s_mov_b32 s17, exec_lo
	v_add_nc_u32_e32 v30, v30, v33
	v_xor_b32_e32 v32, 1, v32
	v_and_b32_e32 v8, 0x1fffff, v30
	v_add_nc_u32_e32 v30, v8, v33
                                        ; implicit-def: $vgpr8
	v_cmpx_ne_u32_e64 v31, v32
	s_xor_b32 s17, exec_lo, s17
; %bb.4905:                             ;   in Loop: Header=BB6_4830 Depth=3
	v_cmp_lt_u32_e32 vcc_lo, 0xffffff, v30
	v_sub_nc_u32_e32 v8, v31, v32
	v_cndmask_b32_e64 v31, 0, 1, vcc_lo
	v_add_co_ci_u32_e64 v8, null, 0, v8, vcc_lo
	v_lshrrev_b32_e32 v30, v31, v30
; %bb.4906:                             ;   in Loop: Header=BB6_4830 Depth=3
	s_andn2_saveexec_b32 s17, s17
; %bb.4907:                             ;   in Loop: Header=BB6_4830 Depth=3
	v_bfe_u32 v8, v30, 23, 1
; %bb.4908:                             ;   in Loop: Header=BB6_4830 Depth=3
	s_or_b32 exec_lo, exec_lo, s17
	v_lshrrev_b32_e32 v30, 21, v30
	v_min_i32_e32 v31, 31, v8
	v_cmp_gt_i32_e32 vcc_lo, 32, v8
	v_and_b32_sdwa v12, v12, v60 dst_sel:DWORD dst_unused:UNUSED_PAD src0_sel:BYTE_3 src1_sel:DWORD
	v_lshlrev_b32_e32 v31, 2, v31
	v_cndmask_b32_e32 v30, 3, v30, vcc_lo
	v_and_b32_e32 v31, 0xfc, v31
	v_and_b32_e32 v32, 3, v30
	v_or_b32_e32 v8, v8, v30
	v_or3_b32 v12, v12, v31, v32
	v_cmp_ne_u32_e32 vcc_lo, 0, v8
	v_lshlrev_b32_e32 v12, 8, v12
	v_cndmask_b32_e32 v8, 0, v12, vcc_lo
.LBB6_4909:                             ;   in Loop: Header=BB6_4830 Depth=3
	s_or_b32 exec_lo, exec_lo, s22
.LBB6_4910:                             ;   in Loop: Header=BB6_4830 Depth=3
	s_or_b32 exec_lo, exec_lo, s18
	v_cmp_gt_i16_sdwa s18, v13, v59 src0_sel:BYTE_0 src1_sel:DWORD
	s_mov_b32 s17, 0
	s_and_saveexec_b32 s22, s18
	s_xor_b32 s18, exec_lo, s22
	s_cbranch_execz .LBB6_5169
; %bb.4911:                             ;   in Loop: Header=BB6_4830 Depth=3
	v_cmp_eq_u16_sdwa s23, v13, v60 src0_sel:BYTE_0 src1_sel:DWORD
	s_mov_b32 s17, -1
	s_and_saveexec_b32 s22, s23
; %bb.4912:                             ;   in Loop: Header=BB6_4830 Depth=3
	s_xor_b32 s17, exec_lo, -1
; %bb.4913:                             ;   in Loop: Header=BB6_4830 Depth=3
	s_or_b32 exec_lo, exec_lo, s22
	s_and_b32 s17, s17, exec_lo
	s_or_saveexec_b32 s18, s18
	v_mov_b32_e32 v12, 0x7f800001
	s_xor_b32 exec_lo, exec_lo, s18
	s_cbranch_execnz .LBB6_5170
.LBB6_4914:                             ;   in Loop: Header=BB6_4830 Depth=3
	s_or_b32 exec_lo, exec_lo, s18
	s_and_saveexec_b32 s18, s17
	s_cbranch_execz .LBB6_4916
.LBB6_4915:                             ;   in Loop: Header=BB6_4830 Depth=3
	v_and_b32_e32 v12, 3, v13
	v_bfe_u32 v32, v13, 2, 5
	v_lshlrev_b32_e32 v33, 24, v13
	v_ffbh_u32_e32 v30, v12
	v_cmp_eq_u32_e32 vcc_lo, 0, v32
	v_min_u32_e32 v30, 32, v30
	v_subrev_nc_u32_e32 v31, 29, v30
	v_sub_nc_u32_e32 v30, 30, v30
	v_lshlrev_b32_e32 v31, v31, v13
	v_cndmask_b32_e32 v30, v32, v30, vcc_lo
	v_and_b32_e32 v31, 3, v31
	v_lshl_add_u32 v30, v30, 23, 0x37800000
	v_cndmask_b32_e32 v12, v12, v31, vcc_lo
	v_and_b32_e32 v31, 0x80000000, v33
	v_lshlrev_b32_e32 v12, 21, v12
	v_or3_b32 v12, v31, v30, v12
.LBB6_4916:                             ;   in Loop: Header=BB6_4830 Depth=3
	s_or_b32 exec_lo, exec_lo, s18
	v_cmp_gt_i16_sdwa s18, v9, v59 src0_sel:BYTE_0 src1_sel:DWORD
	s_mov_b32 s17, 0
	s_and_saveexec_b32 s22, s18
	s_xor_b32 s18, exec_lo, s22
	s_cbranch_execz .LBB6_5171
; %bb.4917:                             ;   in Loop: Header=BB6_4830 Depth=3
	v_cmp_eq_u16_sdwa s23, v9, v60 src0_sel:BYTE_0 src1_sel:DWORD
	s_mov_b32 s17, -1
	s_and_saveexec_b32 s22, s23
; %bb.4918:                             ;   in Loop: Header=BB6_4830 Depth=3
	s_xor_b32 s17, exec_lo, -1
; %bb.4919:                             ;   in Loop: Header=BB6_4830 Depth=3
	s_or_b32 exec_lo, exec_lo, s22
	s_and_b32 s17, s17, exec_lo
	s_or_saveexec_b32 s18, s18
	v_mov_b32_e32 v30, 0x7f800001
	s_xor_b32 exec_lo, exec_lo, s18
	s_cbranch_execnz .LBB6_5172
.LBB6_4920:                             ;   in Loop: Header=BB6_4830 Depth=3
	s_or_b32 exec_lo, exec_lo, s18
	s_and_saveexec_b32 s18, s17
	s_cbranch_execz .LBB6_4922
.LBB6_4921:                             ;   in Loop: Header=BB6_4830 Depth=3
	v_and_b32_e32 v30, 3, v9
	v_bfe_u32 v33, v9, 2, 5
	v_lshlrev_b32_e32 v34, 24, v9
	v_ffbh_u32_e32 v31, v30
	v_cmp_eq_u32_e32 vcc_lo, 0, v33
	v_min_u32_e32 v31, 32, v31
	v_subrev_nc_u32_e32 v32, 29, v31
	v_sub_nc_u32_e32 v31, 30, v31
	v_lshlrev_b32_e32 v32, v32, v9
	v_cndmask_b32_e32 v31, v33, v31, vcc_lo
	v_and_b32_e32 v32, 3, v32
	v_lshl_add_u32 v31, v31, 23, 0x37800000
	v_cndmask_b32_e32 v30, v30, v32, vcc_lo
	v_and_b32_e32 v32, 0x80000000, v34
	v_lshlrev_b32_e32 v30, 21, v30
	v_or3_b32 v30, v32, v31, v30
.LBB6_4922:                             ;   in Loop: Header=BB6_4830 Depth=3
	s_or_b32 exec_lo, exec_lo, s18
	v_mul_f32_e32 v30, v12, v30
	v_and_b32_e32 v12, 0x7f800000, v30
	v_cmp_ne_u32_e32 vcc_lo, 0x7f800000, v12
	v_mov_b32_e32 v12, 0x80
	s_and_saveexec_b32 s18, vcc_lo
	s_cbranch_execz .LBB6_4930
; %bb.4923:                             ;   in Loop: Header=BB6_4830 Depth=3
	v_mov_b32_e32 v12, 0
	s_mov_b32 s22, exec_lo
	v_cmpx_ne_u32_e32 0, v30
	s_cbranch_execz .LBB6_4929
; %bb.4924:                             ;   in Loop: Header=BB6_4830 Depth=3
	v_bfe_u32 v12, v30, 23, 8
	v_and_b32_e32 v31, 0x7fffff, v30
	v_sub_nc_u32_e32 v32, 0x70, v12
	v_cmp_gt_u32_e32 vcc_lo, 0x71, v12
	v_or_b32_e32 v33, 0x800000, v31
	v_cndmask_b32_e32 v32, 0, v32, vcc_lo
	v_cmp_eq_u32_e32 vcc_lo, 0, v12
	v_add_nc_u32_e32 v12, 0xffffff91, v12
	v_cndmask_b32_e64 v32, v32, 0x6f, vcc_lo
	v_cndmask_b32_e32 v31, v33, v31, vcc_lo
	v_cndmask_b32_e64 v12, v12, 0xffffff92, vcc_lo
	v_lshl_add_u32 v33, 0x200000, v32, -1
	v_lshrrev_b32_e32 v34, v32, v31
	v_lshlrev_b32_e64 v36, v32, 0x100000
	v_add_nc_u32_e32 v32, v32, v12
	v_and_b32_e32 v31, v33, v31
	v_bfe_u32 v35, v34, 21, 1
	v_cmp_eq_u32_e64 s17, v31, v36
	v_add_nc_u32_e32 v33, -1, v35
	v_cndmask_b32_e64 v31, 0, v33, s17
	v_lshrrev_b32_e32 v33, 23, v34
	s_mov_b32 s17, exec_lo
	v_add_nc_u32_e32 v31, v31, v34
	v_xor_b32_e32 v33, 1, v33
	v_and_b32_e32 v12, 0x1fffff, v31
	v_add_nc_u32_e32 v31, v12, v34
                                        ; implicit-def: $vgpr12
	v_cmpx_ne_u32_e64 v32, v33
	s_xor_b32 s17, exec_lo, s17
; %bb.4925:                             ;   in Loop: Header=BB6_4830 Depth=3
	v_cmp_lt_u32_e32 vcc_lo, 0xffffff, v31
	v_sub_nc_u32_e32 v12, v32, v33
	v_cndmask_b32_e64 v32, 0, 1, vcc_lo
	v_add_co_ci_u32_e64 v12, null, 0, v12, vcc_lo
	v_lshrrev_b32_e32 v31, v32, v31
; %bb.4926:                             ;   in Loop: Header=BB6_4830 Depth=3
	s_andn2_saveexec_b32 s17, s17
; %bb.4927:                             ;   in Loop: Header=BB6_4830 Depth=3
	v_bfe_u32 v12, v31, 23, 1
; %bb.4928:                             ;   in Loop: Header=BB6_4830 Depth=3
	s_or_b32 exec_lo, exec_lo, s17
	v_lshrrev_b32_e32 v31, 21, v31
	v_min_i32_e32 v32, 31, v12
	v_cmp_gt_i32_e32 vcc_lo, 32, v12
	v_and_b32_sdwa v30, v30, v60 dst_sel:DWORD dst_unused:UNUSED_PAD src0_sel:BYTE_3 src1_sel:DWORD
	v_lshlrev_b32_e32 v32, 2, v32
	v_cndmask_b32_e32 v31, 3, v31, vcc_lo
	v_and_b32_e32 v32, 0xfc, v32
	v_and_b32_e32 v33, 3, v31
	v_or_b32_e32 v12, v12, v31
	v_or3_b32 v30, v32, v30, v33
	v_cmp_ne_u32_e32 vcc_lo, 0, v12
	v_cndmask_b32_e32 v12, 0, v30, vcc_lo
.LBB6_4929:                             ;   in Loop: Header=BB6_4830 Depth=3
	s_or_b32 exec_lo, exec_lo, s22
.LBB6_4930:                             ;   in Loop: Header=BB6_4830 Depth=3
	s_or_b32 exec_lo, exec_lo, s18
	v_cmp_gt_i16_sdwa s18, v13, v59 src0_sel:BYTE_1 src1_sel:DWORD
	s_mov_b32 s17, 0
	s_and_saveexec_b32 s22, s18
	s_xor_b32 s18, exec_lo, s22
	s_cbranch_execz .LBB6_5173
; %bb.4931:                             ;   in Loop: Header=BB6_4830 Depth=3
	v_cmp_eq_u16_sdwa s23, v13, v60 src0_sel:BYTE_1 src1_sel:DWORD
	s_mov_b32 s17, -1
	s_and_saveexec_b32 s22, s23
; %bb.4932:                             ;   in Loop: Header=BB6_4830 Depth=3
	s_xor_b32 s17, exec_lo, -1
; %bb.4933:                             ;   in Loop: Header=BB6_4830 Depth=3
	s_or_b32 exec_lo, exec_lo, s22
	s_and_b32 s17, s17, exec_lo
	s_or_saveexec_b32 s18, s18
	v_mov_b32_e32 v30, 0x7f800001
	s_xor_b32 exec_lo, exec_lo, s18
	s_cbranch_execnz .LBB6_5174
.LBB6_4934:                             ;   in Loop: Header=BB6_4830 Depth=3
	s_or_b32 exec_lo, exec_lo, s18
	s_and_saveexec_b32 s18, s17
	s_cbranch_execz .LBB6_4936
.LBB6_4935:                             ;   in Loop: Header=BB6_4830 Depth=3
	v_and_b32_sdwa v30, v61, v13 dst_sel:DWORD dst_unused:UNUSED_PAD src0_sel:DWORD src1_sel:BYTE_1
	v_and_b32_e32 v31, 3, v30
	v_bfe_u32 v34, v30, 2, 5
	v_ffbh_u32_e32 v32, v31
	v_cmp_eq_u32_e32 vcc_lo, 0, v34
	v_min_u32_e32 v32, 32, v32
	v_subrev_nc_u32_e32 v33, 29, v32
	v_sub_nc_u32_e32 v32, 30, v32
	v_lshlrev_b32_e32 v30, v33, v30
	v_lshlrev_b32_sdwa v33, v62, v13 dst_sel:DWORD dst_unused:UNUSED_PAD src0_sel:DWORD src1_sel:BYTE_1
	v_cndmask_b32_e32 v32, v34, v32, vcc_lo
	v_and_b32_e32 v30, 3, v30
	v_lshl_add_u32 v32, v32, 23, 0x37800000
	v_cndmask_b32_e32 v30, v31, v30, vcc_lo
	v_and_b32_e32 v31, 0x80000000, v33
	v_lshlrev_b32_e32 v30, 21, v30
	v_or3_b32 v30, v31, v32, v30
.LBB6_4936:                             ;   in Loop: Header=BB6_4830 Depth=3
	s_or_b32 exec_lo, exec_lo, s18
	v_cmp_gt_i16_sdwa s18, v9, v59 src0_sel:BYTE_1 src1_sel:DWORD
	s_mov_b32 s17, 0
	s_and_saveexec_b32 s22, s18
	s_xor_b32 s18, exec_lo, s22
	s_cbranch_execz .LBB6_5175
; %bb.4937:                             ;   in Loop: Header=BB6_4830 Depth=3
	v_cmp_eq_u16_sdwa s23, v9, v60 src0_sel:BYTE_1 src1_sel:DWORD
	s_mov_b32 s17, -1
	s_and_saveexec_b32 s22, s23
; %bb.4938:                             ;   in Loop: Header=BB6_4830 Depth=3
	s_xor_b32 s17, exec_lo, -1
; %bb.4939:                             ;   in Loop: Header=BB6_4830 Depth=3
	s_or_b32 exec_lo, exec_lo, s22
	s_and_b32 s17, s17, exec_lo
	s_or_saveexec_b32 s18, s18
	v_mov_b32_e32 v31, 0x7f800001
	s_xor_b32 exec_lo, exec_lo, s18
	s_cbranch_execnz .LBB6_5176
.LBB6_4940:                             ;   in Loop: Header=BB6_4830 Depth=3
	s_or_b32 exec_lo, exec_lo, s18
	s_and_saveexec_b32 s18, s17
	s_cbranch_execz .LBB6_4942
.LBB6_4941:                             ;   in Loop: Header=BB6_4830 Depth=3
	v_and_b32_sdwa v31, v61, v9 dst_sel:DWORD dst_unused:UNUSED_PAD src0_sel:DWORD src1_sel:BYTE_1
	v_and_b32_e32 v32, 3, v31
	v_bfe_u32 v35, v31, 2, 5
	v_ffbh_u32_e32 v33, v32
	v_cmp_eq_u32_e32 vcc_lo, 0, v35
	v_min_u32_e32 v33, 32, v33
	v_subrev_nc_u32_e32 v34, 29, v33
	v_sub_nc_u32_e32 v33, 30, v33
	v_lshlrev_b32_e32 v31, v34, v31
	v_lshlrev_b32_sdwa v34, v62, v9 dst_sel:DWORD dst_unused:UNUSED_PAD src0_sel:DWORD src1_sel:BYTE_1
	v_cndmask_b32_e32 v33, v35, v33, vcc_lo
	v_and_b32_e32 v31, 3, v31
	v_lshl_add_u32 v33, v33, 23, 0x37800000
	v_cndmask_b32_e32 v31, v32, v31, vcc_lo
	v_and_b32_e32 v32, 0x80000000, v34
	v_lshlrev_b32_e32 v31, 21, v31
	v_or3_b32 v31, v32, v33, v31
.LBB6_4942:                             ;   in Loop: Header=BB6_4830 Depth=3
	s_or_b32 exec_lo, exec_lo, s18
	v_mul_f32_e32 v31, v30, v31
	v_and_b32_e32 v30, 0x7f800000, v31
	v_cmp_ne_u32_e32 vcc_lo, 0x7f800000, v30
	v_mov_b32_e32 v30, 0x8000
	s_and_saveexec_b32 s18, vcc_lo
	s_cbranch_execz .LBB6_4950
; %bb.4943:                             ;   in Loop: Header=BB6_4830 Depth=3
	v_mov_b32_e32 v30, 0
	s_mov_b32 s22, exec_lo
	v_cmpx_ne_u32_e32 0, v31
	s_cbranch_execz .LBB6_4949
; %bb.4944:                             ;   in Loop: Header=BB6_4830 Depth=3
	v_bfe_u32 v30, v31, 23, 8
	v_and_b32_e32 v32, 0x7fffff, v31
	v_sub_nc_u32_e32 v33, 0x70, v30
	v_cmp_gt_u32_e32 vcc_lo, 0x71, v30
	v_or_b32_e32 v34, 0x800000, v32
	v_cndmask_b32_e32 v33, 0, v33, vcc_lo
	v_cmp_eq_u32_e32 vcc_lo, 0, v30
	v_add_nc_u32_e32 v30, 0xffffff91, v30
	v_cndmask_b32_e64 v33, v33, 0x6f, vcc_lo
	v_cndmask_b32_e32 v32, v34, v32, vcc_lo
	v_cndmask_b32_e64 v30, v30, 0xffffff92, vcc_lo
	v_lshl_add_u32 v34, 0x200000, v33, -1
	v_lshrrev_b32_e32 v35, v33, v32
	v_lshlrev_b32_e64 v37, v33, 0x100000
	v_add_nc_u32_e32 v33, v33, v30
	v_and_b32_e32 v32, v34, v32
	v_bfe_u32 v36, v35, 21, 1
	v_cmp_eq_u32_e64 s17, v32, v37
	v_add_nc_u32_e32 v34, -1, v36
	v_cndmask_b32_e64 v32, 0, v34, s17
	v_lshrrev_b32_e32 v34, 23, v35
	s_mov_b32 s17, exec_lo
	v_add_nc_u32_e32 v32, v32, v35
	v_xor_b32_e32 v34, 1, v34
	v_and_b32_e32 v30, 0x1fffff, v32
	v_add_nc_u32_e32 v32, v30, v35
                                        ; implicit-def: $vgpr30
	v_cmpx_ne_u32_e64 v33, v34
	s_xor_b32 s17, exec_lo, s17
; %bb.4945:                             ;   in Loop: Header=BB6_4830 Depth=3
	v_cmp_lt_u32_e32 vcc_lo, 0xffffff, v32
	v_sub_nc_u32_e32 v30, v33, v34
	v_cndmask_b32_e64 v33, 0, 1, vcc_lo
	v_add_co_ci_u32_e64 v30, null, 0, v30, vcc_lo
	v_lshrrev_b32_e32 v32, v33, v32
; %bb.4946:                             ;   in Loop: Header=BB6_4830 Depth=3
	s_andn2_saveexec_b32 s17, s17
; %bb.4947:                             ;   in Loop: Header=BB6_4830 Depth=3
	v_bfe_u32 v30, v32, 23, 1
; %bb.4948:                             ;   in Loop: Header=BB6_4830 Depth=3
	s_or_b32 exec_lo, exec_lo, s17
	v_lshrrev_b32_e32 v32, 21, v32
	v_min_i32_e32 v33, 31, v30
	v_cmp_gt_i32_e32 vcc_lo, 32, v30
	v_and_b32_sdwa v31, v31, v60 dst_sel:DWORD dst_unused:UNUSED_PAD src0_sel:BYTE_3 src1_sel:DWORD
	v_lshlrev_b32_e32 v33, 2, v33
	v_cndmask_b32_e32 v32, 3, v32, vcc_lo
	v_and_b32_e32 v33, 0xfc, v33
	v_and_b32_e32 v34, 3, v32
	v_or_b32_e32 v30, v30, v32
	v_or3_b32 v31, v31, v33, v34
	v_cmp_ne_u32_e32 vcc_lo, 0, v30
	v_lshlrev_b32_e32 v31, 8, v31
	v_cndmask_b32_e32 v30, 0, v31, vcc_lo
.LBB6_4949:                             ;   in Loop: Header=BB6_4830 Depth=3
	s_or_b32 exec_lo, exec_lo, s22
.LBB6_4950:                             ;   in Loop: Header=BB6_4830 Depth=3
	s_or_b32 exec_lo, exec_lo, s18
	v_and_b32_sdwa v32, v13, v63 dst_sel:DWORD dst_unused:UNUSED_PAD src0_sel:WORD_1 src1_sel:DWORD
	s_mov_b32 s17, 0
	s_mov_b32 s18, exec_lo
	v_cmpx_lt_i16_e32 0x7f, v32
	s_xor_b32 s18, exec_lo, s18
	s_cbranch_execz .LBB6_5177
; %bb.4951:                             ;   in Loop: Header=BB6_4830 Depth=3
	s_mov_b32 s17, -1
	s_mov_b32 s22, exec_lo
	v_cmpx_eq_u16_e32 0x80, v32
; %bb.4952:                             ;   in Loop: Header=BB6_4830 Depth=3
	s_xor_b32 s17, exec_lo, -1
; %bb.4953:                             ;   in Loop: Header=BB6_4830 Depth=3
	s_or_b32 exec_lo, exec_lo, s22
	s_and_b32 s17, s17, exec_lo
                                        ; implicit-def: $vgpr32
	s_or_saveexec_b32 s18, s18
	v_mov_b32_e32 v31, 0x7f800001
	s_xor_b32 exec_lo, exec_lo, s18
	s_cbranch_execnz .LBB6_5178
.LBB6_4954:                             ;   in Loop: Header=BB6_4830 Depth=3
	s_or_b32 exec_lo, exec_lo, s18
	s_and_saveexec_b32 s18, s17
	s_cbranch_execz .LBB6_4956
.LBB6_4955:                             ;   in Loop: Header=BB6_4830 Depth=3
	v_bfe_u32 v31, v13, 16, 2
	v_bfe_u32 v34, v13, 18, 5
	v_lshlrev_b32_e32 v35, 8, v13
	v_ffbh_u32_e32 v32, v31
	v_cmp_eq_u32_e32 vcc_lo, 0, v34
	v_min_u32_e32 v32, 32, v32
	v_subrev_nc_u32_e32 v33, 29, v32
	v_sub_nc_u32_e32 v32, 30, v32
	v_lshlrev_b32_sdwa v33, v33, v13 dst_sel:DWORD dst_unused:UNUSED_PAD src0_sel:DWORD src1_sel:WORD_1
	v_cndmask_b32_e32 v32, v34, v32, vcc_lo
	v_and_b32_e32 v33, 3, v33
	v_lshl_add_u32 v32, v32, 23, 0x37800000
	v_cndmask_b32_e32 v31, v31, v33, vcc_lo
	v_and_b32_e32 v33, 0x80000000, v35
	v_lshlrev_b32_e32 v31, 21, v31
	v_or3_b32 v31, v33, v32, v31
.LBB6_4956:                             ;   in Loop: Header=BB6_4830 Depth=3
	s_or_b32 exec_lo, exec_lo, s18
	v_and_b32_sdwa v33, v9, v63 dst_sel:DWORD dst_unused:UNUSED_PAD src0_sel:WORD_1 src1_sel:DWORD
	s_mov_b32 s17, 0
	s_mov_b32 s18, exec_lo
	v_cmpx_lt_i16_e32 0x7f, v33
	s_xor_b32 s18, exec_lo, s18
	s_cbranch_execz .LBB6_5179
; %bb.4957:                             ;   in Loop: Header=BB6_4830 Depth=3
	s_mov_b32 s17, -1
	s_mov_b32 s22, exec_lo
	v_cmpx_eq_u16_e32 0x80, v33
; %bb.4958:                             ;   in Loop: Header=BB6_4830 Depth=3
	s_xor_b32 s17, exec_lo, -1
; %bb.4959:                             ;   in Loop: Header=BB6_4830 Depth=3
	s_or_b32 exec_lo, exec_lo, s22
	s_and_b32 s17, s17, exec_lo
                                        ; implicit-def: $vgpr33
	s_or_saveexec_b32 s18, s18
	v_mov_b32_e32 v32, 0x7f800001
	s_xor_b32 exec_lo, exec_lo, s18
	s_cbranch_execnz .LBB6_5180
.LBB6_4960:                             ;   in Loop: Header=BB6_4830 Depth=3
	s_or_b32 exec_lo, exec_lo, s18
	s_and_saveexec_b32 s18, s17
	s_cbranch_execz .LBB6_4962
.LBB6_4961:                             ;   in Loop: Header=BB6_4830 Depth=3
	v_and_b32_sdwa v32, v9, v72 dst_sel:DWORD dst_unused:UNUSED_PAD src0_sel:WORD_1 src1_sel:DWORD
	v_bfe_u32 v35, v9, 18, 5
	v_lshlrev_b32_sdwa v36, v62, v9 dst_sel:DWORD dst_unused:UNUSED_PAD src0_sel:DWORD src1_sel:WORD_1
	v_ffbh_u32_e32 v33, v32
	v_cmp_eq_u32_e32 vcc_lo, 0, v35
	v_min_u32_e32 v33, 32, v33
	v_subrev_nc_u32_e32 v34, 29, v33
	v_sub_nc_u32_e32 v33, 30, v33
	v_lshlrev_b32_sdwa v34, v34, v9 dst_sel:DWORD dst_unused:UNUSED_PAD src0_sel:DWORD src1_sel:WORD_1
	v_cndmask_b32_e32 v33, v35, v33, vcc_lo
	v_and_b32_e32 v34, 3, v34
	v_lshl_add_u32 v33, v33, 23, 0x37800000
	v_cndmask_b32_e32 v32, v32, v34, vcc_lo
	v_and_b32_e32 v34, 0x80000000, v36
	v_lshlrev_b32_e32 v32, 21, v32
	v_or3_b32 v32, v34, v33, v32
.LBB6_4962:                             ;   in Loop: Header=BB6_4830 Depth=3
	s_or_b32 exec_lo, exec_lo, s18
	v_mul_f32_e32 v32, v31, v32
	v_and_b32_e32 v31, 0x7f800000, v32
	v_cmp_ne_u32_e32 vcc_lo, 0x7f800000, v31
	v_mov_b32_e32 v31, 0x80
	s_and_saveexec_b32 s18, vcc_lo
	s_cbranch_execz .LBB6_4970
; %bb.4963:                             ;   in Loop: Header=BB6_4830 Depth=3
	v_mov_b32_e32 v31, 0
	s_mov_b32 s22, exec_lo
	v_cmpx_ne_u32_e32 0, v32
	s_cbranch_execz .LBB6_4969
; %bb.4964:                             ;   in Loop: Header=BB6_4830 Depth=3
	v_bfe_u32 v31, v32, 23, 8
	v_and_b32_e32 v33, 0x7fffff, v32
	v_sub_nc_u32_e32 v34, 0x70, v31
	v_cmp_gt_u32_e32 vcc_lo, 0x71, v31
	v_or_b32_e32 v35, 0x800000, v33
	v_cndmask_b32_e32 v34, 0, v34, vcc_lo
	v_cmp_eq_u32_e32 vcc_lo, 0, v31
	v_add_nc_u32_e32 v31, 0xffffff91, v31
	v_cndmask_b32_e64 v34, v34, 0x6f, vcc_lo
	v_cndmask_b32_e32 v33, v35, v33, vcc_lo
	v_cndmask_b32_e64 v31, v31, 0xffffff92, vcc_lo
	v_lshl_add_u32 v35, 0x200000, v34, -1
	v_lshrrev_b32_e32 v36, v34, v33
	v_lshlrev_b32_e64 v38, v34, 0x100000
	v_add_nc_u32_e32 v34, v34, v31
	v_and_b32_e32 v33, v35, v33
	v_bfe_u32 v37, v36, 21, 1
	v_cmp_eq_u32_e64 s17, v33, v38
	v_add_nc_u32_e32 v35, -1, v37
	v_cndmask_b32_e64 v33, 0, v35, s17
	v_lshrrev_b32_e32 v35, 23, v36
	s_mov_b32 s17, exec_lo
	v_add_nc_u32_e32 v33, v33, v36
	v_xor_b32_e32 v35, 1, v35
	v_and_b32_e32 v31, 0x1fffff, v33
	v_add_nc_u32_e32 v33, v31, v36
                                        ; implicit-def: $vgpr31
	v_cmpx_ne_u32_e64 v34, v35
	s_xor_b32 s17, exec_lo, s17
; %bb.4965:                             ;   in Loop: Header=BB6_4830 Depth=3
	v_cmp_lt_u32_e32 vcc_lo, 0xffffff, v33
	v_sub_nc_u32_e32 v31, v34, v35
	v_cndmask_b32_e64 v34, 0, 1, vcc_lo
	v_add_co_ci_u32_e64 v31, null, 0, v31, vcc_lo
	v_lshrrev_b32_e32 v33, v34, v33
; %bb.4966:                             ;   in Loop: Header=BB6_4830 Depth=3
	s_andn2_saveexec_b32 s17, s17
; %bb.4967:                             ;   in Loop: Header=BB6_4830 Depth=3
	v_bfe_u32 v31, v33, 23, 1
; %bb.4968:                             ;   in Loop: Header=BB6_4830 Depth=3
	s_or_b32 exec_lo, exec_lo, s17
	v_lshrrev_b32_e32 v33, 21, v33
	v_min_i32_e32 v34, 31, v31
	v_cmp_gt_i32_e32 vcc_lo, 32, v31
	v_and_b32_sdwa v32, v32, v60 dst_sel:DWORD dst_unused:UNUSED_PAD src0_sel:BYTE_3 src1_sel:DWORD
	v_lshlrev_b32_e32 v34, 2, v34
	v_cndmask_b32_e32 v33, 3, v33, vcc_lo
	v_and_b32_e32 v34, 0xfc, v34
	v_and_b32_e32 v35, 3, v33
	v_or_b32_e32 v31, v31, v33
	v_or3_b32 v32, v34, v32, v35
	v_cmp_ne_u32_e32 vcc_lo, 0, v31
	v_cndmask_b32_e32 v31, 0, v32, vcc_lo
.LBB6_4969:                             ;   in Loop: Header=BB6_4830 Depth=3
	s_or_b32 exec_lo, exec_lo, s22
.LBB6_4970:                             ;   in Loop: Header=BB6_4830 Depth=3
	s_or_b32 exec_lo, exec_lo, s18
	v_cmp_gt_i16_sdwa s18, v13, v59 src0_sel:BYTE_3 src1_sel:DWORD
	s_mov_b32 s17, 0
	s_and_saveexec_b32 s22, s18
	s_xor_b32 s18, exec_lo, s22
	s_cbranch_execz .LBB6_5181
; %bb.4971:                             ;   in Loop: Header=BB6_4830 Depth=3
	v_cmp_eq_u16_sdwa s23, v13, v60 src0_sel:BYTE_3 src1_sel:DWORD
	s_mov_b32 s17, -1
	s_and_saveexec_b32 s22, s23
; %bb.4972:                             ;   in Loop: Header=BB6_4830 Depth=3
	s_xor_b32 s17, exec_lo, -1
; %bb.4973:                             ;   in Loop: Header=BB6_4830 Depth=3
	s_or_b32 exec_lo, exec_lo, s22
	s_and_b32 s17, s17, exec_lo
	s_or_saveexec_b32 s18, s18
	v_mov_b32_e32 v32, 0x7f800001
	s_xor_b32 exec_lo, exec_lo, s18
	s_cbranch_execnz .LBB6_5182
.LBB6_4974:                             ;   in Loop: Header=BB6_4830 Depth=3
	s_or_b32 exec_lo, exec_lo, s18
	s_and_saveexec_b32 s18, s17
	s_cbranch_execz .LBB6_4976
.LBB6_4975:                             ;   in Loop: Header=BB6_4830 Depth=3
	v_bfe_u32 v32, v13, 24, 2
	v_bfe_u32 v35, v13, 26, 5
	v_ffbh_u32_e32 v33, v32
	v_cmp_eq_u32_e32 vcc_lo, 0, v35
	v_min_u32_e32 v33, 32, v33
	v_subrev_nc_u32_e32 v34, 29, v33
	v_sub_nc_u32_e32 v33, 30, v33
	v_lshlrev_b32_sdwa v34, v34, v13 dst_sel:DWORD dst_unused:UNUSED_PAD src0_sel:DWORD src1_sel:BYTE_3
	v_cndmask_b32_e32 v33, v35, v33, vcc_lo
	v_and_b32_e32 v13, 0x80000000, v13
	v_and_b32_e32 v34, 3, v34
	v_lshl_add_u32 v33, v33, 23, 0x37800000
	v_cndmask_b32_e32 v32, v32, v34, vcc_lo
	v_lshlrev_b32_e32 v32, 21, v32
	v_or3_b32 v32, v13, v33, v32
.LBB6_4976:                             ;   in Loop: Header=BB6_4830 Depth=3
	s_or_b32 exec_lo, exec_lo, s18
	v_cmp_gt_i16_sdwa s18, v9, v59 src0_sel:BYTE_3 src1_sel:DWORD
	s_mov_b32 s17, 0
	s_and_saveexec_b32 s22, s18
	s_xor_b32 s18, exec_lo, s22
	s_cbranch_execz .LBB6_5183
; %bb.4977:                             ;   in Loop: Header=BB6_4830 Depth=3
	v_cmp_eq_u16_sdwa s23, v9, v60 src0_sel:BYTE_3 src1_sel:DWORD
	s_mov_b32 s17, -1
	s_and_saveexec_b32 s22, s23
; %bb.4978:                             ;   in Loop: Header=BB6_4830 Depth=3
	s_xor_b32 s17, exec_lo, -1
; %bb.4979:                             ;   in Loop: Header=BB6_4830 Depth=3
	s_or_b32 exec_lo, exec_lo, s22
	s_and_b32 s17, s17, exec_lo
	s_or_saveexec_b32 s18, s18
	v_mov_b32_e32 v13, 0x7f800001
	s_xor_b32 exec_lo, exec_lo, s18
	s_cbranch_execnz .LBB6_5184
.LBB6_4980:                             ;   in Loop: Header=BB6_4830 Depth=3
	s_or_b32 exec_lo, exec_lo, s18
	s_and_saveexec_b32 s18, s17
	s_cbranch_execz .LBB6_4982
.LBB6_4981:                             ;   in Loop: Header=BB6_4830 Depth=3
	v_and_b32_sdwa v13, v9, v72 dst_sel:DWORD dst_unused:UNUSED_PAD src0_sel:BYTE_3 src1_sel:DWORD
	v_bfe_u32 v35, v9, 26, 5
	v_ffbh_u32_e32 v33, v13
	v_cmp_eq_u32_e32 vcc_lo, 0, v35
	v_min_u32_e32 v33, 32, v33
	v_subrev_nc_u32_e32 v34, 29, v33
	v_sub_nc_u32_e32 v33, 30, v33
	v_lshlrev_b32_sdwa v34, v34, v9 dst_sel:DWORD dst_unused:UNUSED_PAD src0_sel:DWORD src1_sel:BYTE_3
	v_cndmask_b32_e32 v33, v35, v33, vcc_lo
	v_and_b32_e32 v9, 0x80000000, v9
	v_and_b32_e32 v34, 3, v34
	v_lshl_add_u32 v33, v33, 23, 0x37800000
	v_cndmask_b32_e32 v13, v13, v34, vcc_lo
	v_lshlrev_b32_e32 v13, 21, v13
	v_or3_b32 v13, v9, v33, v13
.LBB6_4982:                             ;   in Loop: Header=BB6_4830 Depth=3
	s_or_b32 exec_lo, exec_lo, s18
	v_mul_f32_e32 v13, v32, v13
	v_and_b32_e32 v9, 0x7f800000, v13
	v_cmp_ne_u32_e32 vcc_lo, 0x7f800000, v9
	v_mov_b32_e32 v9, 0x8000
	s_and_saveexec_b32 s18, vcc_lo
	s_cbranch_execz .LBB6_4990
; %bb.4983:                             ;   in Loop: Header=BB6_4830 Depth=3
	v_mov_b32_e32 v9, 0
	s_mov_b32 s22, exec_lo
	v_cmpx_ne_u32_e32 0, v13
	s_cbranch_execz .LBB6_4989
; %bb.4984:                             ;   in Loop: Header=BB6_4830 Depth=3
	v_bfe_u32 v9, v13, 23, 8
	v_and_b32_e32 v32, 0x7fffff, v13
	v_sub_nc_u32_e32 v33, 0x70, v9
	v_cmp_gt_u32_e32 vcc_lo, 0x71, v9
	v_or_b32_e32 v34, 0x800000, v32
	v_cndmask_b32_e32 v33, 0, v33, vcc_lo
	v_cmp_eq_u32_e32 vcc_lo, 0, v9
	v_add_nc_u32_e32 v9, 0xffffff91, v9
	v_cndmask_b32_e64 v33, v33, 0x6f, vcc_lo
	v_cndmask_b32_e32 v32, v34, v32, vcc_lo
	v_cndmask_b32_e64 v9, v9, 0xffffff92, vcc_lo
	v_lshl_add_u32 v34, 0x200000, v33, -1
	v_lshrrev_b32_e32 v35, v33, v32
	v_lshlrev_b32_e64 v37, v33, 0x100000
	v_add_nc_u32_e32 v33, v33, v9
	v_and_b32_e32 v32, v34, v32
	v_bfe_u32 v36, v35, 21, 1
	v_cmp_eq_u32_e64 s17, v32, v37
	v_add_nc_u32_e32 v34, -1, v36
	v_cndmask_b32_e64 v32, 0, v34, s17
	v_lshrrev_b32_e32 v34, 23, v35
	s_mov_b32 s17, exec_lo
	v_add_nc_u32_e32 v32, v32, v35
	v_xor_b32_e32 v34, 1, v34
	v_and_b32_e32 v9, 0x1fffff, v32
	v_add_nc_u32_e32 v32, v9, v35
                                        ; implicit-def: $vgpr9
	v_cmpx_ne_u32_e64 v33, v34
	s_xor_b32 s17, exec_lo, s17
; %bb.4985:                             ;   in Loop: Header=BB6_4830 Depth=3
	v_cmp_lt_u32_e32 vcc_lo, 0xffffff, v32
	v_sub_nc_u32_e32 v9, v33, v34
	v_cndmask_b32_e64 v33, 0, 1, vcc_lo
	v_add_co_ci_u32_e64 v9, null, 0, v9, vcc_lo
	v_lshrrev_b32_e32 v32, v33, v32
; %bb.4986:                             ;   in Loop: Header=BB6_4830 Depth=3
	s_andn2_saveexec_b32 s17, s17
; %bb.4987:                             ;   in Loop: Header=BB6_4830 Depth=3
	v_bfe_u32 v9, v32, 23, 1
; %bb.4988:                             ;   in Loop: Header=BB6_4830 Depth=3
	s_or_b32 exec_lo, exec_lo, s17
	v_lshrrev_b32_e32 v32, 21, v32
	v_min_i32_e32 v33, 31, v9
	v_cmp_gt_i32_e32 vcc_lo, 32, v9
	v_and_b32_sdwa v13, v13, v60 dst_sel:DWORD dst_unused:UNUSED_PAD src0_sel:BYTE_3 src1_sel:DWORD
	v_lshlrev_b32_e32 v33, 2, v33
	v_cndmask_b32_e32 v32, 3, v32, vcc_lo
	v_and_b32_e32 v33, 0xfc, v33
	v_and_b32_e32 v34, 3, v32
	v_or_b32_e32 v9, v9, v32
	v_or3_b32 v13, v13, v33, v34
	v_cmp_ne_u32_e32 vcc_lo, 0, v9
	v_lshlrev_b32_e32 v13, 8, v13
	v_cndmask_b32_e32 v9, 0, v13, vcc_lo
.LBB6_4989:                             ;   in Loop: Header=BB6_4830 Depth=3
	s_or_b32 exec_lo, exec_lo, s22
.LBB6_4990:                             ;   in Loop: Header=BB6_4830 Depth=3
	s_or_b32 exec_lo, exec_lo, s18
	v_cmp_gt_i16_sdwa s18, v14, v59 src0_sel:BYTE_0 src1_sel:DWORD
	s_mov_b32 s17, 0
	s_and_saveexec_b32 s22, s18
	s_xor_b32 s18, exec_lo, s22
	s_cbranch_execz .LBB6_5185
; %bb.4991:                             ;   in Loop: Header=BB6_4830 Depth=3
	v_cmp_eq_u16_sdwa s23, v14, v60 src0_sel:BYTE_0 src1_sel:DWORD
	s_mov_b32 s17, -1
	s_and_saveexec_b32 s22, s23
; %bb.4992:                             ;   in Loop: Header=BB6_4830 Depth=3
	s_xor_b32 s17, exec_lo, -1
; %bb.4993:                             ;   in Loop: Header=BB6_4830 Depth=3
	s_or_b32 exec_lo, exec_lo, s22
	s_and_b32 s17, s17, exec_lo
	s_or_saveexec_b32 s18, s18
	v_mov_b32_e32 v13, 0x7f800001
	s_xor_b32 exec_lo, exec_lo, s18
	s_cbranch_execnz .LBB6_5186
.LBB6_4994:                             ;   in Loop: Header=BB6_4830 Depth=3
	s_or_b32 exec_lo, exec_lo, s18
	s_and_saveexec_b32 s18, s17
	s_cbranch_execz .LBB6_4996
.LBB6_4995:                             ;   in Loop: Header=BB6_4830 Depth=3
	v_and_b32_e32 v13, 3, v14
	v_bfe_u32 v34, v14, 2, 5
	v_lshlrev_b32_e32 v35, 24, v14
	v_ffbh_u32_e32 v32, v13
	v_cmp_eq_u32_e32 vcc_lo, 0, v34
	v_min_u32_e32 v32, 32, v32
	v_subrev_nc_u32_e32 v33, 29, v32
	v_sub_nc_u32_e32 v32, 30, v32
	v_lshlrev_b32_e32 v33, v33, v14
	v_cndmask_b32_e32 v32, v34, v32, vcc_lo
	v_and_b32_e32 v33, 3, v33
	v_lshl_add_u32 v32, v32, 23, 0x37800000
	v_cndmask_b32_e32 v13, v13, v33, vcc_lo
	v_and_b32_e32 v33, 0x80000000, v35
	v_lshlrev_b32_e32 v13, 21, v13
	v_or3_b32 v13, v33, v32, v13
.LBB6_4996:                             ;   in Loop: Header=BB6_4830 Depth=3
	s_or_b32 exec_lo, exec_lo, s18
	v_cmp_gt_i16_sdwa s18, v10, v59 src0_sel:BYTE_0 src1_sel:DWORD
	s_mov_b32 s17, 0
	s_and_saveexec_b32 s22, s18
	s_xor_b32 s18, exec_lo, s22
	s_cbranch_execz .LBB6_5187
; %bb.4997:                             ;   in Loop: Header=BB6_4830 Depth=3
	v_cmp_eq_u16_sdwa s23, v10, v60 src0_sel:BYTE_0 src1_sel:DWORD
	s_mov_b32 s17, -1
	s_and_saveexec_b32 s22, s23
; %bb.4998:                             ;   in Loop: Header=BB6_4830 Depth=3
	s_xor_b32 s17, exec_lo, -1
; %bb.4999:                             ;   in Loop: Header=BB6_4830 Depth=3
	s_or_b32 exec_lo, exec_lo, s22
	s_and_b32 s17, s17, exec_lo
	s_or_saveexec_b32 s18, s18
	v_mov_b32_e32 v32, 0x7f800001
	s_xor_b32 exec_lo, exec_lo, s18
	s_cbranch_execnz .LBB6_5188
.LBB6_5000:                             ;   in Loop: Header=BB6_4830 Depth=3
	s_or_b32 exec_lo, exec_lo, s18
	s_and_saveexec_b32 s18, s17
	s_cbranch_execz .LBB6_5002
.LBB6_5001:                             ;   in Loop: Header=BB6_4830 Depth=3
	v_and_b32_e32 v32, 3, v10
	v_bfe_u32 v35, v10, 2, 5
	v_lshlrev_b32_e32 v36, 24, v10
	v_ffbh_u32_e32 v33, v32
	v_cmp_eq_u32_e32 vcc_lo, 0, v35
	v_min_u32_e32 v33, 32, v33
	v_subrev_nc_u32_e32 v34, 29, v33
	v_sub_nc_u32_e32 v33, 30, v33
	v_lshlrev_b32_e32 v34, v34, v10
	v_cndmask_b32_e32 v33, v35, v33, vcc_lo
	v_and_b32_e32 v34, 3, v34
	v_lshl_add_u32 v33, v33, 23, 0x37800000
	v_cndmask_b32_e32 v32, v32, v34, vcc_lo
	v_and_b32_e32 v34, 0x80000000, v36
	v_lshlrev_b32_e32 v32, 21, v32
	v_or3_b32 v32, v34, v33, v32
.LBB6_5002:                             ;   in Loop: Header=BB6_4830 Depth=3
	s_or_b32 exec_lo, exec_lo, s18
	v_mul_f32_e32 v32, v13, v32
	v_and_b32_e32 v13, 0x7f800000, v32
	v_cmp_ne_u32_e32 vcc_lo, 0x7f800000, v13
	v_mov_b32_e32 v13, 0x80
	s_and_saveexec_b32 s18, vcc_lo
	s_cbranch_execz .LBB6_5010
; %bb.5003:                             ;   in Loop: Header=BB6_4830 Depth=3
	v_mov_b32_e32 v13, 0
	s_mov_b32 s22, exec_lo
	v_cmpx_ne_u32_e32 0, v32
	s_cbranch_execz .LBB6_5009
; %bb.5004:                             ;   in Loop: Header=BB6_4830 Depth=3
	v_bfe_u32 v13, v32, 23, 8
	v_and_b32_e32 v33, 0x7fffff, v32
	v_sub_nc_u32_e32 v34, 0x70, v13
	v_cmp_gt_u32_e32 vcc_lo, 0x71, v13
	v_or_b32_e32 v35, 0x800000, v33
	v_cndmask_b32_e32 v34, 0, v34, vcc_lo
	v_cmp_eq_u32_e32 vcc_lo, 0, v13
	v_add_nc_u32_e32 v13, 0xffffff91, v13
	v_cndmask_b32_e64 v34, v34, 0x6f, vcc_lo
	v_cndmask_b32_e32 v33, v35, v33, vcc_lo
	v_cndmask_b32_e64 v13, v13, 0xffffff92, vcc_lo
	v_lshl_add_u32 v35, 0x200000, v34, -1
	v_lshrrev_b32_e32 v36, v34, v33
	v_lshlrev_b32_e64 v38, v34, 0x100000
	v_add_nc_u32_e32 v34, v34, v13
	v_and_b32_e32 v33, v35, v33
	v_bfe_u32 v37, v36, 21, 1
	v_cmp_eq_u32_e64 s17, v33, v38
	v_add_nc_u32_e32 v35, -1, v37
	v_cndmask_b32_e64 v33, 0, v35, s17
	v_lshrrev_b32_e32 v35, 23, v36
	s_mov_b32 s17, exec_lo
	v_add_nc_u32_e32 v33, v33, v36
	v_xor_b32_e32 v35, 1, v35
	v_and_b32_e32 v13, 0x1fffff, v33
	v_add_nc_u32_e32 v33, v13, v36
                                        ; implicit-def: $vgpr13
	v_cmpx_ne_u32_e64 v34, v35
	s_xor_b32 s17, exec_lo, s17
; %bb.5005:                             ;   in Loop: Header=BB6_4830 Depth=3
	v_cmp_lt_u32_e32 vcc_lo, 0xffffff, v33
	v_sub_nc_u32_e32 v13, v34, v35
	v_cndmask_b32_e64 v34, 0, 1, vcc_lo
	v_add_co_ci_u32_e64 v13, null, 0, v13, vcc_lo
	v_lshrrev_b32_e32 v33, v34, v33
; %bb.5006:                             ;   in Loop: Header=BB6_4830 Depth=3
	s_andn2_saveexec_b32 s17, s17
; %bb.5007:                             ;   in Loop: Header=BB6_4830 Depth=3
	v_bfe_u32 v13, v33, 23, 1
; %bb.5008:                             ;   in Loop: Header=BB6_4830 Depth=3
	s_or_b32 exec_lo, exec_lo, s17
	v_lshrrev_b32_e32 v33, 21, v33
	v_min_i32_e32 v34, 31, v13
	v_cmp_gt_i32_e32 vcc_lo, 32, v13
	v_and_b32_sdwa v32, v32, v60 dst_sel:DWORD dst_unused:UNUSED_PAD src0_sel:BYTE_3 src1_sel:DWORD
	v_lshlrev_b32_e32 v34, 2, v34
	v_cndmask_b32_e32 v33, 3, v33, vcc_lo
	v_and_b32_e32 v34, 0xfc, v34
	v_and_b32_e32 v35, 3, v33
	v_or_b32_e32 v13, v13, v33
	v_or3_b32 v32, v34, v32, v35
	v_cmp_ne_u32_e32 vcc_lo, 0, v13
	v_cndmask_b32_e32 v13, 0, v32, vcc_lo
.LBB6_5009:                             ;   in Loop: Header=BB6_4830 Depth=3
	s_or_b32 exec_lo, exec_lo, s22
.LBB6_5010:                             ;   in Loop: Header=BB6_4830 Depth=3
	s_or_b32 exec_lo, exec_lo, s18
	v_cmp_gt_i16_sdwa s18, v14, v59 src0_sel:BYTE_1 src1_sel:DWORD
	s_mov_b32 s17, 0
	s_and_saveexec_b32 s22, s18
	s_xor_b32 s18, exec_lo, s22
	s_cbranch_execz .LBB6_5189
; %bb.5011:                             ;   in Loop: Header=BB6_4830 Depth=3
	v_cmp_eq_u16_sdwa s23, v14, v60 src0_sel:BYTE_1 src1_sel:DWORD
	s_mov_b32 s17, -1
	s_and_saveexec_b32 s22, s23
; %bb.5012:                             ;   in Loop: Header=BB6_4830 Depth=3
	s_xor_b32 s17, exec_lo, -1
; %bb.5013:                             ;   in Loop: Header=BB6_4830 Depth=3
	s_or_b32 exec_lo, exec_lo, s22
	s_and_b32 s17, s17, exec_lo
	s_or_saveexec_b32 s18, s18
	v_mov_b32_e32 v32, 0x7f800001
	s_xor_b32 exec_lo, exec_lo, s18
	s_cbranch_execnz .LBB6_5190
.LBB6_5014:                             ;   in Loop: Header=BB6_4830 Depth=3
	s_or_b32 exec_lo, exec_lo, s18
	s_and_saveexec_b32 s18, s17
	s_cbranch_execz .LBB6_5016
.LBB6_5015:                             ;   in Loop: Header=BB6_4830 Depth=3
	v_and_b32_sdwa v32, v61, v14 dst_sel:DWORD dst_unused:UNUSED_PAD src0_sel:DWORD src1_sel:BYTE_1
	v_and_b32_e32 v33, 3, v32
	v_bfe_u32 v36, v32, 2, 5
	v_ffbh_u32_e32 v34, v33
	v_cmp_eq_u32_e32 vcc_lo, 0, v36
	v_min_u32_e32 v34, 32, v34
	v_subrev_nc_u32_e32 v35, 29, v34
	v_sub_nc_u32_e32 v34, 30, v34
	v_lshlrev_b32_e32 v32, v35, v32
	v_lshlrev_b32_sdwa v35, v62, v14 dst_sel:DWORD dst_unused:UNUSED_PAD src0_sel:DWORD src1_sel:BYTE_1
	v_cndmask_b32_e32 v34, v36, v34, vcc_lo
	v_and_b32_e32 v32, 3, v32
	v_lshl_add_u32 v34, v34, 23, 0x37800000
	v_cndmask_b32_e32 v32, v33, v32, vcc_lo
	v_and_b32_e32 v33, 0x80000000, v35
	v_lshlrev_b32_e32 v32, 21, v32
	v_or3_b32 v32, v33, v34, v32
.LBB6_5016:                             ;   in Loop: Header=BB6_4830 Depth=3
	s_or_b32 exec_lo, exec_lo, s18
	v_cmp_gt_i16_sdwa s18, v10, v59 src0_sel:BYTE_1 src1_sel:DWORD
	s_mov_b32 s17, 0
	s_and_saveexec_b32 s22, s18
	s_xor_b32 s18, exec_lo, s22
	s_cbranch_execz .LBB6_5191
; %bb.5017:                             ;   in Loop: Header=BB6_4830 Depth=3
	v_cmp_eq_u16_sdwa s23, v10, v60 src0_sel:BYTE_1 src1_sel:DWORD
	s_mov_b32 s17, -1
	s_and_saveexec_b32 s22, s23
; %bb.5018:                             ;   in Loop: Header=BB6_4830 Depth=3
	s_xor_b32 s17, exec_lo, -1
; %bb.5019:                             ;   in Loop: Header=BB6_4830 Depth=3
	s_or_b32 exec_lo, exec_lo, s22
	s_and_b32 s17, s17, exec_lo
	s_or_saveexec_b32 s18, s18
	v_mov_b32_e32 v33, 0x7f800001
	s_xor_b32 exec_lo, exec_lo, s18
	s_cbranch_execnz .LBB6_5192
.LBB6_5020:                             ;   in Loop: Header=BB6_4830 Depth=3
	s_or_b32 exec_lo, exec_lo, s18
	s_and_saveexec_b32 s18, s17
	s_cbranch_execz .LBB6_5022
.LBB6_5021:                             ;   in Loop: Header=BB6_4830 Depth=3
	v_and_b32_sdwa v33, v61, v10 dst_sel:DWORD dst_unused:UNUSED_PAD src0_sel:DWORD src1_sel:BYTE_1
	v_and_b32_e32 v34, 3, v33
	v_bfe_u32 v37, v33, 2, 5
	v_ffbh_u32_e32 v35, v34
	v_cmp_eq_u32_e32 vcc_lo, 0, v37
	v_min_u32_e32 v35, 32, v35
	v_subrev_nc_u32_e32 v36, 29, v35
	v_sub_nc_u32_e32 v35, 30, v35
	v_lshlrev_b32_e32 v33, v36, v33
	v_lshlrev_b32_sdwa v36, v62, v10 dst_sel:DWORD dst_unused:UNUSED_PAD src0_sel:DWORD src1_sel:BYTE_1
	v_cndmask_b32_e32 v35, v37, v35, vcc_lo
	v_and_b32_e32 v33, 3, v33
	v_lshl_add_u32 v35, v35, 23, 0x37800000
	v_cndmask_b32_e32 v33, v34, v33, vcc_lo
	v_and_b32_e32 v34, 0x80000000, v36
	v_lshlrev_b32_e32 v33, 21, v33
	v_or3_b32 v33, v34, v35, v33
.LBB6_5022:                             ;   in Loop: Header=BB6_4830 Depth=3
	s_or_b32 exec_lo, exec_lo, s18
	v_mul_f32_e32 v33, v32, v33
	v_and_b32_e32 v32, 0x7f800000, v33
	v_cmp_ne_u32_e32 vcc_lo, 0x7f800000, v32
	v_mov_b32_e32 v32, 0x8000
	s_and_saveexec_b32 s18, vcc_lo
	s_cbranch_execz .LBB6_5030
; %bb.5023:                             ;   in Loop: Header=BB6_4830 Depth=3
	v_mov_b32_e32 v32, 0
	s_mov_b32 s22, exec_lo
	v_cmpx_ne_u32_e32 0, v33
	s_cbranch_execz .LBB6_5029
; %bb.5024:                             ;   in Loop: Header=BB6_4830 Depth=3
	v_bfe_u32 v32, v33, 23, 8
	v_and_b32_e32 v34, 0x7fffff, v33
	v_sub_nc_u32_e32 v35, 0x70, v32
	v_cmp_gt_u32_e32 vcc_lo, 0x71, v32
	v_or_b32_e32 v36, 0x800000, v34
	v_cndmask_b32_e32 v35, 0, v35, vcc_lo
	v_cmp_eq_u32_e32 vcc_lo, 0, v32
	v_add_nc_u32_e32 v32, 0xffffff91, v32
	v_cndmask_b32_e64 v35, v35, 0x6f, vcc_lo
	v_cndmask_b32_e32 v34, v36, v34, vcc_lo
	v_cndmask_b32_e64 v32, v32, 0xffffff92, vcc_lo
	v_lshl_add_u32 v36, 0x200000, v35, -1
	v_lshrrev_b32_e32 v37, v35, v34
	v_lshlrev_b32_e64 v39, v35, 0x100000
	v_add_nc_u32_e32 v35, v35, v32
	v_and_b32_e32 v34, v36, v34
	v_bfe_u32 v38, v37, 21, 1
	v_cmp_eq_u32_e64 s17, v34, v39
	v_add_nc_u32_e32 v36, -1, v38
	v_cndmask_b32_e64 v34, 0, v36, s17
	v_lshrrev_b32_e32 v36, 23, v37
	s_mov_b32 s17, exec_lo
	v_add_nc_u32_e32 v34, v34, v37
	v_xor_b32_e32 v36, 1, v36
	v_and_b32_e32 v32, 0x1fffff, v34
	v_add_nc_u32_e32 v34, v32, v37
                                        ; implicit-def: $vgpr32
	v_cmpx_ne_u32_e64 v35, v36
	s_xor_b32 s17, exec_lo, s17
; %bb.5025:                             ;   in Loop: Header=BB6_4830 Depth=3
	v_cmp_lt_u32_e32 vcc_lo, 0xffffff, v34
	v_sub_nc_u32_e32 v32, v35, v36
	v_cndmask_b32_e64 v35, 0, 1, vcc_lo
	v_add_co_ci_u32_e64 v32, null, 0, v32, vcc_lo
	v_lshrrev_b32_e32 v34, v35, v34
; %bb.5026:                             ;   in Loop: Header=BB6_4830 Depth=3
	s_andn2_saveexec_b32 s17, s17
; %bb.5027:                             ;   in Loop: Header=BB6_4830 Depth=3
	v_bfe_u32 v32, v34, 23, 1
; %bb.5028:                             ;   in Loop: Header=BB6_4830 Depth=3
	s_or_b32 exec_lo, exec_lo, s17
	v_lshrrev_b32_e32 v34, 21, v34
	v_min_i32_e32 v35, 31, v32
	v_cmp_gt_i32_e32 vcc_lo, 32, v32
	v_and_b32_sdwa v33, v33, v60 dst_sel:DWORD dst_unused:UNUSED_PAD src0_sel:BYTE_3 src1_sel:DWORD
	v_lshlrev_b32_e32 v35, 2, v35
	v_cndmask_b32_e32 v34, 3, v34, vcc_lo
	v_and_b32_e32 v35, 0xfc, v35
	v_and_b32_e32 v36, 3, v34
	v_or_b32_e32 v32, v32, v34
	v_or3_b32 v33, v33, v35, v36
	v_cmp_ne_u32_e32 vcc_lo, 0, v32
	v_lshlrev_b32_e32 v33, 8, v33
	v_cndmask_b32_e32 v32, 0, v33, vcc_lo
.LBB6_5029:                             ;   in Loop: Header=BB6_4830 Depth=3
	s_or_b32 exec_lo, exec_lo, s22
.LBB6_5030:                             ;   in Loop: Header=BB6_4830 Depth=3
	s_or_b32 exec_lo, exec_lo, s18
	v_and_b32_sdwa v34, v14, v63 dst_sel:DWORD dst_unused:UNUSED_PAD src0_sel:WORD_1 src1_sel:DWORD
	s_mov_b32 s17, 0
	s_mov_b32 s18, exec_lo
	v_cmpx_lt_i16_e32 0x7f, v34
	s_xor_b32 s18, exec_lo, s18
	s_cbranch_execz .LBB6_5193
; %bb.5031:                             ;   in Loop: Header=BB6_4830 Depth=3
	s_mov_b32 s17, -1
	s_mov_b32 s22, exec_lo
	v_cmpx_eq_u16_e32 0x80, v34
; %bb.5032:                             ;   in Loop: Header=BB6_4830 Depth=3
	s_xor_b32 s17, exec_lo, -1
; %bb.5033:                             ;   in Loop: Header=BB6_4830 Depth=3
	s_or_b32 exec_lo, exec_lo, s22
	s_and_b32 s17, s17, exec_lo
                                        ; implicit-def: $vgpr34
	s_or_saveexec_b32 s18, s18
	v_mov_b32_e32 v33, 0x7f800001
	s_xor_b32 exec_lo, exec_lo, s18
	s_cbranch_execnz .LBB6_5194
.LBB6_5034:                             ;   in Loop: Header=BB6_4830 Depth=3
	s_or_b32 exec_lo, exec_lo, s18
	s_and_saveexec_b32 s18, s17
	s_cbranch_execz .LBB6_5036
.LBB6_5035:                             ;   in Loop: Header=BB6_4830 Depth=3
	v_bfe_u32 v33, v14, 16, 2
	v_bfe_u32 v36, v14, 18, 5
	v_lshlrev_b32_e32 v37, 8, v14
	v_ffbh_u32_e32 v34, v33
	v_cmp_eq_u32_e32 vcc_lo, 0, v36
	v_min_u32_e32 v34, 32, v34
	v_subrev_nc_u32_e32 v35, 29, v34
	v_sub_nc_u32_e32 v34, 30, v34
	v_lshlrev_b32_sdwa v35, v35, v14 dst_sel:DWORD dst_unused:UNUSED_PAD src0_sel:DWORD src1_sel:WORD_1
	v_cndmask_b32_e32 v34, v36, v34, vcc_lo
	v_and_b32_e32 v35, 3, v35
	v_lshl_add_u32 v34, v34, 23, 0x37800000
	v_cndmask_b32_e32 v33, v33, v35, vcc_lo
	v_and_b32_e32 v35, 0x80000000, v37
	v_lshlrev_b32_e32 v33, 21, v33
	v_or3_b32 v33, v35, v34, v33
.LBB6_5036:                             ;   in Loop: Header=BB6_4830 Depth=3
	s_or_b32 exec_lo, exec_lo, s18
	v_and_b32_sdwa v35, v10, v63 dst_sel:DWORD dst_unused:UNUSED_PAD src0_sel:WORD_1 src1_sel:DWORD
	s_mov_b32 s17, 0
	s_mov_b32 s18, exec_lo
	v_cmpx_lt_i16_e32 0x7f, v35
	s_xor_b32 s18, exec_lo, s18
	s_cbranch_execz .LBB6_5195
; %bb.5037:                             ;   in Loop: Header=BB6_4830 Depth=3
	s_mov_b32 s17, -1
	s_mov_b32 s22, exec_lo
	v_cmpx_eq_u16_e32 0x80, v35
; %bb.5038:                             ;   in Loop: Header=BB6_4830 Depth=3
	s_xor_b32 s17, exec_lo, -1
; %bb.5039:                             ;   in Loop: Header=BB6_4830 Depth=3
	s_or_b32 exec_lo, exec_lo, s22
	s_and_b32 s17, s17, exec_lo
                                        ; implicit-def: $vgpr35
	s_or_saveexec_b32 s18, s18
	v_mov_b32_e32 v34, 0x7f800001
	s_xor_b32 exec_lo, exec_lo, s18
	s_cbranch_execnz .LBB6_5196
.LBB6_5040:                             ;   in Loop: Header=BB6_4830 Depth=3
	s_or_b32 exec_lo, exec_lo, s18
	s_and_saveexec_b32 s18, s17
	s_cbranch_execz .LBB6_5042
.LBB6_5041:                             ;   in Loop: Header=BB6_4830 Depth=3
	v_and_b32_sdwa v34, v10, v72 dst_sel:DWORD dst_unused:UNUSED_PAD src0_sel:WORD_1 src1_sel:DWORD
	v_bfe_u32 v37, v10, 18, 5
	v_lshlrev_b32_sdwa v38, v62, v10 dst_sel:DWORD dst_unused:UNUSED_PAD src0_sel:DWORD src1_sel:WORD_1
	v_ffbh_u32_e32 v35, v34
	v_cmp_eq_u32_e32 vcc_lo, 0, v37
	v_min_u32_e32 v35, 32, v35
	v_subrev_nc_u32_e32 v36, 29, v35
	v_sub_nc_u32_e32 v35, 30, v35
	v_lshlrev_b32_sdwa v36, v36, v10 dst_sel:DWORD dst_unused:UNUSED_PAD src0_sel:DWORD src1_sel:WORD_1
	v_cndmask_b32_e32 v35, v37, v35, vcc_lo
	v_and_b32_e32 v36, 3, v36
	v_lshl_add_u32 v35, v35, 23, 0x37800000
	v_cndmask_b32_e32 v34, v34, v36, vcc_lo
	v_and_b32_e32 v36, 0x80000000, v38
	v_lshlrev_b32_e32 v34, 21, v34
	v_or3_b32 v34, v36, v35, v34
.LBB6_5042:                             ;   in Loop: Header=BB6_4830 Depth=3
	s_or_b32 exec_lo, exec_lo, s18
	v_mul_f32_e32 v34, v33, v34
	v_and_b32_e32 v33, 0x7f800000, v34
	v_cmp_ne_u32_e32 vcc_lo, 0x7f800000, v33
	v_mov_b32_e32 v33, 0x80
	s_and_saveexec_b32 s18, vcc_lo
	s_cbranch_execz .LBB6_5050
; %bb.5043:                             ;   in Loop: Header=BB6_4830 Depth=3
	v_mov_b32_e32 v33, 0
	s_mov_b32 s22, exec_lo
	v_cmpx_ne_u32_e32 0, v34
	s_cbranch_execz .LBB6_5049
; %bb.5044:                             ;   in Loop: Header=BB6_4830 Depth=3
	v_bfe_u32 v33, v34, 23, 8
	v_and_b32_e32 v35, 0x7fffff, v34
	v_sub_nc_u32_e32 v36, 0x70, v33
	v_cmp_gt_u32_e32 vcc_lo, 0x71, v33
	v_or_b32_e32 v37, 0x800000, v35
	v_cndmask_b32_e32 v36, 0, v36, vcc_lo
	v_cmp_eq_u32_e32 vcc_lo, 0, v33
	v_add_nc_u32_e32 v33, 0xffffff91, v33
	v_cndmask_b32_e64 v36, v36, 0x6f, vcc_lo
	v_cndmask_b32_e32 v35, v37, v35, vcc_lo
	v_cndmask_b32_e64 v33, v33, 0xffffff92, vcc_lo
	v_lshl_add_u32 v37, 0x200000, v36, -1
	v_lshrrev_b32_e32 v38, v36, v35
	v_lshlrev_b32_e64 v48, v36, 0x100000
	v_add_nc_u32_e32 v36, v36, v33
	v_and_b32_e32 v35, v37, v35
	v_bfe_u32 v39, v38, 21, 1
	v_cmp_eq_u32_e64 s17, v35, v48
	v_add_nc_u32_e32 v37, -1, v39
	v_cndmask_b32_e64 v35, 0, v37, s17
	v_lshrrev_b32_e32 v37, 23, v38
	s_mov_b32 s17, exec_lo
	v_add_nc_u32_e32 v35, v35, v38
	v_xor_b32_e32 v37, 1, v37
	v_and_b32_e32 v33, 0x1fffff, v35
	v_add_nc_u32_e32 v35, v33, v38
                                        ; implicit-def: $vgpr33
	v_cmpx_ne_u32_e64 v36, v37
	s_xor_b32 s17, exec_lo, s17
; %bb.5045:                             ;   in Loop: Header=BB6_4830 Depth=3
	v_cmp_lt_u32_e32 vcc_lo, 0xffffff, v35
	v_sub_nc_u32_e32 v33, v36, v37
	v_cndmask_b32_e64 v36, 0, 1, vcc_lo
	v_add_co_ci_u32_e64 v33, null, 0, v33, vcc_lo
	v_lshrrev_b32_e32 v35, v36, v35
; %bb.5046:                             ;   in Loop: Header=BB6_4830 Depth=3
	s_andn2_saveexec_b32 s17, s17
; %bb.5047:                             ;   in Loop: Header=BB6_4830 Depth=3
	v_bfe_u32 v33, v35, 23, 1
; %bb.5048:                             ;   in Loop: Header=BB6_4830 Depth=3
	s_or_b32 exec_lo, exec_lo, s17
	v_lshrrev_b32_e32 v35, 21, v35
	v_min_i32_e32 v36, 31, v33
	v_cmp_gt_i32_e32 vcc_lo, 32, v33
	v_and_b32_sdwa v34, v34, v60 dst_sel:DWORD dst_unused:UNUSED_PAD src0_sel:BYTE_3 src1_sel:DWORD
	v_lshlrev_b32_e32 v36, 2, v36
	v_cndmask_b32_e32 v35, 3, v35, vcc_lo
	v_and_b32_e32 v36, 0xfc, v36
	v_and_b32_e32 v37, 3, v35
	v_or_b32_e32 v33, v33, v35
	v_or3_b32 v34, v36, v34, v37
	v_cmp_ne_u32_e32 vcc_lo, 0, v33
	v_cndmask_b32_e32 v33, 0, v34, vcc_lo
.LBB6_5049:                             ;   in Loop: Header=BB6_4830 Depth=3
	s_or_b32 exec_lo, exec_lo, s22
.LBB6_5050:                             ;   in Loop: Header=BB6_4830 Depth=3
	s_or_b32 exec_lo, exec_lo, s18
	v_cmp_gt_i16_sdwa s18, v14, v59 src0_sel:BYTE_3 src1_sel:DWORD
	s_mov_b32 s17, 0
	s_and_saveexec_b32 s22, s18
	s_xor_b32 s18, exec_lo, s22
	s_cbranch_execz .LBB6_5197
; %bb.5051:                             ;   in Loop: Header=BB6_4830 Depth=3
	v_cmp_eq_u16_sdwa s23, v14, v60 src0_sel:BYTE_3 src1_sel:DWORD
	s_mov_b32 s17, -1
	s_and_saveexec_b32 s22, s23
; %bb.5052:                             ;   in Loop: Header=BB6_4830 Depth=3
	s_xor_b32 s17, exec_lo, -1
; %bb.5053:                             ;   in Loop: Header=BB6_4830 Depth=3
	s_or_b32 exec_lo, exec_lo, s22
	s_and_b32 s17, s17, exec_lo
	s_or_saveexec_b32 s18, s18
	v_mov_b32_e32 v34, 0x7f800001
	s_xor_b32 exec_lo, exec_lo, s18
	s_cbranch_execnz .LBB6_5198
.LBB6_5054:                             ;   in Loop: Header=BB6_4830 Depth=3
	s_or_b32 exec_lo, exec_lo, s18
	s_and_saveexec_b32 s18, s17
	s_cbranch_execz .LBB6_5056
.LBB6_5055:                             ;   in Loop: Header=BB6_4830 Depth=3
	v_bfe_u32 v34, v14, 24, 2
	v_bfe_u32 v37, v14, 26, 5
	v_ffbh_u32_e32 v35, v34
	v_cmp_eq_u32_e32 vcc_lo, 0, v37
	v_min_u32_e32 v35, 32, v35
	v_subrev_nc_u32_e32 v36, 29, v35
	v_sub_nc_u32_e32 v35, 30, v35
	v_lshlrev_b32_sdwa v36, v36, v14 dst_sel:DWORD dst_unused:UNUSED_PAD src0_sel:DWORD src1_sel:BYTE_3
	v_cndmask_b32_e32 v35, v37, v35, vcc_lo
	v_and_b32_e32 v14, 0x80000000, v14
	v_and_b32_e32 v36, 3, v36
	v_lshl_add_u32 v35, v35, 23, 0x37800000
	v_cndmask_b32_e32 v34, v34, v36, vcc_lo
	v_lshlrev_b32_e32 v34, 21, v34
	v_or3_b32 v34, v14, v35, v34
.LBB6_5056:                             ;   in Loop: Header=BB6_4830 Depth=3
	s_or_b32 exec_lo, exec_lo, s18
	v_cmp_gt_i16_sdwa s18, v10, v59 src0_sel:BYTE_3 src1_sel:DWORD
	s_mov_b32 s17, 0
	s_and_saveexec_b32 s22, s18
	s_xor_b32 s18, exec_lo, s22
	s_cbranch_execz .LBB6_5199
; %bb.5057:                             ;   in Loop: Header=BB6_4830 Depth=3
	v_cmp_eq_u16_sdwa s23, v10, v60 src0_sel:BYTE_3 src1_sel:DWORD
	s_mov_b32 s17, -1
	s_and_saveexec_b32 s22, s23
; %bb.5058:                             ;   in Loop: Header=BB6_4830 Depth=3
	s_xor_b32 s17, exec_lo, -1
; %bb.5059:                             ;   in Loop: Header=BB6_4830 Depth=3
	s_or_b32 exec_lo, exec_lo, s22
	s_and_b32 s17, s17, exec_lo
	s_or_saveexec_b32 s18, s18
	v_mov_b32_e32 v14, 0x7f800001
	s_xor_b32 exec_lo, exec_lo, s18
	s_cbranch_execnz .LBB6_5200
.LBB6_5060:                             ;   in Loop: Header=BB6_4830 Depth=3
	s_or_b32 exec_lo, exec_lo, s18
	s_and_saveexec_b32 s18, s17
	s_cbranch_execz .LBB6_5062
.LBB6_5061:                             ;   in Loop: Header=BB6_4830 Depth=3
	v_and_b32_sdwa v14, v10, v72 dst_sel:DWORD dst_unused:UNUSED_PAD src0_sel:BYTE_3 src1_sel:DWORD
	v_bfe_u32 v37, v10, 26, 5
	v_ffbh_u32_e32 v35, v14
	v_cmp_eq_u32_e32 vcc_lo, 0, v37
	v_min_u32_e32 v35, 32, v35
	v_subrev_nc_u32_e32 v36, 29, v35
	v_sub_nc_u32_e32 v35, 30, v35
	v_lshlrev_b32_sdwa v36, v36, v10 dst_sel:DWORD dst_unused:UNUSED_PAD src0_sel:DWORD src1_sel:BYTE_3
	v_cndmask_b32_e32 v35, v37, v35, vcc_lo
	v_and_b32_e32 v10, 0x80000000, v10
	v_and_b32_e32 v36, 3, v36
	v_lshl_add_u32 v35, v35, 23, 0x37800000
	v_cndmask_b32_e32 v14, v14, v36, vcc_lo
	v_lshlrev_b32_e32 v14, 21, v14
	v_or3_b32 v14, v10, v35, v14
.LBB6_5062:                             ;   in Loop: Header=BB6_4830 Depth=3
	s_or_b32 exec_lo, exec_lo, s18
	v_mul_f32_e32 v14, v34, v14
	v_and_b32_e32 v10, 0x7f800000, v14
	v_cmp_ne_u32_e32 vcc_lo, 0x7f800000, v10
	v_mov_b32_e32 v10, 0x8000
	s_and_saveexec_b32 s18, vcc_lo
	s_cbranch_execz .LBB6_5070
; %bb.5063:                             ;   in Loop: Header=BB6_4830 Depth=3
	v_mov_b32_e32 v10, 0
	s_mov_b32 s22, exec_lo
	v_cmpx_ne_u32_e32 0, v14
	s_cbranch_execz .LBB6_5069
; %bb.5064:                             ;   in Loop: Header=BB6_4830 Depth=3
	v_bfe_u32 v10, v14, 23, 8
	v_and_b32_e32 v34, 0x7fffff, v14
	v_sub_nc_u32_e32 v35, 0x70, v10
	v_cmp_gt_u32_e32 vcc_lo, 0x71, v10
	v_or_b32_e32 v36, 0x800000, v34
	v_cndmask_b32_e32 v35, 0, v35, vcc_lo
	v_cmp_eq_u32_e32 vcc_lo, 0, v10
	v_add_nc_u32_e32 v10, 0xffffff91, v10
	v_cndmask_b32_e64 v35, v35, 0x6f, vcc_lo
	v_cndmask_b32_e32 v34, v36, v34, vcc_lo
	v_cndmask_b32_e64 v10, v10, 0xffffff92, vcc_lo
	v_lshl_add_u32 v36, 0x200000, v35, -1
	v_lshrrev_b32_e32 v37, v35, v34
	v_lshlrev_b32_e64 v39, v35, 0x100000
	v_add_nc_u32_e32 v35, v35, v10
	v_and_b32_e32 v34, v36, v34
	v_bfe_u32 v38, v37, 21, 1
	v_cmp_eq_u32_e64 s17, v34, v39
	v_add_nc_u32_e32 v36, -1, v38
	v_cndmask_b32_e64 v34, 0, v36, s17
	v_lshrrev_b32_e32 v36, 23, v37
	s_mov_b32 s17, exec_lo
	v_add_nc_u32_e32 v34, v34, v37
	v_xor_b32_e32 v36, 1, v36
	v_and_b32_e32 v10, 0x1fffff, v34
	v_add_nc_u32_e32 v34, v10, v37
                                        ; implicit-def: $vgpr10
	v_cmpx_ne_u32_e64 v35, v36
	s_xor_b32 s17, exec_lo, s17
; %bb.5065:                             ;   in Loop: Header=BB6_4830 Depth=3
	v_cmp_lt_u32_e32 vcc_lo, 0xffffff, v34
	v_sub_nc_u32_e32 v10, v35, v36
	v_cndmask_b32_e64 v35, 0, 1, vcc_lo
	v_add_co_ci_u32_e64 v10, null, 0, v10, vcc_lo
	v_lshrrev_b32_e32 v34, v35, v34
; %bb.5066:                             ;   in Loop: Header=BB6_4830 Depth=3
	s_andn2_saveexec_b32 s17, s17
; %bb.5067:                             ;   in Loop: Header=BB6_4830 Depth=3
	v_bfe_u32 v10, v34, 23, 1
; %bb.5068:                             ;   in Loop: Header=BB6_4830 Depth=3
	s_or_b32 exec_lo, exec_lo, s17
	v_lshrrev_b32_e32 v34, 21, v34
	v_min_i32_e32 v35, 31, v10
	v_cmp_gt_i32_e32 vcc_lo, 32, v10
	v_and_b32_sdwa v14, v14, v60 dst_sel:DWORD dst_unused:UNUSED_PAD src0_sel:BYTE_3 src1_sel:DWORD
	v_lshlrev_b32_e32 v35, 2, v35
	v_cndmask_b32_e32 v34, 3, v34, vcc_lo
	v_and_b32_e32 v35, 0xfc, v35
	v_and_b32_e32 v36, 3, v34
	v_or_b32_e32 v10, v10, v34
	v_or3_b32 v14, v14, v35, v36
	v_cmp_ne_u32_e32 vcc_lo, 0, v10
	v_lshlrev_b32_e32 v14, 8, v14
	v_cndmask_b32_e32 v10, 0, v14, vcc_lo
.LBB6_5069:                             ;   in Loop: Header=BB6_4830 Depth=3
	s_or_b32 exec_lo, exec_lo, s22
.LBB6_5070:                             ;   in Loop: Header=BB6_4830 Depth=3
	s_or_b32 exec_lo, exec_lo, s18
	v_cmp_gt_i16_sdwa s18, v15, v59 src0_sel:BYTE_0 src1_sel:DWORD
	s_mov_b32 s17, 0
	s_and_saveexec_b32 s22, s18
	s_xor_b32 s18, exec_lo, s22
	s_cbranch_execz .LBB6_5201
; %bb.5071:                             ;   in Loop: Header=BB6_4830 Depth=3
	v_cmp_eq_u16_sdwa s23, v15, v60 src0_sel:BYTE_0 src1_sel:DWORD
	s_mov_b32 s17, -1
	s_and_saveexec_b32 s22, s23
; %bb.5072:                             ;   in Loop: Header=BB6_4830 Depth=3
	s_xor_b32 s17, exec_lo, -1
; %bb.5073:                             ;   in Loop: Header=BB6_4830 Depth=3
	s_or_b32 exec_lo, exec_lo, s22
	s_and_b32 s17, s17, exec_lo
	s_or_saveexec_b32 s18, s18
	v_mov_b32_e32 v14, 0x7f800001
	s_xor_b32 exec_lo, exec_lo, s18
	s_cbranch_execnz .LBB6_5202
.LBB6_5074:                             ;   in Loop: Header=BB6_4830 Depth=3
	s_or_b32 exec_lo, exec_lo, s18
	s_and_saveexec_b32 s18, s17
	s_cbranch_execz .LBB6_5076
.LBB6_5075:                             ;   in Loop: Header=BB6_4830 Depth=3
	v_and_b32_e32 v14, 3, v15
	v_bfe_u32 v36, v15, 2, 5
	v_lshlrev_b32_e32 v37, 24, v15
	v_ffbh_u32_e32 v34, v14
	v_cmp_eq_u32_e32 vcc_lo, 0, v36
	v_min_u32_e32 v34, 32, v34
	v_subrev_nc_u32_e32 v35, 29, v34
	v_sub_nc_u32_e32 v34, 30, v34
	v_lshlrev_b32_e32 v35, v35, v15
	v_cndmask_b32_e32 v34, v36, v34, vcc_lo
	v_and_b32_e32 v35, 3, v35
	v_lshl_add_u32 v34, v34, 23, 0x37800000
	v_cndmask_b32_e32 v14, v14, v35, vcc_lo
	v_and_b32_e32 v35, 0x80000000, v37
	v_lshlrev_b32_e32 v14, 21, v14
	v_or3_b32 v14, v35, v34, v14
.LBB6_5076:                             ;   in Loop: Header=BB6_4830 Depth=3
	s_or_b32 exec_lo, exec_lo, s18
	v_cmp_gt_i16_sdwa s18, v11, v59 src0_sel:BYTE_0 src1_sel:DWORD
	s_mov_b32 s17, 0
	s_and_saveexec_b32 s22, s18
	s_xor_b32 s18, exec_lo, s22
	s_cbranch_execz .LBB6_5203
; %bb.5077:                             ;   in Loop: Header=BB6_4830 Depth=3
	v_cmp_eq_u16_sdwa s23, v11, v60 src0_sel:BYTE_0 src1_sel:DWORD
	s_mov_b32 s17, -1
	s_and_saveexec_b32 s22, s23
; %bb.5078:                             ;   in Loop: Header=BB6_4830 Depth=3
	s_xor_b32 s17, exec_lo, -1
; %bb.5079:                             ;   in Loop: Header=BB6_4830 Depth=3
	s_or_b32 exec_lo, exec_lo, s22
	s_and_b32 s17, s17, exec_lo
	s_or_saveexec_b32 s18, s18
	v_mov_b32_e32 v34, 0x7f800001
	s_xor_b32 exec_lo, exec_lo, s18
	s_cbranch_execnz .LBB6_5204
.LBB6_5080:                             ;   in Loop: Header=BB6_4830 Depth=3
	s_or_b32 exec_lo, exec_lo, s18
	s_and_saveexec_b32 s18, s17
	s_cbranch_execz .LBB6_5082
.LBB6_5081:                             ;   in Loop: Header=BB6_4830 Depth=3
	v_and_b32_e32 v34, 3, v11
	v_bfe_u32 v37, v11, 2, 5
	v_lshlrev_b32_e32 v38, 24, v11
	v_ffbh_u32_e32 v35, v34
	v_cmp_eq_u32_e32 vcc_lo, 0, v37
	v_min_u32_e32 v35, 32, v35
	v_subrev_nc_u32_e32 v36, 29, v35
	v_sub_nc_u32_e32 v35, 30, v35
	v_lshlrev_b32_e32 v36, v36, v11
	v_cndmask_b32_e32 v35, v37, v35, vcc_lo
	v_and_b32_e32 v36, 3, v36
	v_lshl_add_u32 v35, v35, 23, 0x37800000
	v_cndmask_b32_e32 v34, v34, v36, vcc_lo
	v_and_b32_e32 v36, 0x80000000, v38
	v_lshlrev_b32_e32 v34, 21, v34
	v_or3_b32 v34, v36, v35, v34
.LBB6_5082:                             ;   in Loop: Header=BB6_4830 Depth=3
	s_or_b32 exec_lo, exec_lo, s18
	v_mul_f32_e32 v34, v14, v34
	v_and_b32_e32 v14, 0x7f800000, v34
	v_cmp_ne_u32_e32 vcc_lo, 0x7f800000, v14
	v_mov_b32_e32 v14, 0x80
	s_and_saveexec_b32 s18, vcc_lo
	s_cbranch_execz .LBB6_5090
; %bb.5083:                             ;   in Loop: Header=BB6_4830 Depth=3
	v_mov_b32_e32 v14, 0
	s_mov_b32 s22, exec_lo
	v_cmpx_ne_u32_e32 0, v34
	s_cbranch_execz .LBB6_5089
; %bb.5084:                             ;   in Loop: Header=BB6_4830 Depth=3
	v_bfe_u32 v14, v34, 23, 8
	v_and_b32_e32 v35, 0x7fffff, v34
	v_sub_nc_u32_e32 v36, 0x70, v14
	v_cmp_gt_u32_e32 vcc_lo, 0x71, v14
	v_or_b32_e32 v37, 0x800000, v35
	v_cndmask_b32_e32 v36, 0, v36, vcc_lo
	v_cmp_eq_u32_e32 vcc_lo, 0, v14
	v_add_nc_u32_e32 v14, 0xffffff91, v14
	v_cndmask_b32_e64 v36, v36, 0x6f, vcc_lo
	v_cndmask_b32_e32 v35, v37, v35, vcc_lo
	v_cndmask_b32_e64 v14, v14, 0xffffff92, vcc_lo
	v_lshl_add_u32 v37, 0x200000, v36, -1
	v_lshrrev_b32_e32 v38, v36, v35
	v_lshlrev_b32_e64 v48, v36, 0x100000
	v_add_nc_u32_e32 v36, v36, v14
	v_and_b32_e32 v35, v37, v35
	v_bfe_u32 v39, v38, 21, 1
	v_cmp_eq_u32_e64 s17, v35, v48
	v_add_nc_u32_e32 v37, -1, v39
	v_cndmask_b32_e64 v35, 0, v37, s17
	v_lshrrev_b32_e32 v37, 23, v38
	s_mov_b32 s17, exec_lo
	v_add_nc_u32_e32 v35, v35, v38
	v_xor_b32_e32 v37, 1, v37
	v_and_b32_e32 v14, 0x1fffff, v35
	v_add_nc_u32_e32 v35, v14, v38
                                        ; implicit-def: $vgpr14
	v_cmpx_ne_u32_e64 v36, v37
	s_xor_b32 s17, exec_lo, s17
; %bb.5085:                             ;   in Loop: Header=BB6_4830 Depth=3
	v_cmp_lt_u32_e32 vcc_lo, 0xffffff, v35
	v_sub_nc_u32_e32 v14, v36, v37
	v_cndmask_b32_e64 v36, 0, 1, vcc_lo
	v_add_co_ci_u32_e64 v14, null, 0, v14, vcc_lo
	v_lshrrev_b32_e32 v35, v36, v35
; %bb.5086:                             ;   in Loop: Header=BB6_4830 Depth=3
	s_andn2_saveexec_b32 s17, s17
; %bb.5087:                             ;   in Loop: Header=BB6_4830 Depth=3
	v_bfe_u32 v14, v35, 23, 1
; %bb.5088:                             ;   in Loop: Header=BB6_4830 Depth=3
	s_or_b32 exec_lo, exec_lo, s17
	v_lshrrev_b32_e32 v35, 21, v35
	v_min_i32_e32 v36, 31, v14
	v_cmp_gt_i32_e32 vcc_lo, 32, v14
	v_and_b32_sdwa v34, v34, v60 dst_sel:DWORD dst_unused:UNUSED_PAD src0_sel:BYTE_3 src1_sel:DWORD
	v_lshlrev_b32_e32 v36, 2, v36
	v_cndmask_b32_e32 v35, 3, v35, vcc_lo
	v_and_b32_e32 v36, 0xfc, v36
	v_and_b32_e32 v37, 3, v35
	v_or_b32_e32 v14, v14, v35
	v_or3_b32 v34, v36, v34, v37
	v_cmp_ne_u32_e32 vcc_lo, 0, v14
	v_cndmask_b32_e32 v14, 0, v34, vcc_lo
.LBB6_5089:                             ;   in Loop: Header=BB6_4830 Depth=3
	s_or_b32 exec_lo, exec_lo, s22
.LBB6_5090:                             ;   in Loop: Header=BB6_4830 Depth=3
	s_or_b32 exec_lo, exec_lo, s18
	v_cmp_gt_i16_sdwa s18, v15, v59 src0_sel:BYTE_1 src1_sel:DWORD
	s_mov_b32 s17, 0
	s_and_saveexec_b32 s22, s18
	s_xor_b32 s18, exec_lo, s22
	s_cbranch_execz .LBB6_5205
; %bb.5091:                             ;   in Loop: Header=BB6_4830 Depth=3
	v_cmp_eq_u16_sdwa s23, v15, v60 src0_sel:BYTE_1 src1_sel:DWORD
	s_mov_b32 s17, -1
	s_and_saveexec_b32 s22, s23
; %bb.5092:                             ;   in Loop: Header=BB6_4830 Depth=3
	s_xor_b32 s17, exec_lo, -1
; %bb.5093:                             ;   in Loop: Header=BB6_4830 Depth=3
	s_or_b32 exec_lo, exec_lo, s22
	s_and_b32 s17, s17, exec_lo
	s_or_saveexec_b32 s18, s18
	v_mov_b32_e32 v34, 0x7f800001
	s_xor_b32 exec_lo, exec_lo, s18
	s_cbranch_execnz .LBB6_5206
.LBB6_5094:                             ;   in Loop: Header=BB6_4830 Depth=3
	s_or_b32 exec_lo, exec_lo, s18
	s_and_saveexec_b32 s18, s17
	s_cbranch_execz .LBB6_5096
.LBB6_5095:                             ;   in Loop: Header=BB6_4830 Depth=3
	v_and_b32_sdwa v34, v61, v15 dst_sel:DWORD dst_unused:UNUSED_PAD src0_sel:DWORD src1_sel:BYTE_1
	v_and_b32_e32 v35, 3, v34
	v_bfe_u32 v38, v34, 2, 5
	v_ffbh_u32_e32 v36, v35
	v_cmp_eq_u32_e32 vcc_lo, 0, v38
	v_min_u32_e32 v36, 32, v36
	v_subrev_nc_u32_e32 v37, 29, v36
	v_sub_nc_u32_e32 v36, 30, v36
	v_lshlrev_b32_e32 v34, v37, v34
	v_lshlrev_b32_sdwa v37, v62, v15 dst_sel:DWORD dst_unused:UNUSED_PAD src0_sel:DWORD src1_sel:BYTE_1
	v_cndmask_b32_e32 v36, v38, v36, vcc_lo
	v_and_b32_e32 v34, 3, v34
	v_lshl_add_u32 v36, v36, 23, 0x37800000
	v_cndmask_b32_e32 v34, v35, v34, vcc_lo
	v_and_b32_e32 v35, 0x80000000, v37
	v_lshlrev_b32_e32 v34, 21, v34
	v_or3_b32 v34, v35, v36, v34
.LBB6_5096:                             ;   in Loop: Header=BB6_4830 Depth=3
	s_or_b32 exec_lo, exec_lo, s18
	v_cmp_gt_i16_sdwa s18, v11, v59 src0_sel:BYTE_1 src1_sel:DWORD
	s_mov_b32 s17, 0
	s_and_saveexec_b32 s22, s18
	s_xor_b32 s18, exec_lo, s22
	s_cbranch_execz .LBB6_5207
; %bb.5097:                             ;   in Loop: Header=BB6_4830 Depth=3
	v_cmp_eq_u16_sdwa s23, v11, v60 src0_sel:BYTE_1 src1_sel:DWORD
	s_mov_b32 s17, -1
	s_and_saveexec_b32 s22, s23
; %bb.5098:                             ;   in Loop: Header=BB6_4830 Depth=3
	s_xor_b32 s17, exec_lo, -1
; %bb.5099:                             ;   in Loop: Header=BB6_4830 Depth=3
	s_or_b32 exec_lo, exec_lo, s22
	s_and_b32 s17, s17, exec_lo
	s_or_saveexec_b32 s18, s18
	v_mov_b32_e32 v35, 0x7f800001
	s_xor_b32 exec_lo, exec_lo, s18
	s_cbranch_execnz .LBB6_5208
.LBB6_5100:                             ;   in Loop: Header=BB6_4830 Depth=3
	s_or_b32 exec_lo, exec_lo, s18
	s_and_saveexec_b32 s18, s17
	s_cbranch_execz .LBB6_5102
.LBB6_5101:                             ;   in Loop: Header=BB6_4830 Depth=3
	v_and_b32_sdwa v35, v61, v11 dst_sel:DWORD dst_unused:UNUSED_PAD src0_sel:DWORD src1_sel:BYTE_1
	v_and_b32_e32 v36, 3, v35
	v_bfe_u32 v39, v35, 2, 5
	v_ffbh_u32_e32 v37, v36
	v_cmp_eq_u32_e32 vcc_lo, 0, v39
	v_min_u32_e32 v37, 32, v37
	v_subrev_nc_u32_e32 v38, 29, v37
	v_sub_nc_u32_e32 v37, 30, v37
	v_lshlrev_b32_e32 v35, v38, v35
	v_lshlrev_b32_sdwa v38, v62, v11 dst_sel:DWORD dst_unused:UNUSED_PAD src0_sel:DWORD src1_sel:BYTE_1
	v_cndmask_b32_e32 v37, v39, v37, vcc_lo
	v_and_b32_e32 v35, 3, v35
	v_lshl_add_u32 v37, v37, 23, 0x37800000
	v_cndmask_b32_e32 v35, v36, v35, vcc_lo
	v_and_b32_e32 v36, 0x80000000, v38
	v_lshlrev_b32_e32 v35, 21, v35
	v_or3_b32 v35, v36, v37, v35
.LBB6_5102:                             ;   in Loop: Header=BB6_4830 Depth=3
	s_or_b32 exec_lo, exec_lo, s18
	v_mul_f32_e32 v35, v34, v35
	v_and_b32_e32 v34, 0x7f800000, v35
	v_cmp_ne_u32_e32 vcc_lo, 0x7f800000, v34
	v_mov_b32_e32 v34, 0x8000
	s_and_saveexec_b32 s18, vcc_lo
	s_cbranch_execz .LBB6_5110
; %bb.5103:                             ;   in Loop: Header=BB6_4830 Depth=3
	v_mov_b32_e32 v34, 0
	s_mov_b32 s22, exec_lo
	v_cmpx_ne_u32_e32 0, v35
	s_cbranch_execz .LBB6_5109
; %bb.5104:                             ;   in Loop: Header=BB6_4830 Depth=3
	v_bfe_u32 v34, v35, 23, 8
	v_and_b32_e32 v36, 0x7fffff, v35
	v_sub_nc_u32_e32 v37, 0x70, v34
	v_cmp_gt_u32_e32 vcc_lo, 0x71, v34
	v_or_b32_e32 v38, 0x800000, v36
	v_cndmask_b32_e32 v37, 0, v37, vcc_lo
	v_cmp_eq_u32_e32 vcc_lo, 0, v34
	v_add_nc_u32_e32 v34, 0xffffff91, v34
	v_cndmask_b32_e64 v37, v37, 0x6f, vcc_lo
	v_cndmask_b32_e32 v36, v38, v36, vcc_lo
	v_cndmask_b32_e64 v34, v34, 0xffffff92, vcc_lo
	v_lshl_add_u32 v38, 0x200000, v37, -1
	v_lshrrev_b32_e32 v39, v37, v36
	v_lshlrev_b32_e64 v49, v37, 0x100000
	v_add_nc_u32_e32 v37, v37, v34
	v_and_b32_e32 v36, v38, v36
	v_bfe_u32 v48, v39, 21, 1
	v_cmp_eq_u32_e64 s17, v36, v49
	v_add_nc_u32_e32 v38, -1, v48
	v_cndmask_b32_e64 v36, 0, v38, s17
	v_lshrrev_b32_e32 v38, 23, v39
	s_mov_b32 s17, exec_lo
	v_add_nc_u32_e32 v36, v36, v39
	v_xor_b32_e32 v38, 1, v38
	v_and_b32_e32 v34, 0x1fffff, v36
	v_add_nc_u32_e32 v36, v34, v39
                                        ; implicit-def: $vgpr34
	v_cmpx_ne_u32_e64 v37, v38
	s_xor_b32 s17, exec_lo, s17
; %bb.5105:                             ;   in Loop: Header=BB6_4830 Depth=3
	v_cmp_lt_u32_e32 vcc_lo, 0xffffff, v36
	v_sub_nc_u32_e32 v34, v37, v38
	v_cndmask_b32_e64 v37, 0, 1, vcc_lo
	v_add_co_ci_u32_e64 v34, null, 0, v34, vcc_lo
	v_lshrrev_b32_e32 v36, v37, v36
; %bb.5106:                             ;   in Loop: Header=BB6_4830 Depth=3
	s_andn2_saveexec_b32 s17, s17
; %bb.5107:                             ;   in Loop: Header=BB6_4830 Depth=3
	v_bfe_u32 v34, v36, 23, 1
; %bb.5108:                             ;   in Loop: Header=BB6_4830 Depth=3
	s_or_b32 exec_lo, exec_lo, s17
	v_lshrrev_b32_e32 v36, 21, v36
	v_min_i32_e32 v37, 31, v34
	v_cmp_gt_i32_e32 vcc_lo, 32, v34
	v_and_b32_sdwa v35, v35, v60 dst_sel:DWORD dst_unused:UNUSED_PAD src0_sel:BYTE_3 src1_sel:DWORD
	v_lshlrev_b32_e32 v37, 2, v37
	v_cndmask_b32_e32 v36, 3, v36, vcc_lo
	v_and_b32_e32 v37, 0xfc, v37
	v_and_b32_e32 v38, 3, v36
	v_or_b32_e32 v34, v34, v36
	v_or3_b32 v35, v35, v37, v38
	v_cmp_ne_u32_e32 vcc_lo, 0, v34
	v_lshlrev_b32_e32 v35, 8, v35
	v_cndmask_b32_e32 v34, 0, v35, vcc_lo
.LBB6_5109:                             ;   in Loop: Header=BB6_4830 Depth=3
	s_or_b32 exec_lo, exec_lo, s22
.LBB6_5110:                             ;   in Loop: Header=BB6_4830 Depth=3
	s_or_b32 exec_lo, exec_lo, s18
	v_and_b32_sdwa v36, v15, v63 dst_sel:DWORD dst_unused:UNUSED_PAD src0_sel:WORD_1 src1_sel:DWORD
	s_mov_b32 s17, 0
	s_mov_b32 s18, exec_lo
	v_cmpx_lt_i16_e32 0x7f, v36
	s_xor_b32 s18, exec_lo, s18
	s_cbranch_execz .LBB6_5209
; %bb.5111:                             ;   in Loop: Header=BB6_4830 Depth=3
	s_mov_b32 s17, -1
	s_mov_b32 s22, exec_lo
	v_cmpx_eq_u16_e32 0x80, v36
; %bb.5112:                             ;   in Loop: Header=BB6_4830 Depth=3
	s_xor_b32 s17, exec_lo, -1
; %bb.5113:                             ;   in Loop: Header=BB6_4830 Depth=3
	s_or_b32 exec_lo, exec_lo, s22
	s_and_b32 s17, s17, exec_lo
                                        ; implicit-def: $vgpr36
	s_or_saveexec_b32 s18, s18
	v_mov_b32_e32 v35, 0x7f800001
	s_xor_b32 exec_lo, exec_lo, s18
	s_cbranch_execnz .LBB6_5210
.LBB6_5114:                             ;   in Loop: Header=BB6_4830 Depth=3
	s_or_b32 exec_lo, exec_lo, s18
	s_and_saveexec_b32 s18, s17
	s_cbranch_execz .LBB6_5116
.LBB6_5115:                             ;   in Loop: Header=BB6_4830 Depth=3
	v_bfe_u32 v35, v15, 16, 2
	v_bfe_u32 v38, v15, 18, 5
	v_lshlrev_b32_e32 v39, 8, v15
	v_ffbh_u32_e32 v36, v35
	v_cmp_eq_u32_e32 vcc_lo, 0, v38
	v_min_u32_e32 v36, 32, v36
	v_subrev_nc_u32_e32 v37, 29, v36
	v_sub_nc_u32_e32 v36, 30, v36
	v_lshlrev_b32_sdwa v37, v37, v15 dst_sel:DWORD dst_unused:UNUSED_PAD src0_sel:DWORD src1_sel:WORD_1
	v_cndmask_b32_e32 v36, v38, v36, vcc_lo
	v_and_b32_e32 v37, 3, v37
	v_lshl_add_u32 v36, v36, 23, 0x37800000
	v_cndmask_b32_e32 v35, v35, v37, vcc_lo
	v_and_b32_e32 v37, 0x80000000, v39
	v_lshlrev_b32_e32 v35, 21, v35
	v_or3_b32 v35, v37, v36, v35
.LBB6_5116:                             ;   in Loop: Header=BB6_4830 Depth=3
	s_or_b32 exec_lo, exec_lo, s18
	v_and_b32_sdwa v37, v11, v63 dst_sel:DWORD dst_unused:UNUSED_PAD src0_sel:WORD_1 src1_sel:DWORD
	s_mov_b32 s17, 0
	s_mov_b32 s18, exec_lo
	v_cmpx_lt_i16_e32 0x7f, v37
	s_xor_b32 s18, exec_lo, s18
	s_cbranch_execz .LBB6_5211
; %bb.5117:                             ;   in Loop: Header=BB6_4830 Depth=3
	s_mov_b32 s17, -1
	s_mov_b32 s22, exec_lo
	v_cmpx_eq_u16_e32 0x80, v37
; %bb.5118:                             ;   in Loop: Header=BB6_4830 Depth=3
	s_xor_b32 s17, exec_lo, -1
; %bb.5119:                             ;   in Loop: Header=BB6_4830 Depth=3
	s_or_b32 exec_lo, exec_lo, s22
	s_and_b32 s17, s17, exec_lo
                                        ; implicit-def: $vgpr37
	s_or_saveexec_b32 s18, s18
	v_mov_b32_e32 v36, 0x7f800001
	s_xor_b32 exec_lo, exec_lo, s18
	s_cbranch_execnz .LBB6_5212
.LBB6_5120:                             ;   in Loop: Header=BB6_4830 Depth=3
	s_or_b32 exec_lo, exec_lo, s18
	s_and_saveexec_b32 s18, s17
	s_cbranch_execz .LBB6_5122
.LBB6_5121:                             ;   in Loop: Header=BB6_4830 Depth=3
	v_and_b32_sdwa v36, v11, v72 dst_sel:DWORD dst_unused:UNUSED_PAD src0_sel:WORD_1 src1_sel:DWORD
	v_bfe_u32 v39, v11, 18, 5
	v_lshlrev_b32_sdwa v48, v62, v11 dst_sel:DWORD dst_unused:UNUSED_PAD src0_sel:DWORD src1_sel:WORD_1
	v_ffbh_u32_e32 v37, v36
	v_cmp_eq_u32_e32 vcc_lo, 0, v39
	v_min_u32_e32 v37, 32, v37
	v_subrev_nc_u32_e32 v38, 29, v37
	v_sub_nc_u32_e32 v37, 30, v37
	v_lshlrev_b32_sdwa v38, v38, v11 dst_sel:DWORD dst_unused:UNUSED_PAD src0_sel:DWORD src1_sel:WORD_1
	v_cndmask_b32_e32 v37, v39, v37, vcc_lo
	v_and_b32_e32 v38, 3, v38
	v_lshl_add_u32 v37, v37, 23, 0x37800000
	v_cndmask_b32_e32 v36, v36, v38, vcc_lo
	v_and_b32_e32 v38, 0x80000000, v48
	v_lshlrev_b32_e32 v36, 21, v36
	v_or3_b32 v36, v38, v37, v36
.LBB6_5122:                             ;   in Loop: Header=BB6_4830 Depth=3
	s_or_b32 exec_lo, exec_lo, s18
	v_mul_f32_e32 v36, v35, v36
	v_and_b32_e32 v35, 0x7f800000, v36
	v_cmp_ne_u32_e32 vcc_lo, 0x7f800000, v35
	v_mov_b32_e32 v35, 0x80
	s_and_saveexec_b32 s18, vcc_lo
	s_cbranch_execz .LBB6_5130
; %bb.5123:                             ;   in Loop: Header=BB6_4830 Depth=3
	v_mov_b32_e32 v35, 0
	s_mov_b32 s22, exec_lo
	v_cmpx_ne_u32_e32 0, v36
	s_cbranch_execz .LBB6_5129
; %bb.5124:                             ;   in Loop: Header=BB6_4830 Depth=3
	v_bfe_u32 v35, v36, 23, 8
	v_and_b32_e32 v37, 0x7fffff, v36
	v_sub_nc_u32_e32 v38, 0x70, v35
	v_cmp_gt_u32_e32 vcc_lo, 0x71, v35
	v_or_b32_e32 v39, 0x800000, v37
	v_cndmask_b32_e32 v38, 0, v38, vcc_lo
	v_cmp_eq_u32_e32 vcc_lo, 0, v35
	v_add_nc_u32_e32 v35, 0xffffff91, v35
	v_cndmask_b32_e64 v38, v38, 0x6f, vcc_lo
	v_cndmask_b32_e32 v37, v39, v37, vcc_lo
	v_cndmask_b32_e64 v35, v35, 0xffffff92, vcc_lo
	v_lshl_add_u32 v39, 0x200000, v38, -1
	v_lshrrev_b32_e32 v48, v38, v37
	v_lshlrev_b32_e64 v50, v38, 0x100000
	v_add_nc_u32_e32 v38, v38, v35
	v_and_b32_e32 v37, v39, v37
	v_bfe_u32 v49, v48, 21, 1
	v_cmp_eq_u32_e64 s17, v37, v50
	v_add_nc_u32_e32 v39, -1, v49
	v_cndmask_b32_e64 v37, 0, v39, s17
	v_lshrrev_b32_e32 v39, 23, v48
	s_mov_b32 s17, exec_lo
	v_add_nc_u32_e32 v37, v37, v48
	v_xor_b32_e32 v39, 1, v39
	v_and_b32_e32 v35, 0x1fffff, v37
	v_add_nc_u32_e32 v37, v35, v48
                                        ; implicit-def: $vgpr35
	v_cmpx_ne_u32_e64 v38, v39
	s_xor_b32 s17, exec_lo, s17
; %bb.5125:                             ;   in Loop: Header=BB6_4830 Depth=3
	v_cmp_lt_u32_e32 vcc_lo, 0xffffff, v37
	v_sub_nc_u32_e32 v35, v38, v39
	v_cndmask_b32_e64 v38, 0, 1, vcc_lo
	v_add_co_ci_u32_e64 v35, null, 0, v35, vcc_lo
	v_lshrrev_b32_e32 v37, v38, v37
; %bb.5126:                             ;   in Loop: Header=BB6_4830 Depth=3
	s_andn2_saveexec_b32 s17, s17
; %bb.5127:                             ;   in Loop: Header=BB6_4830 Depth=3
	v_bfe_u32 v35, v37, 23, 1
; %bb.5128:                             ;   in Loop: Header=BB6_4830 Depth=3
	s_or_b32 exec_lo, exec_lo, s17
	v_lshrrev_b32_e32 v37, 21, v37
	v_min_i32_e32 v38, 31, v35
	v_cmp_gt_i32_e32 vcc_lo, 32, v35
	v_and_b32_sdwa v36, v36, v60 dst_sel:DWORD dst_unused:UNUSED_PAD src0_sel:BYTE_3 src1_sel:DWORD
	v_lshlrev_b32_e32 v38, 2, v38
	v_cndmask_b32_e32 v37, 3, v37, vcc_lo
	v_and_b32_e32 v38, 0xfc, v38
	v_and_b32_e32 v39, 3, v37
	v_or_b32_e32 v35, v35, v37
	v_or3_b32 v36, v38, v36, v39
	v_cmp_ne_u32_e32 vcc_lo, 0, v35
	v_cndmask_b32_e32 v35, 0, v36, vcc_lo
.LBB6_5129:                             ;   in Loop: Header=BB6_4830 Depth=3
	s_or_b32 exec_lo, exec_lo, s22
.LBB6_5130:                             ;   in Loop: Header=BB6_4830 Depth=3
	s_or_b32 exec_lo, exec_lo, s18
	v_cmp_gt_i16_sdwa s18, v15, v59 src0_sel:BYTE_3 src1_sel:DWORD
	s_mov_b32 s17, 0
	s_and_saveexec_b32 s22, s18
	s_xor_b32 s18, exec_lo, s22
	s_cbranch_execz .LBB6_5213
; %bb.5131:                             ;   in Loop: Header=BB6_4830 Depth=3
	v_cmp_eq_u16_sdwa s23, v15, v60 src0_sel:BYTE_3 src1_sel:DWORD
	s_mov_b32 s17, -1
	s_and_saveexec_b32 s22, s23
; %bb.5132:                             ;   in Loop: Header=BB6_4830 Depth=3
	s_xor_b32 s17, exec_lo, -1
; %bb.5133:                             ;   in Loop: Header=BB6_4830 Depth=3
	s_or_b32 exec_lo, exec_lo, s22
	s_and_b32 s17, s17, exec_lo
	s_or_saveexec_b32 s18, s18
	v_mov_b32_e32 v36, 0x7f800001
	s_xor_b32 exec_lo, exec_lo, s18
	s_cbranch_execnz .LBB6_5214
.LBB6_5134:                             ;   in Loop: Header=BB6_4830 Depth=3
	s_or_b32 exec_lo, exec_lo, s18
	s_and_saveexec_b32 s18, s17
	s_cbranch_execz .LBB6_5136
.LBB6_5135:                             ;   in Loop: Header=BB6_4830 Depth=3
	v_bfe_u32 v36, v15, 24, 2
	v_bfe_u32 v39, v15, 26, 5
	v_ffbh_u32_e32 v37, v36
	v_cmp_eq_u32_e32 vcc_lo, 0, v39
	v_min_u32_e32 v37, 32, v37
	v_subrev_nc_u32_e32 v38, 29, v37
	v_sub_nc_u32_e32 v37, 30, v37
	v_lshlrev_b32_sdwa v38, v38, v15 dst_sel:DWORD dst_unused:UNUSED_PAD src0_sel:DWORD src1_sel:BYTE_3
	v_cndmask_b32_e32 v37, v39, v37, vcc_lo
	v_and_b32_e32 v15, 0x80000000, v15
	v_and_b32_e32 v38, 3, v38
	v_lshl_add_u32 v37, v37, 23, 0x37800000
	v_cndmask_b32_e32 v36, v36, v38, vcc_lo
	v_lshlrev_b32_e32 v36, 21, v36
	v_or3_b32 v36, v15, v37, v36
.LBB6_5136:                             ;   in Loop: Header=BB6_4830 Depth=3
	s_or_b32 exec_lo, exec_lo, s18
	v_cmp_gt_i16_sdwa s18, v11, v59 src0_sel:BYTE_3 src1_sel:DWORD
	s_mov_b32 s17, 0
	s_and_saveexec_b32 s22, s18
	s_xor_b32 s18, exec_lo, s22
	s_cbranch_execz .LBB6_5215
; %bb.5137:                             ;   in Loop: Header=BB6_4830 Depth=3
	v_cmp_eq_u16_sdwa s23, v11, v60 src0_sel:BYTE_3 src1_sel:DWORD
	s_mov_b32 s17, -1
	s_and_saveexec_b32 s22, s23
; %bb.5138:                             ;   in Loop: Header=BB6_4830 Depth=3
	s_xor_b32 s17, exec_lo, -1
; %bb.5139:                             ;   in Loop: Header=BB6_4830 Depth=3
	s_or_b32 exec_lo, exec_lo, s22
	s_and_b32 s17, s17, exec_lo
	s_or_saveexec_b32 s18, s18
	v_mov_b32_e32 v15, 0x7f800001
	s_xor_b32 exec_lo, exec_lo, s18
	s_cbranch_execnz .LBB6_5216
.LBB6_5140:                             ;   in Loop: Header=BB6_4830 Depth=3
	s_or_b32 exec_lo, exec_lo, s18
	s_and_saveexec_b32 s18, s17
	s_cbranch_execz .LBB6_5142
.LBB6_5141:                             ;   in Loop: Header=BB6_4830 Depth=3
	v_and_b32_sdwa v15, v11, v72 dst_sel:DWORD dst_unused:UNUSED_PAD src0_sel:BYTE_3 src1_sel:DWORD
	v_bfe_u32 v39, v11, 26, 5
	v_ffbh_u32_e32 v37, v15
	v_cmp_eq_u32_e32 vcc_lo, 0, v39
	v_min_u32_e32 v37, 32, v37
	v_subrev_nc_u32_e32 v38, 29, v37
	v_sub_nc_u32_e32 v37, 30, v37
	v_lshlrev_b32_sdwa v38, v38, v11 dst_sel:DWORD dst_unused:UNUSED_PAD src0_sel:DWORD src1_sel:BYTE_3
	v_cndmask_b32_e32 v37, v39, v37, vcc_lo
	v_and_b32_e32 v11, 0x80000000, v11
	v_and_b32_e32 v38, 3, v38
	v_lshl_add_u32 v37, v37, 23, 0x37800000
	v_cndmask_b32_e32 v15, v15, v38, vcc_lo
	v_lshlrev_b32_e32 v15, 21, v15
	v_or3_b32 v15, v11, v37, v15
.LBB6_5142:                             ;   in Loop: Header=BB6_4830 Depth=3
	s_or_b32 exec_lo, exec_lo, s18
	v_mul_f32_e32 v11, v36, v15
	v_and_b32_e32 v15, 0x7f800000, v11
	v_cmp_ne_u32_e32 vcc_lo, 0x7f800000, v15
	v_mov_b32_e32 v15, 0x8000
	s_and_saveexec_b32 s18, vcc_lo
	s_cbranch_execz .LBB6_5150
; %bb.5143:                             ;   in Loop: Header=BB6_4830 Depth=3
	v_mov_b32_e32 v15, 0
	s_mov_b32 s22, exec_lo
	v_cmpx_ne_u32_e32 0, v11
	s_cbranch_execz .LBB6_5149
; %bb.5144:                             ;   in Loop: Header=BB6_4830 Depth=3
	v_bfe_u32 v15, v11, 23, 8
	v_and_b32_e32 v36, 0x7fffff, v11
	v_sub_nc_u32_e32 v37, 0x70, v15
	v_cmp_gt_u32_e32 vcc_lo, 0x71, v15
	v_or_b32_e32 v38, 0x800000, v36
	v_cndmask_b32_e32 v37, 0, v37, vcc_lo
	v_cmp_eq_u32_e32 vcc_lo, 0, v15
	v_add_nc_u32_e32 v15, 0xffffff91, v15
	v_cndmask_b32_e64 v37, v37, 0x6f, vcc_lo
	v_cndmask_b32_e32 v36, v38, v36, vcc_lo
	v_cndmask_b32_e64 v15, v15, 0xffffff92, vcc_lo
	v_lshl_add_u32 v38, 0x200000, v37, -1
	v_lshrrev_b32_e32 v39, v37, v36
	v_lshlrev_b32_e64 v49, v37, 0x100000
	v_add_nc_u32_e32 v37, v37, v15
	v_and_b32_e32 v36, v38, v36
	v_bfe_u32 v48, v39, 21, 1
	v_cmp_eq_u32_e64 s17, v36, v49
	v_add_nc_u32_e32 v38, -1, v48
	v_cndmask_b32_e64 v36, 0, v38, s17
	v_lshrrev_b32_e32 v38, 23, v39
	s_mov_b32 s17, exec_lo
	v_add_nc_u32_e32 v36, v36, v39
	v_xor_b32_e32 v38, 1, v38
	v_and_b32_e32 v15, 0x1fffff, v36
	v_add_nc_u32_e32 v36, v15, v39
                                        ; implicit-def: $vgpr15
	v_cmpx_ne_u32_e64 v37, v38
	s_xor_b32 s17, exec_lo, s17
; %bb.5145:                             ;   in Loop: Header=BB6_4830 Depth=3
	v_cmp_lt_u32_e32 vcc_lo, 0xffffff, v36
	v_sub_nc_u32_e32 v15, v37, v38
	v_cndmask_b32_e64 v37, 0, 1, vcc_lo
	v_add_co_ci_u32_e64 v15, null, 0, v15, vcc_lo
	v_lshrrev_b32_e32 v36, v37, v36
; %bb.5146:                             ;   in Loop: Header=BB6_4830 Depth=3
	s_andn2_saveexec_b32 s17, s17
; %bb.5147:                             ;   in Loop: Header=BB6_4830 Depth=3
	v_bfe_u32 v15, v36, 23, 1
; %bb.5148:                             ;   in Loop: Header=BB6_4830 Depth=3
	s_or_b32 exec_lo, exec_lo, s17
	v_lshrrev_b32_e32 v36, 21, v36
	v_min_i32_e32 v37, 31, v15
	v_cmp_gt_i32_e32 vcc_lo, 32, v15
	v_and_b32_sdwa v11, v11, v60 dst_sel:DWORD dst_unused:UNUSED_PAD src0_sel:BYTE_3 src1_sel:DWORD
	v_lshlrev_b32_e32 v37, 2, v37
	v_cndmask_b32_e32 v36, 3, v36, vcc_lo
	v_and_b32_e32 v37, 0xfc, v37
	v_and_b32_e32 v38, 3, v36
	v_or_b32_e32 v15, v15, v36
	v_or3_b32 v11, v11, v37, v38
	v_cmp_ne_u32_e32 vcc_lo, 0, v15
	v_lshlrev_b32_e32 v11, 8, v11
	v_cndmask_b32_e32 v15, 0, v11, vcc_lo
.LBB6_5149:                             ;   in Loop: Header=BB6_4830 Depth=3
	s_or_b32 exec_lo, exec_lo, s22
.LBB6_5150:                             ;   in Loop: Header=BB6_4830 Depth=3
	s_or_b32 exec_lo, exec_lo, s18
	v_or_b32_sdwa v9, v9, v31 dst_sel:WORD_1 dst_unused:UNUSED_PAD src0_sel:DWORD src1_sel:DWORD
	v_or_b32_sdwa v8, v8, v29 dst_sel:WORD_1 dst_unused:UNUSED_PAD src0_sel:DWORD src1_sel:DWORD
	;; [unrolled: 1-line block ×4, first 2 shown]
	s_mov_b64 s[22:23], 0
	v_or3_b32 v9, v30, v12, v9
	v_or3_b32 v8, v28, v27, v8
	v_or3_b32 v10, v32, v13, v10
	v_or3_b32 v11, v34, v14, v11
	s_mov_b32 s74, -1
	.p2align	6
.LBB6_5151:                             ;   Parent Loop BB6_47 Depth=1
                                        ;     Parent Loop BB6_3207 Depth=2
                                        ;       Parent Loop BB6_4830 Depth=3
                                        ; =>      This Inner Loop Header: Depth=4
	s_cmp_eq_u32 s22, 1
	s_cselect_b32 vcc_lo, -1, 0
	s_cmp_eq_u32 s22, 0
	v_cndmask_b32_e32 v12, v5, v25, vcc_lo
	v_cndmask_b32_e32 v13, v24, v26, vcc_lo
	s_mov_b64 s[22:23], 1
	v_add_co_u32 v14, s17, 0x200, v12
	v_add_co_ci_u32_e64 v15, null, 0, v13, s17
	s_cselect_b32 s17, -1, 0
	v_cndmask_b32_e32 v25, v25, v14, vcc_lo
	v_cndmask_b32_e64 v5, v5, v14, s17
	v_cndmask_b32_e32 v26, v26, v15, vcc_lo
	v_cndmask_b32_e64 v24, v24, v15, s17
	s_and_b32 s18, exec_lo, s74
	s_mov_b32 s74, 0
	s_mov_b32 vcc_lo, s18
	global_store_dwordx4 v[12:13], v[8:11], off glc slc
	s_cbranch_vccnz .LBB6_5151
; %bb.5152:                             ;   in Loop: Header=BB6_4830 Depth=3
	s_clause 0x1
	buffer_load_dword v8, off, s[0:3], s33 offset:188
	buffer_load_dword v9, off, s[0:3], s33 offset:204
	v_sub_nc_u32_e32 v4, v4, v75
	v_sub_nc_u32_e32 v23, v23, v47
	s_waitcnt vmcnt(1)
	v_add_co_u32 v16, vcc_lo, v16, v8
	v_add_co_ci_u32_e64 v17, null, v17, v104, vcc_lo
	v_add_co_u32 v18, vcc_lo, v18, v8
	v_add_nc_u32_e32 v8, 0xfffffe00, v75
	v_add_co_ci_u32_e64 v19, null, v19, v104, vcc_lo
	v_add_co_u32 v5, vcc_lo, v5, v8
	s_waitcnt vmcnt(0)
	v_add_co_ci_u32_e64 v24, null, v24, v9, vcc_lo
	v_cmp_gt_i32_e32 vcc_lo, 16, v4
	v_add_co_u32 v25, s17, v25, v8
	v_add_co_ci_u32_e64 v26, null, v26, v9, s17
	s_or_b32 s73, vcc_lo, s73
	s_andn2_b32 exec_lo, exec_lo, s73
	s_cbranch_execnz .LBB6_4830
	s_branch .LBB6_5217
.LBB6_5153:                             ;   in Loop: Header=BB6_4830 Depth=3
	s_or_saveexec_b32 s18, s18
	v_mov_b32_e32 v27, 0x7f800001
	s_xor_b32 exec_lo, exec_lo, s18
	s_cbranch_execz .LBB6_4834
.LBB6_5154:                             ;   in Loop: Header=BB6_4830 Depth=3
	v_cmp_ne_u16_sdwa s22, v12, v2 src0_sel:BYTE_0 src1_sel:DWORD
	v_mov_b32_e32 v27, 0
	s_andn2_b32 s17, s17, exec_lo
	s_and_b32 s22, s22, exec_lo
	s_or_b32 s17, s17, s22
	s_or_b32 exec_lo, exec_lo, s18
	s_and_saveexec_b32 s18, s17
	s_cbranch_execnz .LBB6_4835
	s_branch .LBB6_4836
.LBB6_5155:                             ;   in Loop: Header=BB6_4830 Depth=3
	s_or_saveexec_b32 s18, s18
	v_mov_b32_e32 v28, 0x7f800001
	s_xor_b32 exec_lo, exec_lo, s18
	s_cbranch_execz .LBB6_4840
.LBB6_5156:                             ;   in Loop: Header=BB6_4830 Depth=3
	v_cmp_ne_u16_sdwa s22, v8, v2 src0_sel:BYTE_0 src1_sel:DWORD
	v_mov_b32_e32 v28, 0
	s_andn2_b32 s17, s17, exec_lo
	s_and_b32 s22, s22, exec_lo
	s_or_b32 s17, s17, s22
	s_or_b32 exec_lo, exec_lo, s18
	s_and_saveexec_b32 s18, s17
	s_cbranch_execnz .LBB6_4841
	s_branch .LBB6_4842
.LBB6_5157:                             ;   in Loop: Header=BB6_4830 Depth=3
	s_or_saveexec_b32 s18, s18
	v_mov_b32_e32 v28, 0x7f800001
	s_xor_b32 exec_lo, exec_lo, s18
	s_cbranch_execz .LBB6_4854
.LBB6_5158:                             ;   in Loop: Header=BB6_4830 Depth=3
	v_cmp_ne_u16_sdwa s22, v12, v2 src0_sel:BYTE_1 src1_sel:DWORD
	v_mov_b32_e32 v28, 0
	s_andn2_b32 s17, s17, exec_lo
	s_and_b32 s22, s22, exec_lo
	s_or_b32 s17, s17, s22
	s_or_b32 exec_lo, exec_lo, s18
	s_and_saveexec_b32 s18, s17
	s_cbranch_execnz .LBB6_4855
	s_branch .LBB6_4856
.LBB6_5159:                             ;   in Loop: Header=BB6_4830 Depth=3
	s_or_saveexec_b32 s18, s18
	v_mov_b32_e32 v29, 0x7f800001
	s_xor_b32 exec_lo, exec_lo, s18
	s_cbranch_execz .LBB6_4860
.LBB6_5160:                             ;   in Loop: Header=BB6_4830 Depth=3
	v_cmp_ne_u16_sdwa s22, v8, v2 src0_sel:BYTE_1 src1_sel:DWORD
	v_mov_b32_e32 v29, 0
	s_andn2_b32 s17, s17, exec_lo
	s_and_b32 s22, s22, exec_lo
	s_or_b32 s17, s17, s22
	s_or_b32 exec_lo, exec_lo, s18
	s_and_saveexec_b32 s18, s17
	s_cbranch_execnz .LBB6_4861
	s_branch .LBB6_4862
.LBB6_5161:                             ;   in Loop: Header=BB6_4830 Depth=3
	s_or_saveexec_b32 s18, s18
	v_mov_b32_e32 v29, 0x7f800001
	s_xor_b32 exec_lo, exec_lo, s18
	s_cbranch_execz .LBB6_4874
.LBB6_5162:                             ;   in Loop: Header=BB6_4830 Depth=3
	v_cmp_ne_u16_e32 vcc_lo, 0, v30
	v_mov_b32_e32 v29, 0
	s_andn2_b32 s17, s17, exec_lo
	s_and_b32 s22, vcc_lo, exec_lo
	s_or_b32 s17, s17, s22
	s_or_b32 exec_lo, exec_lo, s18
	s_and_saveexec_b32 s18, s17
	s_cbranch_execnz .LBB6_4875
	s_branch .LBB6_4876
.LBB6_5163:                             ;   in Loop: Header=BB6_4830 Depth=3
	s_or_saveexec_b32 s18, s18
	v_mov_b32_e32 v30, 0x7f800001
	s_xor_b32 exec_lo, exec_lo, s18
	s_cbranch_execz .LBB6_4880
.LBB6_5164:                             ;   in Loop: Header=BB6_4830 Depth=3
	v_cmp_ne_u16_e32 vcc_lo, 0, v31
	v_mov_b32_e32 v30, 0
	s_andn2_b32 s17, s17, exec_lo
	s_and_b32 s22, vcc_lo, exec_lo
	s_or_b32 s17, s17, s22
	s_or_b32 exec_lo, exec_lo, s18
	s_and_saveexec_b32 s18, s17
	s_cbranch_execnz .LBB6_4881
	s_branch .LBB6_4882
.LBB6_5165:                             ;   in Loop: Header=BB6_4830 Depth=3
	s_or_saveexec_b32 s18, s18
	v_mov_b32_e32 v30, 0x7f800001
	s_xor_b32 exec_lo, exec_lo, s18
	s_cbranch_execz .LBB6_4894
.LBB6_5166:                             ;   in Loop: Header=BB6_4830 Depth=3
	v_cmp_ne_u16_sdwa s22, v12, v2 src0_sel:BYTE_3 src1_sel:DWORD
	v_mov_b32_e32 v30, 0
	s_andn2_b32 s17, s17, exec_lo
	s_and_b32 s22, s22, exec_lo
	s_or_b32 s17, s17, s22
	s_or_b32 exec_lo, exec_lo, s18
	s_and_saveexec_b32 s18, s17
	s_cbranch_execnz .LBB6_4895
	s_branch .LBB6_4896
.LBB6_5167:                             ;   in Loop: Header=BB6_4830 Depth=3
	s_or_saveexec_b32 s18, s18
	v_mov_b32_e32 v12, 0x7f800001
	s_xor_b32 exec_lo, exec_lo, s18
	s_cbranch_execz .LBB6_4900
.LBB6_5168:                             ;   in Loop: Header=BB6_4830 Depth=3
	v_cmp_ne_u16_sdwa s22, v8, v2 src0_sel:BYTE_3 src1_sel:DWORD
	v_mov_b32_e32 v12, 0
	s_andn2_b32 s17, s17, exec_lo
	s_and_b32 s22, s22, exec_lo
	s_or_b32 s17, s17, s22
	s_or_b32 exec_lo, exec_lo, s18
	s_and_saveexec_b32 s18, s17
	s_cbranch_execnz .LBB6_4901
	s_branch .LBB6_4902
.LBB6_5169:                             ;   in Loop: Header=BB6_4830 Depth=3
	s_or_saveexec_b32 s18, s18
	v_mov_b32_e32 v12, 0x7f800001
	s_xor_b32 exec_lo, exec_lo, s18
	s_cbranch_execz .LBB6_4914
.LBB6_5170:                             ;   in Loop: Header=BB6_4830 Depth=3
	v_cmp_ne_u16_sdwa s22, v13, v2 src0_sel:BYTE_0 src1_sel:DWORD
	v_mov_b32_e32 v12, 0
	s_andn2_b32 s17, s17, exec_lo
	s_and_b32 s22, s22, exec_lo
	s_or_b32 s17, s17, s22
	s_or_b32 exec_lo, exec_lo, s18
	s_and_saveexec_b32 s18, s17
	s_cbranch_execnz .LBB6_4915
	s_branch .LBB6_4916
.LBB6_5171:                             ;   in Loop: Header=BB6_4830 Depth=3
	s_or_saveexec_b32 s18, s18
	v_mov_b32_e32 v30, 0x7f800001
	s_xor_b32 exec_lo, exec_lo, s18
	s_cbranch_execz .LBB6_4920
.LBB6_5172:                             ;   in Loop: Header=BB6_4830 Depth=3
	v_cmp_ne_u16_sdwa s22, v9, v2 src0_sel:BYTE_0 src1_sel:DWORD
	v_mov_b32_e32 v30, 0
	s_andn2_b32 s17, s17, exec_lo
	s_and_b32 s22, s22, exec_lo
	s_or_b32 s17, s17, s22
	s_or_b32 exec_lo, exec_lo, s18
	s_and_saveexec_b32 s18, s17
	s_cbranch_execnz .LBB6_4921
	s_branch .LBB6_4922
.LBB6_5173:                             ;   in Loop: Header=BB6_4830 Depth=3
	s_or_saveexec_b32 s18, s18
	v_mov_b32_e32 v30, 0x7f800001
	s_xor_b32 exec_lo, exec_lo, s18
	s_cbranch_execz .LBB6_4934
.LBB6_5174:                             ;   in Loop: Header=BB6_4830 Depth=3
	v_cmp_ne_u16_sdwa s22, v13, v2 src0_sel:BYTE_1 src1_sel:DWORD
	v_mov_b32_e32 v30, 0
	s_andn2_b32 s17, s17, exec_lo
	s_and_b32 s22, s22, exec_lo
	s_or_b32 s17, s17, s22
	s_or_b32 exec_lo, exec_lo, s18
	s_and_saveexec_b32 s18, s17
	s_cbranch_execnz .LBB6_4935
	s_branch .LBB6_4936
.LBB6_5175:                             ;   in Loop: Header=BB6_4830 Depth=3
	s_or_saveexec_b32 s18, s18
	v_mov_b32_e32 v31, 0x7f800001
	s_xor_b32 exec_lo, exec_lo, s18
	s_cbranch_execz .LBB6_4940
.LBB6_5176:                             ;   in Loop: Header=BB6_4830 Depth=3
	v_cmp_ne_u16_sdwa s22, v9, v2 src0_sel:BYTE_1 src1_sel:DWORD
	v_mov_b32_e32 v31, 0
	s_andn2_b32 s17, s17, exec_lo
	s_and_b32 s22, s22, exec_lo
	s_or_b32 s17, s17, s22
	s_or_b32 exec_lo, exec_lo, s18
	s_and_saveexec_b32 s18, s17
	s_cbranch_execnz .LBB6_4941
	s_branch .LBB6_4942
.LBB6_5177:                             ;   in Loop: Header=BB6_4830 Depth=3
	s_or_saveexec_b32 s18, s18
	v_mov_b32_e32 v31, 0x7f800001
	s_xor_b32 exec_lo, exec_lo, s18
	s_cbranch_execz .LBB6_4954
.LBB6_5178:                             ;   in Loop: Header=BB6_4830 Depth=3
	v_cmp_ne_u16_e32 vcc_lo, 0, v32
	v_mov_b32_e32 v31, 0
	s_andn2_b32 s17, s17, exec_lo
	s_and_b32 s22, vcc_lo, exec_lo
	s_or_b32 s17, s17, s22
	s_or_b32 exec_lo, exec_lo, s18
	s_and_saveexec_b32 s18, s17
	s_cbranch_execnz .LBB6_4955
	s_branch .LBB6_4956
.LBB6_5179:                             ;   in Loop: Header=BB6_4830 Depth=3
	s_or_saveexec_b32 s18, s18
	v_mov_b32_e32 v32, 0x7f800001
	s_xor_b32 exec_lo, exec_lo, s18
	s_cbranch_execz .LBB6_4960
.LBB6_5180:                             ;   in Loop: Header=BB6_4830 Depth=3
	v_cmp_ne_u16_e32 vcc_lo, 0, v33
	v_mov_b32_e32 v32, 0
	s_andn2_b32 s17, s17, exec_lo
	s_and_b32 s22, vcc_lo, exec_lo
	s_or_b32 s17, s17, s22
	s_or_b32 exec_lo, exec_lo, s18
	s_and_saveexec_b32 s18, s17
	s_cbranch_execnz .LBB6_4961
	s_branch .LBB6_4962
.LBB6_5181:                             ;   in Loop: Header=BB6_4830 Depth=3
	s_or_saveexec_b32 s18, s18
	v_mov_b32_e32 v32, 0x7f800001
	s_xor_b32 exec_lo, exec_lo, s18
	s_cbranch_execz .LBB6_4974
.LBB6_5182:                             ;   in Loop: Header=BB6_4830 Depth=3
	v_cmp_ne_u16_sdwa s22, v13, v2 src0_sel:BYTE_3 src1_sel:DWORD
	v_mov_b32_e32 v32, 0
	s_andn2_b32 s17, s17, exec_lo
	s_and_b32 s22, s22, exec_lo
	s_or_b32 s17, s17, s22
	s_or_b32 exec_lo, exec_lo, s18
	s_and_saveexec_b32 s18, s17
	s_cbranch_execnz .LBB6_4975
	s_branch .LBB6_4976
.LBB6_5183:                             ;   in Loop: Header=BB6_4830 Depth=3
	s_or_saveexec_b32 s18, s18
	v_mov_b32_e32 v13, 0x7f800001
	s_xor_b32 exec_lo, exec_lo, s18
	s_cbranch_execz .LBB6_4980
.LBB6_5184:                             ;   in Loop: Header=BB6_4830 Depth=3
	v_cmp_ne_u16_sdwa s22, v9, v2 src0_sel:BYTE_3 src1_sel:DWORD
	v_mov_b32_e32 v13, 0
	s_andn2_b32 s17, s17, exec_lo
	s_and_b32 s22, s22, exec_lo
	s_or_b32 s17, s17, s22
	s_or_b32 exec_lo, exec_lo, s18
	s_and_saveexec_b32 s18, s17
	s_cbranch_execnz .LBB6_4981
	s_branch .LBB6_4982
.LBB6_5185:                             ;   in Loop: Header=BB6_4830 Depth=3
	s_or_saveexec_b32 s18, s18
	v_mov_b32_e32 v13, 0x7f800001
	s_xor_b32 exec_lo, exec_lo, s18
	s_cbranch_execz .LBB6_4994
.LBB6_5186:                             ;   in Loop: Header=BB6_4830 Depth=3
	v_cmp_ne_u16_sdwa s22, v14, v2 src0_sel:BYTE_0 src1_sel:DWORD
	v_mov_b32_e32 v13, 0
	s_andn2_b32 s17, s17, exec_lo
	s_and_b32 s22, s22, exec_lo
	s_or_b32 s17, s17, s22
	s_or_b32 exec_lo, exec_lo, s18
	s_and_saveexec_b32 s18, s17
	s_cbranch_execnz .LBB6_4995
	s_branch .LBB6_4996
.LBB6_5187:                             ;   in Loop: Header=BB6_4830 Depth=3
	s_or_saveexec_b32 s18, s18
	v_mov_b32_e32 v32, 0x7f800001
	s_xor_b32 exec_lo, exec_lo, s18
	s_cbranch_execz .LBB6_5000
.LBB6_5188:                             ;   in Loop: Header=BB6_4830 Depth=3
	v_cmp_ne_u16_sdwa s22, v10, v2 src0_sel:BYTE_0 src1_sel:DWORD
	v_mov_b32_e32 v32, 0
	s_andn2_b32 s17, s17, exec_lo
	s_and_b32 s22, s22, exec_lo
	s_or_b32 s17, s17, s22
	s_or_b32 exec_lo, exec_lo, s18
	s_and_saveexec_b32 s18, s17
	s_cbranch_execnz .LBB6_5001
	s_branch .LBB6_5002
.LBB6_5189:                             ;   in Loop: Header=BB6_4830 Depth=3
	s_or_saveexec_b32 s18, s18
	v_mov_b32_e32 v32, 0x7f800001
	s_xor_b32 exec_lo, exec_lo, s18
	s_cbranch_execz .LBB6_5014
.LBB6_5190:                             ;   in Loop: Header=BB6_4830 Depth=3
	v_cmp_ne_u16_sdwa s22, v14, v2 src0_sel:BYTE_1 src1_sel:DWORD
	v_mov_b32_e32 v32, 0
	s_andn2_b32 s17, s17, exec_lo
	s_and_b32 s22, s22, exec_lo
	s_or_b32 s17, s17, s22
	s_or_b32 exec_lo, exec_lo, s18
	s_and_saveexec_b32 s18, s17
	s_cbranch_execnz .LBB6_5015
	s_branch .LBB6_5016
.LBB6_5191:                             ;   in Loop: Header=BB6_4830 Depth=3
	s_or_saveexec_b32 s18, s18
	v_mov_b32_e32 v33, 0x7f800001
	s_xor_b32 exec_lo, exec_lo, s18
	s_cbranch_execz .LBB6_5020
.LBB6_5192:                             ;   in Loop: Header=BB6_4830 Depth=3
	v_cmp_ne_u16_sdwa s22, v10, v2 src0_sel:BYTE_1 src1_sel:DWORD
	v_mov_b32_e32 v33, 0
	s_andn2_b32 s17, s17, exec_lo
	s_and_b32 s22, s22, exec_lo
	s_or_b32 s17, s17, s22
	s_or_b32 exec_lo, exec_lo, s18
	s_and_saveexec_b32 s18, s17
	s_cbranch_execnz .LBB6_5021
	s_branch .LBB6_5022
.LBB6_5193:                             ;   in Loop: Header=BB6_4830 Depth=3
	s_or_saveexec_b32 s18, s18
	v_mov_b32_e32 v33, 0x7f800001
	s_xor_b32 exec_lo, exec_lo, s18
	s_cbranch_execz .LBB6_5034
.LBB6_5194:                             ;   in Loop: Header=BB6_4830 Depth=3
	v_cmp_ne_u16_e32 vcc_lo, 0, v34
	v_mov_b32_e32 v33, 0
	s_andn2_b32 s17, s17, exec_lo
	s_and_b32 s22, vcc_lo, exec_lo
	s_or_b32 s17, s17, s22
	s_or_b32 exec_lo, exec_lo, s18
	s_and_saveexec_b32 s18, s17
	s_cbranch_execnz .LBB6_5035
	s_branch .LBB6_5036
.LBB6_5195:                             ;   in Loop: Header=BB6_4830 Depth=3
	s_or_saveexec_b32 s18, s18
	v_mov_b32_e32 v34, 0x7f800001
	s_xor_b32 exec_lo, exec_lo, s18
	s_cbranch_execz .LBB6_5040
.LBB6_5196:                             ;   in Loop: Header=BB6_4830 Depth=3
	v_cmp_ne_u16_e32 vcc_lo, 0, v35
	v_mov_b32_e32 v34, 0
	s_andn2_b32 s17, s17, exec_lo
	s_and_b32 s22, vcc_lo, exec_lo
	s_or_b32 s17, s17, s22
	s_or_b32 exec_lo, exec_lo, s18
	s_and_saveexec_b32 s18, s17
	s_cbranch_execnz .LBB6_5041
	s_branch .LBB6_5042
.LBB6_5197:                             ;   in Loop: Header=BB6_4830 Depth=3
	s_or_saveexec_b32 s18, s18
	v_mov_b32_e32 v34, 0x7f800001
	s_xor_b32 exec_lo, exec_lo, s18
	s_cbranch_execz .LBB6_5054
.LBB6_5198:                             ;   in Loop: Header=BB6_4830 Depth=3
	v_cmp_ne_u16_sdwa s22, v14, v2 src0_sel:BYTE_3 src1_sel:DWORD
	v_mov_b32_e32 v34, 0
	s_andn2_b32 s17, s17, exec_lo
	s_and_b32 s22, s22, exec_lo
	s_or_b32 s17, s17, s22
	s_or_b32 exec_lo, exec_lo, s18
	s_and_saveexec_b32 s18, s17
	s_cbranch_execnz .LBB6_5055
	s_branch .LBB6_5056
.LBB6_5199:                             ;   in Loop: Header=BB6_4830 Depth=3
	s_or_saveexec_b32 s18, s18
	v_mov_b32_e32 v14, 0x7f800001
	s_xor_b32 exec_lo, exec_lo, s18
	s_cbranch_execz .LBB6_5060
.LBB6_5200:                             ;   in Loop: Header=BB6_4830 Depth=3
	v_cmp_ne_u16_sdwa s22, v10, v2 src0_sel:BYTE_3 src1_sel:DWORD
	v_mov_b32_e32 v14, 0
	s_andn2_b32 s17, s17, exec_lo
	s_and_b32 s22, s22, exec_lo
	s_or_b32 s17, s17, s22
	s_or_b32 exec_lo, exec_lo, s18
	s_and_saveexec_b32 s18, s17
	s_cbranch_execnz .LBB6_5061
	s_branch .LBB6_5062
.LBB6_5201:                             ;   in Loop: Header=BB6_4830 Depth=3
	s_or_saveexec_b32 s18, s18
	v_mov_b32_e32 v14, 0x7f800001
	s_xor_b32 exec_lo, exec_lo, s18
	s_cbranch_execz .LBB6_5074
.LBB6_5202:                             ;   in Loop: Header=BB6_4830 Depth=3
	v_cmp_ne_u16_sdwa s22, v15, v2 src0_sel:BYTE_0 src1_sel:DWORD
	v_mov_b32_e32 v14, 0
	s_andn2_b32 s17, s17, exec_lo
	s_and_b32 s22, s22, exec_lo
	s_or_b32 s17, s17, s22
	s_or_b32 exec_lo, exec_lo, s18
	s_and_saveexec_b32 s18, s17
	s_cbranch_execnz .LBB6_5075
	s_branch .LBB6_5076
.LBB6_5203:                             ;   in Loop: Header=BB6_4830 Depth=3
	s_or_saveexec_b32 s18, s18
	v_mov_b32_e32 v34, 0x7f800001
	s_xor_b32 exec_lo, exec_lo, s18
	s_cbranch_execz .LBB6_5080
.LBB6_5204:                             ;   in Loop: Header=BB6_4830 Depth=3
	v_cmp_ne_u16_sdwa s22, v11, v2 src0_sel:BYTE_0 src1_sel:DWORD
	v_mov_b32_e32 v34, 0
	s_andn2_b32 s17, s17, exec_lo
	s_and_b32 s22, s22, exec_lo
	s_or_b32 s17, s17, s22
	s_or_b32 exec_lo, exec_lo, s18
	s_and_saveexec_b32 s18, s17
	s_cbranch_execnz .LBB6_5081
	s_branch .LBB6_5082
.LBB6_5205:                             ;   in Loop: Header=BB6_4830 Depth=3
	s_or_saveexec_b32 s18, s18
	v_mov_b32_e32 v34, 0x7f800001
	s_xor_b32 exec_lo, exec_lo, s18
	s_cbranch_execz .LBB6_5094
.LBB6_5206:                             ;   in Loop: Header=BB6_4830 Depth=3
	v_cmp_ne_u16_sdwa s22, v15, v2 src0_sel:BYTE_1 src1_sel:DWORD
	v_mov_b32_e32 v34, 0
	s_andn2_b32 s17, s17, exec_lo
	s_and_b32 s22, s22, exec_lo
	s_or_b32 s17, s17, s22
	s_or_b32 exec_lo, exec_lo, s18
	s_and_saveexec_b32 s18, s17
	s_cbranch_execnz .LBB6_5095
	s_branch .LBB6_5096
.LBB6_5207:                             ;   in Loop: Header=BB6_4830 Depth=3
	s_or_saveexec_b32 s18, s18
	v_mov_b32_e32 v35, 0x7f800001
	s_xor_b32 exec_lo, exec_lo, s18
	s_cbranch_execz .LBB6_5100
.LBB6_5208:                             ;   in Loop: Header=BB6_4830 Depth=3
	v_cmp_ne_u16_sdwa s22, v11, v2 src0_sel:BYTE_1 src1_sel:DWORD
	v_mov_b32_e32 v35, 0
	s_andn2_b32 s17, s17, exec_lo
	s_and_b32 s22, s22, exec_lo
	s_or_b32 s17, s17, s22
	s_or_b32 exec_lo, exec_lo, s18
	s_and_saveexec_b32 s18, s17
	s_cbranch_execnz .LBB6_5101
	s_branch .LBB6_5102
.LBB6_5209:                             ;   in Loop: Header=BB6_4830 Depth=3
	s_or_saveexec_b32 s18, s18
	v_mov_b32_e32 v35, 0x7f800001
	s_xor_b32 exec_lo, exec_lo, s18
	s_cbranch_execz .LBB6_5114
.LBB6_5210:                             ;   in Loop: Header=BB6_4830 Depth=3
	v_cmp_ne_u16_e32 vcc_lo, 0, v36
	v_mov_b32_e32 v35, 0
	s_andn2_b32 s17, s17, exec_lo
	s_and_b32 s22, vcc_lo, exec_lo
	s_or_b32 s17, s17, s22
	s_or_b32 exec_lo, exec_lo, s18
	s_and_saveexec_b32 s18, s17
	s_cbranch_execnz .LBB6_5115
	s_branch .LBB6_5116
.LBB6_5211:                             ;   in Loop: Header=BB6_4830 Depth=3
	s_or_saveexec_b32 s18, s18
	v_mov_b32_e32 v36, 0x7f800001
	s_xor_b32 exec_lo, exec_lo, s18
	s_cbranch_execz .LBB6_5120
.LBB6_5212:                             ;   in Loop: Header=BB6_4830 Depth=3
	v_cmp_ne_u16_e32 vcc_lo, 0, v37
	v_mov_b32_e32 v36, 0
	s_andn2_b32 s17, s17, exec_lo
	s_and_b32 s22, vcc_lo, exec_lo
	s_or_b32 s17, s17, s22
	s_or_b32 exec_lo, exec_lo, s18
	s_and_saveexec_b32 s18, s17
	s_cbranch_execnz .LBB6_5121
	s_branch .LBB6_5122
.LBB6_5213:                             ;   in Loop: Header=BB6_4830 Depth=3
	s_or_saveexec_b32 s18, s18
	v_mov_b32_e32 v36, 0x7f800001
	s_xor_b32 exec_lo, exec_lo, s18
	s_cbranch_execz .LBB6_5134
.LBB6_5214:                             ;   in Loop: Header=BB6_4830 Depth=3
	v_cmp_ne_u16_sdwa s22, v15, v2 src0_sel:BYTE_3 src1_sel:DWORD
	v_mov_b32_e32 v36, 0
	s_andn2_b32 s17, s17, exec_lo
	s_and_b32 s22, s22, exec_lo
	s_or_b32 s17, s17, s22
	s_or_b32 exec_lo, exec_lo, s18
	s_and_saveexec_b32 s18, s17
	s_cbranch_execnz .LBB6_5135
	s_branch .LBB6_5136
.LBB6_5215:                             ;   in Loop: Header=BB6_4830 Depth=3
	s_or_saveexec_b32 s18, s18
	v_mov_b32_e32 v15, 0x7f800001
	s_xor_b32 exec_lo, exec_lo, s18
	s_cbranch_execz .LBB6_5140
.LBB6_5216:                             ;   in Loop: Header=BB6_4830 Depth=3
	v_cmp_ne_u16_sdwa s22, v11, v2 src0_sel:BYTE_3 src1_sel:DWORD
	v_mov_b32_e32 v15, 0
	s_andn2_b32 s17, s17, exec_lo
	s_and_b32 s22, s22, exec_lo
	s_or_b32 s17, s17, s22
	s_or_b32 exec_lo, exec_lo, s18
	s_and_saveexec_b32 s18, s17
	s_cbranch_execnz .LBB6_5141
	s_branch .LBB6_5142
.LBB6_5217:                             ;   in Loop: Header=BB6_3207 Depth=2
	s_or_b32 exec_lo, exec_lo, s73
.LBB6_5218:                             ;   in Loop: Header=BB6_3207 Depth=2
	s_or_b32 exec_lo, exec_lo, s72
	v_and_b32_e32 v9, 15, v95
	v_mov_b32_e32 v4, 0
	s_mov_b32 s17, 0
	s_mov_b32 s18, exec_lo
                                        ; implicit-def: $vgpr16
                                        ; implicit-def: $vgpr8
	v_cndmask_b32_e64 v5, v22, v9, s16
	v_cmpx_ne_u32_e32 0, v5
	s_cbranch_execz .LBB6_5220
; %bb.5219:                             ;   in Loop: Header=BB6_3207 Depth=2
	v_cmp_lt_i32_e32 vcc_lo, 0, v23
	v_sub_nc_u32_e32 v8, v22, v9
	s_mov_b32 s17, exec_lo
	v_cndmask_b32_e32 v4, 0, v47, vcc_lo
	v_cndmask_b32_e64 v8, 0, v8, s16
	v_sub_nc_u32_e32 v4, v4, v23
	v_lshl_add_u32 v16, v4, 5, v21
	v_ashrrev_i32_e32 v4, 31, v16
	v_lshrrev_b32_e32 v4, 27, v4
	v_add_nc_u32_e32 v9, v16, v4
	v_add3_u32 v4, v20, v1, v8
	v_ashrrev_i32_e32 v8, 5, v9
.LBB6_5220:                             ;   in Loop: Header=BB6_3207 Depth=2
	s_or_b32 exec_lo, exec_lo, s18
	s_and_b32 s16, s17, exec_lo
.LBB6_5221:                             ;   in Loop: Header=BB6_3207 Depth=2
	s_or_b32 exec_lo, exec_lo, s19
	s_and_saveexec_b32 s22, s16
	s_cbranch_execz .LBB6_6024
.LBB6_5222:                             ;   in Loop: Header=BB6_3207 Depth=2
	v_ashrrev_i32_e32 v1, 31, v5
	s_mov_b32 s17, exec_lo
	v_lshrrev_b32_e32 v1, 22, v1
	v_add_nc_u32_e32 v1, v5, v1
	v_ashrrev_i32_e32 v19, 10, v1
	v_ashrrev_i32_e32 v1, 31, v16
	v_sub_nc_u32_e32 v17, v19, v8
	s_waitcnt vmcnt(0)
	v_lshrrev_b32_e32 v9, 27, v1
	v_cmpx_lt_i32_e32 0, v17
	s_cbranch_execz .LBB6_5994
; %bb.5223:                             ;   in Loop: Header=BB6_3207 Depth=2
	v_add_nc_u32_e32 v1, v16, v9
	v_lshlrev_b32_e32 v8, 10, v8
	buffer_store_dword v9, off, s[0:3], s33 offset:256 ; 4-byte Folded Spill
	s_trap 2
	ds_read_b64 v[14:15], v0
	v_and_b32_e32 v1, 0xffffffe0, v1
	s_mov_b32 s18, 0
	v_sub_nc_u32_e32 v1, v16, v1
	v_add3_u32 v1, v4, v1, v8
	s_clause 0x1
	buffer_load_dword v8, off, s[0:3], s33 offset:232
	buffer_load_dword v9, off, s[0:3], s33 offset:236
	v_ashrrev_i32_e32 v18, 31, v1
	s_waitcnt vmcnt(1)
	v_add_co_u32 v8, vcc_lo, v1, v8
	s_waitcnt vmcnt(0)
	v_add_co_ci_u32_e64 v9, null, v18, v9, vcc_lo
	v_add_co_u32 v10, vcc_lo, v1, v114
	v_add_co_ci_u32_e64 v11, null, v18, v115, vcc_lo
	v_add_co_u32 v12, vcc_lo, v1, v101
	v_add_co_ci_u32_e64 v13, null, v18, v102, vcc_lo
	s_waitcnt lgkmcnt(0)
	v_add_co_u32 v14, vcc_lo, v14, v1
	v_add_co_ci_u32_e64 v15, null, v15, v18, vcc_lo
	s_branch .LBB6_5227
.LBB6_5224:                             ;   in Loop: Header=BB6_5227 Depth=3
	s_or_b32 exec_lo, exec_lo, s16
	v_lshrrev_b32_e32 v21, 21, v26
	v_cmp_gt_i32_e32 vcc_lo, 32, v28
	v_min_i32_e32 v23, 31, v28
	v_and_b32_sdwa v20, v20, v60 dst_sel:DWORD dst_unused:UNUSED_PAD src0_sel:BYTE_3 src1_sel:DWORD
	v_cndmask_b32_e32 v21, 3, v21, vcc_lo
	v_lshlrev_b32_e32 v23, 2, v23
	v_or_b32_e32 v26, v28, v21
	v_and_b32_e32 v21, 3, v21
	v_cmp_ne_u32_e32 vcc_lo, 0, v26
	v_or3_b32 v20, v23, v20, v21
	v_cndmask_b32_e32 v21, 0, v20, vcc_lo
.LBB6_5225:                             ;   in Loop: Header=BB6_5227 Depth=3
	s_or_b32 exec_lo, exec_lo, s23
.LBB6_5226:                             ;   in Loop: Header=BB6_5227 Depth=3
	s_or_b32 exec_lo, exec_lo, s19
	v_add_co_u32 v12, vcc_lo, v12, v76
	v_sub_nc_u32_e32 v17, v17, v47
	v_add_co_ci_u32_e64 v13, null, 0, v13, vcc_lo
	v_add_co_u32 v14, vcc_lo, v14, v76
	flat_store_byte v[8:9], v22 glc slc
	flat_store_byte v[8:9], v24 offset:32 glc slc
	flat_store_byte v[8:9], v27 offset:64 glc slc
	;; [unrolled: 1-line block ×31, first 2 shown]
	flat_store_byte v[10:11], v22 glc slc
	flat_store_byte v[10:11], v24 offset:32 glc slc
	flat_store_byte v[10:11], v27 offset:64 glc slc
	;; [unrolled: 1-line block ×31, first 2 shown]
	v_add_co_ci_u32_e64 v15, null, 0, v15, vcc_lo
	v_add_co_u32 v8, vcc_lo, v8, v76
	v_add_co_ci_u32_e64 v9, null, 0, v9, vcc_lo
	v_cmp_gt_i32_e32 vcc_lo, 1, v17
	v_add_co_u32 v10, s16, v10, v76
	v_add_co_ci_u32_e64 v11, null, 0, v11, s16
	s_or_b32 s18, vcc_lo, s18
	s_andn2_b32 exec_lo, exec_lo, s18
	s_cbranch_execz .LBB6_5993
.LBB6_5227:                             ;   Parent Loop BB6_47 Depth=1
                                        ;     Parent Loop BB6_3207 Depth=2
                                        ; =>    This Inner Loop Header: Depth=3
	s_clause 0x1f
	flat_load_ubyte v108, v[12:13] slc
	flat_load_ubyte v113, v[12:13] offset:32 slc
	flat_load_ubyte v112, v[12:13] offset:64 slc
	;; [unrolled: 1-line block ×31, first 2 shown]
	s_clause 0x1f
	flat_load_ubyte v22, v[14:15] slc
	flat_load_ubyte v24, v[14:15] offset:32 slc
	flat_load_ubyte v27, v[14:15] offset:64 slc
	;; [unrolled: 1-line block ×31, first 2 shown]
	s_mov_b32 s16, 0
	s_waitcnt vmcnt(62) lgkmcnt(62)
	v_cmp_lt_i16_e32 vcc_lo, 0x7f, v108
	s_and_saveexec_b32 s19, vcc_lo
	s_xor_b32 s19, exec_lo, s19
	s_cbranch_execz .LBB6_5865
; %bb.5228:                             ;   in Loop: Header=BB6_5227 Depth=3
	s_mov_b32 s16, -1
	s_mov_b32 s23, exec_lo
	v_cmpx_eq_u16_e32 0x80, v108
; %bb.5229:                             ;   in Loop: Header=BB6_5227 Depth=3
	s_xor_b32 s16, exec_lo, -1
; %bb.5230:                             ;   in Loop: Header=BB6_5227 Depth=3
	s_or_b32 exec_lo, exec_lo, s23
	s_and_b32 s16, s16, exec_lo
	s_or_saveexec_b32 s19, s19
	v_mov_b32_e32 v86, 0x7f800001
	s_xor_b32 exec_lo, exec_lo, s19
	s_cbranch_execnz .LBB6_5866
.LBB6_5231:                             ;   in Loop: Header=BB6_5227 Depth=3
	s_or_b32 exec_lo, exec_lo, s19
	s_and_saveexec_b32 s19, s16
	s_cbranch_execz .LBB6_5233
.LBB6_5232:                             ;   in Loop: Header=BB6_5227 Depth=3
	v_and_b32_e32 v86, 0xffff, v108
	v_and_b32_e32 v87, 3, v86
	v_bfe_u32 v109, v86, 2, 5
	v_ffbh_u32_e32 v79, v87
	v_cmp_eq_u32_e32 vcc_lo, 0, v109
	v_min_u32_e32 v79, 32, v79
	v_subrev_nc_u32_e32 v90, 29, v79
	v_sub_nc_u32_e32 v79, 30, v79
	v_lshlrev_b32_e32 v86, v90, v86
	v_lshlrev_b32_e32 v90, 24, v108
	v_cndmask_b32_e32 v79, v109, v79, vcc_lo
	v_and_b32_e32 v86, 3, v86
	v_lshl_add_u32 v79, v79, 23, 0x37800000
	v_cndmask_b32_e32 v86, v87, v86, vcc_lo
	v_and_b32_e32 v87, 0x80000000, v90
	v_lshlrev_b32_e32 v86, 21, v86
	v_or3_b32 v86, v87, v79, v86
.LBB6_5233:                             ;   in Loop: Header=BB6_5227 Depth=3
	s_or_b32 exec_lo, exec_lo, s19
	s_waitcnt vmcnt(31) lgkmcnt(31)
	v_cmp_gt_i16_sdwa s16, v22, v59 src0_sel:BYTE_0 src1_sel:DWORD
	s_mov_b32 s19, 0
	s_and_saveexec_b32 s23, s16
	s_xor_b32 s16, exec_lo, s23
	s_cbranch_execz .LBB6_5867
; %bb.5234:                             ;   in Loop: Header=BB6_5227 Depth=3
	v_cmp_eq_u16_sdwa s72, v22, v60 src0_sel:BYTE_0 src1_sel:DWORD
	s_mov_b32 s19, -1
	s_and_saveexec_b32 s23, s72
; %bb.5235:                             ;   in Loop: Header=BB6_5227 Depth=3
	s_xor_b32 s19, exec_lo, -1
; %bb.5236:                             ;   in Loop: Header=BB6_5227 Depth=3
	s_or_b32 exec_lo, exec_lo, s23
	s_and_b32 s19, s19, exec_lo
	s_or_saveexec_b32 s16, s16
	v_mov_b32_e32 v87, 0x7f800001
	s_xor_b32 exec_lo, exec_lo, s16
	s_cbranch_execnz .LBB6_5868
.LBB6_5237:                             ;   in Loop: Header=BB6_5227 Depth=3
	s_or_b32 exec_lo, exec_lo, s16
	s_and_saveexec_b32 s16, s19
	s_cbranch_execz .LBB6_5239
.LBB6_5238:                             ;   in Loop: Header=BB6_5227 Depth=3
	v_and_b32_e32 v87, 3, v22
	v_lshrrev_b16 v90, 2, v22
	v_ffbh_u32_e32 v79, v87
	v_and_b32_e32 v90, 31, v90
	v_min_u32_e32 v79, 32, v79
	v_cmp_eq_u32_e32 vcc_lo, 0, v90
	v_subrev_nc_u32_e32 v108, 29, v79
	v_sub_nc_u32_e32 v79, 30, v79
	v_lshlrev_b32_e32 v108, v108, v22
	v_lshlrev_b32_e32 v22, 24, v22
	v_cndmask_b32_e32 v79, v90, v79, vcc_lo
	v_and_b32_e32 v108, 3, v108
	v_and_b32_e32 v22, 0x80000000, v22
	v_lshl_add_u32 v79, v79, 23, 0x37800000
	v_cndmask_b32_e32 v87, v87, v108, vcc_lo
	v_lshlrev_b32_e32 v87, 21, v87
	v_or3_b32 v87, v22, v79, v87
.LBB6_5239:                             ;   in Loop: Header=BB6_5227 Depth=3
	s_or_b32 exec_lo, exec_lo, s16
	v_mul_f32_e32 v108, v86, v87
	v_and_b32_e32 v22, 0x7f800000, v108
	v_cmp_ne_u32_e32 vcc_lo, 0x7f800000, v22
	v_mov_b32_e32 v22, 0x80
	s_and_saveexec_b32 s19, vcc_lo
	s_cbranch_execz .LBB6_5247
; %bb.5240:                             ;   in Loop: Header=BB6_5227 Depth=3
	v_mov_b32_e32 v22, 0
	s_mov_b32 s23, exec_lo
	v_cmpx_ne_u32_e32 0, v108
	s_cbranch_execz .LBB6_5246
; %bb.5241:                             ;   in Loop: Header=BB6_5227 Depth=3
	v_bfe_u32 v86, v108, 23, 8
	v_and_b32_e32 v22, 0x7fffff, v108
	v_cmp_gt_u32_e64 s16, 0x71, v86
	v_sub_nc_u32_e32 v87, 0x70, v86
	v_cmp_eq_u32_e32 vcc_lo, 0, v86
	v_or_b32_e32 v79, 0x800000, v22
	v_cndmask_b32_e64 v87, 0, v87, s16
	v_cndmask_b32_e32 v22, v79, v22, vcc_lo
	v_cndmask_b32_e64 v87, v87, 0x6f, vcc_lo
	v_lshl_add_u32 v79, 0x200000, v87, -1
	v_lshlrev_b32_e64 v90, v87, 0x100000
	v_and_b32_e32 v79, v79, v22
	v_cmp_eq_u32_e64 s16, v79, v90
	v_lshrrev_b32_e32 v79, v87, v22
	v_add_nc_u32_e32 v22, 0xffffff91, v86
                                        ; implicit-def: $vgpr90
	v_lshrrev_b32_e32 v86, 23, v79
	v_cndmask_b32_e64 v22, v22, 0xffffff92, vcc_lo
	v_xor_b32_e32 v86, 1, v86
	v_add_nc_u32_e32 v22, v87, v22
	v_bfe_u32 v87, v79, 21, 1
	v_add_nc_u32_e32 v87, -1, v87
	v_cndmask_b32_e64 v87, 0, v87, s16
	s_mov_b32 s16, exec_lo
	v_add_nc_u32_e32 v87, v87, v79
	v_and_b32_e32 v87, 0x1fffff, v87
	v_add_nc_u32_e32 v87, v87, v79
	v_cmpx_ne_u32_e64 v22, v86
	s_xor_b32 s16, exec_lo, s16
; %bb.5242:                             ;   in Loop: Header=BB6_5227 Depth=3
	v_cmp_lt_u32_e32 vcc_lo, 0xffffff, v87
	v_sub_nc_u32_e32 v22, v22, v86
	v_cndmask_b32_e64 v86, 0, 1, vcc_lo
	v_add_co_ci_u32_e64 v90, null, 0, v22, vcc_lo
	v_lshrrev_b32_e32 v87, v86, v87
; %bb.5243:                             ;   in Loop: Header=BB6_5227 Depth=3
	s_andn2_saveexec_b32 s16, s16
; %bb.5244:                             ;   in Loop: Header=BB6_5227 Depth=3
	v_bfe_u32 v90, v87, 23, 1
; %bb.5245:                             ;   in Loop: Header=BB6_5227 Depth=3
	s_or_b32 exec_lo, exec_lo, s16
	v_lshrrev_b32_e32 v86, 21, v87
	v_cmp_gt_i32_e32 vcc_lo, 32, v90
	v_min_i32_e32 v87, 31, v90
	v_and_b32_sdwa v22, v108, v60 dst_sel:DWORD dst_unused:UNUSED_PAD src0_sel:BYTE_3 src1_sel:DWORD
	v_cndmask_b32_e32 v86, 3, v86, vcc_lo
	v_lshlrev_b32_e32 v87, 2, v87
	v_or_b32_e32 v79, v90, v86
	v_and_b32_e32 v86, 3, v86
	v_cmp_ne_u32_e32 vcc_lo, 0, v79
	v_or3_b32 v22, v87, v22, v86
	v_cndmask_b32_e32 v22, 0, v22, vcc_lo
.LBB6_5246:                             ;   in Loop: Header=BB6_5227 Depth=3
	s_or_b32 exec_lo, exec_lo, s23
.LBB6_5247:                             ;   in Loop: Header=BB6_5227 Depth=3
	s_or_b32 exec_lo, exec_lo, s19
	v_cmp_gt_i16_sdwa s19, v113, v59 src0_sel:BYTE_0 src1_sel:DWORD
	s_mov_b32 s16, 0
	s_and_saveexec_b32 s23, s19
	s_xor_b32 s19, exec_lo, s23
	s_cbranch_execz .LBB6_5869
; %bb.5248:                             ;   in Loop: Header=BB6_5227 Depth=3
	v_cmp_eq_u16_sdwa s72, v113, v60 src0_sel:BYTE_0 src1_sel:DWORD
	s_mov_b32 s16, -1
	s_and_saveexec_b32 s23, s72
; %bb.5249:                             ;   in Loop: Header=BB6_5227 Depth=3
	s_xor_b32 s16, exec_lo, -1
; %bb.5250:                             ;   in Loop: Header=BB6_5227 Depth=3
	s_or_b32 exec_lo, exec_lo, s23
	s_and_b32 s16, s16, exec_lo
	s_or_saveexec_b32 s19, s19
	v_mov_b32_e32 v86, 0x7f800001
	s_xor_b32 exec_lo, exec_lo, s19
	s_cbranch_execnz .LBB6_5870
.LBB6_5251:                             ;   in Loop: Header=BB6_5227 Depth=3
	s_or_b32 exec_lo, exec_lo, s19
	s_and_saveexec_b32 s19, s16
	s_cbranch_execz .LBB6_5253
.LBB6_5252:                             ;   in Loop: Header=BB6_5227 Depth=3
	v_and_b32_e32 v86, 3, v113
	v_lshrrev_b16 v79, 2, v113
	v_ffbh_u32_e32 v87, v86
	v_and_b32_e32 v79, 31, v79
	v_min_u32_e32 v87, 32, v87
	v_cmp_eq_u32_e32 vcc_lo, 0, v79
	v_subrev_nc_u32_e32 v90, 29, v87
	v_sub_nc_u32_e32 v87, 30, v87
	v_lshlrev_b32_e32 v90, v90, v113
	v_lshlrev_b32_e32 v113, 24, v113
	v_cndmask_b32_e32 v87, v79, v87, vcc_lo
	v_and_b32_e32 v90, 3, v90
	v_and_b32_e32 v113, 0x80000000, v113
	v_lshl_add_u32 v87, v87, 23, 0x37800000
	v_cndmask_b32_e32 v86, v86, v90, vcc_lo
	v_lshlrev_b32_e32 v86, 21, v86
	v_or3_b32 v86, v113, v87, v86
.LBB6_5253:                             ;   in Loop: Header=BB6_5227 Depth=3
	s_or_b32 exec_lo, exec_lo, s19
	s_waitcnt vmcnt(30) lgkmcnt(30)
	v_cmp_gt_i16_sdwa s19, v24, v59 src0_sel:BYTE_0 src1_sel:DWORD
	s_mov_b32 s16, 0
	s_and_saveexec_b32 s23, s19
	s_xor_b32 s19, exec_lo, s23
	s_cbranch_execz .LBB6_5871
; %bb.5254:                             ;   in Loop: Header=BB6_5227 Depth=3
	v_cmp_eq_u16_sdwa s72, v24, v60 src0_sel:BYTE_0 src1_sel:DWORD
	s_mov_b32 s16, -1
	s_and_saveexec_b32 s23, s72
; %bb.5255:                             ;   in Loop: Header=BB6_5227 Depth=3
	s_xor_b32 s16, exec_lo, -1
; %bb.5256:                             ;   in Loop: Header=BB6_5227 Depth=3
	s_or_b32 exec_lo, exec_lo, s23
	s_and_b32 s16, s16, exec_lo
	s_or_saveexec_b32 s19, s19
	v_mov_b32_e32 v87, 0x7f800001
	s_xor_b32 exec_lo, exec_lo, s19
	s_cbranch_execnz .LBB6_5872
.LBB6_5257:                             ;   in Loop: Header=BB6_5227 Depth=3
	s_or_b32 exec_lo, exec_lo, s19
	s_and_saveexec_b32 s19, s16
	s_cbranch_execz .LBB6_5259
.LBB6_5258:                             ;   in Loop: Header=BB6_5227 Depth=3
	v_and_b32_e32 v87, 3, v24
	v_lshrrev_b16 v79, 2, v24
	v_ffbh_u32_e32 v113, v87
	v_and_b32_e32 v79, 31, v79
	v_min_u32_e32 v113, 32, v113
	v_cmp_eq_u32_e32 vcc_lo, 0, v79
	v_subrev_nc_u32_e32 v90, 29, v113
	v_sub_nc_u32_e32 v113, 30, v113
	v_lshlrev_b32_e32 v90, v90, v24
	v_lshlrev_b32_e32 v24, 24, v24
	v_cndmask_b32_e32 v113, v79, v113, vcc_lo
	v_and_b32_e32 v90, 3, v90
	v_and_b32_e32 v24, 0x80000000, v24
	v_lshl_add_u32 v113, v113, 23, 0x37800000
	v_cndmask_b32_e32 v87, v87, v90, vcc_lo
	v_lshlrev_b32_e32 v87, 21, v87
	v_or3_b32 v87, v24, v113, v87
.LBB6_5259:                             ;   in Loop: Header=BB6_5227 Depth=3
	s_or_b32 exec_lo, exec_lo, s19
	v_mul_f32_e32 v113, v86, v87
	v_and_b32_e32 v24, 0x7f800000, v113
	v_cmp_ne_u32_e32 vcc_lo, 0x7f800000, v24
	v_mov_b32_e32 v24, 0x80
	s_and_saveexec_b32 s19, vcc_lo
	s_cbranch_execz .LBB6_5267
; %bb.5260:                             ;   in Loop: Header=BB6_5227 Depth=3
	v_mov_b32_e32 v24, 0
	s_mov_b32 s23, exec_lo
	v_cmpx_ne_u32_e32 0, v113
	s_cbranch_execz .LBB6_5266
; %bb.5261:                             ;   in Loop: Header=BB6_5227 Depth=3
	v_bfe_u32 v86, v113, 23, 8
	v_and_b32_e32 v24, 0x7fffff, v113
	v_cmp_gt_u32_e64 s16, 0x71, v86
	v_sub_nc_u32_e32 v87, 0x70, v86
	v_cmp_eq_u32_e32 vcc_lo, 0, v86
	v_or_b32_e32 v79, 0x800000, v24
	v_cndmask_b32_e64 v87, 0, v87, s16
	v_cndmask_b32_e32 v24, v79, v24, vcc_lo
	v_cndmask_b32_e64 v87, v87, 0x6f, vcc_lo
	v_lshl_add_u32 v79, 0x200000, v87, -1
	v_lshlrev_b32_e64 v90, v87, 0x100000
	v_and_b32_e32 v79, v79, v24
	v_cmp_eq_u32_e64 s16, v79, v90
	v_lshrrev_b32_e32 v79, v87, v24
	v_add_nc_u32_e32 v24, 0xffffff91, v86
                                        ; implicit-def: $vgpr90
	v_lshrrev_b32_e32 v86, 23, v79
	v_cndmask_b32_e64 v24, v24, 0xffffff92, vcc_lo
	v_xor_b32_e32 v86, 1, v86
	v_add_nc_u32_e32 v24, v87, v24
	v_bfe_u32 v87, v79, 21, 1
	v_add_nc_u32_e32 v87, -1, v87
	v_cndmask_b32_e64 v87, 0, v87, s16
	s_mov_b32 s16, exec_lo
	v_add_nc_u32_e32 v87, v87, v79
	v_and_b32_e32 v87, 0x1fffff, v87
	v_add_nc_u32_e32 v87, v87, v79
	v_cmpx_ne_u32_e64 v24, v86
	s_xor_b32 s16, exec_lo, s16
; %bb.5262:                             ;   in Loop: Header=BB6_5227 Depth=3
	v_cmp_lt_u32_e32 vcc_lo, 0xffffff, v87
	v_sub_nc_u32_e32 v24, v24, v86
	v_cndmask_b32_e64 v86, 0, 1, vcc_lo
	v_add_co_ci_u32_e64 v90, null, 0, v24, vcc_lo
	v_lshrrev_b32_e32 v87, v86, v87
; %bb.5263:                             ;   in Loop: Header=BB6_5227 Depth=3
	s_andn2_saveexec_b32 s16, s16
; %bb.5264:                             ;   in Loop: Header=BB6_5227 Depth=3
	v_bfe_u32 v90, v87, 23, 1
; %bb.5265:                             ;   in Loop: Header=BB6_5227 Depth=3
	s_or_b32 exec_lo, exec_lo, s16
	v_lshrrev_b32_e32 v86, 21, v87
	v_cmp_gt_i32_e32 vcc_lo, 32, v90
	v_min_i32_e32 v87, 31, v90
	v_and_b32_sdwa v24, v113, v60 dst_sel:DWORD dst_unused:UNUSED_PAD src0_sel:BYTE_3 src1_sel:DWORD
	v_cndmask_b32_e32 v86, 3, v86, vcc_lo
	v_lshlrev_b32_e32 v87, 2, v87
	v_or_b32_e32 v113, v90, v86
	v_and_b32_e32 v86, 3, v86
	v_cmp_ne_u32_e32 vcc_lo, 0, v113
	v_or3_b32 v24, v87, v24, v86
	v_cndmask_b32_e32 v24, 0, v24, vcc_lo
.LBB6_5266:                             ;   in Loop: Header=BB6_5227 Depth=3
	s_or_b32 exec_lo, exec_lo, s23
.LBB6_5267:                             ;   in Loop: Header=BB6_5227 Depth=3
	s_or_b32 exec_lo, exec_lo, s19
	v_cmp_gt_i16_sdwa s19, v112, v59 src0_sel:BYTE_0 src1_sel:DWORD
	s_mov_b32 s16, 0
	s_and_saveexec_b32 s23, s19
	s_xor_b32 s19, exec_lo, s23
	s_cbranch_execz .LBB6_5873
; %bb.5268:                             ;   in Loop: Header=BB6_5227 Depth=3
	v_cmp_eq_u16_sdwa s72, v112, v60 src0_sel:BYTE_0 src1_sel:DWORD
	s_mov_b32 s16, -1
	s_and_saveexec_b32 s23, s72
; %bb.5269:                             ;   in Loop: Header=BB6_5227 Depth=3
	s_xor_b32 s16, exec_lo, -1
; %bb.5270:                             ;   in Loop: Header=BB6_5227 Depth=3
	s_or_b32 exec_lo, exec_lo, s23
	s_and_b32 s16, s16, exec_lo
	s_or_saveexec_b32 s19, s19
	v_mov_b32_e32 v86, 0x7f800001
	s_xor_b32 exec_lo, exec_lo, s19
	s_cbranch_execnz .LBB6_5874
.LBB6_5271:                             ;   in Loop: Header=BB6_5227 Depth=3
	s_or_b32 exec_lo, exec_lo, s19
	s_and_saveexec_b32 s19, s16
	s_cbranch_execz .LBB6_5273
.LBB6_5272:                             ;   in Loop: Header=BB6_5227 Depth=3
	v_and_b32_e32 v86, 3, v112
	v_lshrrev_b16 v113, 2, v112
	v_ffbh_u32_e32 v87, v86
	v_and_b32_e32 v113, 31, v113
	v_min_u32_e32 v87, 32, v87
	v_cmp_eq_u32_e32 vcc_lo, 0, v113
	v_subrev_nc_u32_e32 v79, 29, v87
	v_sub_nc_u32_e32 v87, 30, v87
	v_lshlrev_b32_e32 v79, v79, v112
	v_lshlrev_b32_e32 v112, 24, v112
	v_cndmask_b32_e32 v87, v113, v87, vcc_lo
	v_and_b32_e32 v79, 3, v79
	v_and_b32_e32 v112, 0x80000000, v112
	v_lshl_add_u32 v87, v87, 23, 0x37800000
	v_cndmask_b32_e32 v86, v86, v79, vcc_lo
	v_lshlrev_b32_e32 v86, 21, v86
	v_or3_b32 v86, v112, v87, v86
.LBB6_5273:                             ;   in Loop: Header=BB6_5227 Depth=3
	s_or_b32 exec_lo, exec_lo, s19
	s_waitcnt vmcnt(29) lgkmcnt(29)
	v_cmp_gt_i16_sdwa s19, v27, v59 src0_sel:BYTE_0 src1_sel:DWORD
	s_mov_b32 s16, 0
	s_and_saveexec_b32 s23, s19
	s_xor_b32 s19, exec_lo, s23
	s_cbranch_execz .LBB6_5875
; %bb.5274:                             ;   in Loop: Header=BB6_5227 Depth=3
	v_cmp_eq_u16_sdwa s72, v27, v60 src0_sel:BYTE_0 src1_sel:DWORD
	s_mov_b32 s16, -1
	s_and_saveexec_b32 s23, s72
; %bb.5275:                             ;   in Loop: Header=BB6_5227 Depth=3
	s_xor_b32 s16, exec_lo, -1
; %bb.5276:                             ;   in Loop: Header=BB6_5227 Depth=3
	s_or_b32 exec_lo, exec_lo, s23
	s_and_b32 s16, s16, exec_lo
	s_or_saveexec_b32 s19, s19
	v_mov_b32_e32 v87, 0x7f800001
	s_xor_b32 exec_lo, exec_lo, s19
	s_cbranch_execnz .LBB6_5876
.LBB6_5277:                             ;   in Loop: Header=BB6_5227 Depth=3
	s_or_b32 exec_lo, exec_lo, s19
	s_and_saveexec_b32 s19, s16
	s_cbranch_execz .LBB6_5279
.LBB6_5278:                             ;   in Loop: Header=BB6_5227 Depth=3
	v_and_b32_e32 v87, 3, v27
	v_lshrrev_b16 v113, 2, v27
	v_ffbh_u32_e32 v112, v87
	v_and_b32_e32 v113, 31, v113
	v_min_u32_e32 v112, 32, v112
	v_cmp_eq_u32_e32 vcc_lo, 0, v113
	v_subrev_nc_u32_e32 v79, 29, v112
	v_sub_nc_u32_e32 v112, 30, v112
	v_lshlrev_b32_e32 v79, v79, v27
	v_lshlrev_b32_e32 v27, 24, v27
	v_cndmask_b32_e32 v112, v113, v112, vcc_lo
	v_and_b32_e32 v79, 3, v79
	v_and_b32_e32 v27, 0x80000000, v27
	v_lshl_add_u32 v112, v112, 23, 0x37800000
	v_cndmask_b32_e32 v87, v87, v79, vcc_lo
	v_lshlrev_b32_e32 v87, 21, v87
	v_or3_b32 v87, v27, v112, v87
.LBB6_5279:                             ;   in Loop: Header=BB6_5227 Depth=3
	s_or_b32 exec_lo, exec_lo, s19
	v_mul_f32_e32 v112, v86, v87
	v_and_b32_e32 v27, 0x7f800000, v112
	v_cmp_ne_u32_e32 vcc_lo, 0x7f800000, v27
	v_mov_b32_e32 v27, 0x80
	s_and_saveexec_b32 s19, vcc_lo
	s_cbranch_execz .LBB6_5287
; %bb.5280:                             ;   in Loop: Header=BB6_5227 Depth=3
	v_mov_b32_e32 v27, 0
	s_mov_b32 s23, exec_lo
	v_cmpx_ne_u32_e32 0, v112
	s_cbranch_execz .LBB6_5286
; %bb.5281:                             ;   in Loop: Header=BB6_5227 Depth=3
	v_bfe_u32 v86, v112, 23, 8
	v_and_b32_e32 v27, 0x7fffff, v112
	v_cmp_gt_u32_e64 s16, 0x71, v86
	v_sub_nc_u32_e32 v87, 0x70, v86
	v_cmp_eq_u32_e32 vcc_lo, 0, v86
	v_or_b32_e32 v113, 0x800000, v27
	v_cndmask_b32_e64 v87, 0, v87, s16
	v_cndmask_b32_e32 v27, v113, v27, vcc_lo
	v_cndmask_b32_e64 v87, v87, 0x6f, vcc_lo
	v_lshl_add_u32 v113, 0x200000, v87, -1
	v_lshlrev_b32_e64 v79, v87, 0x100000
	v_and_b32_e32 v113, v113, v27
	v_cmp_eq_u32_e64 s16, v113, v79
	v_lshrrev_b32_e32 v113, v87, v27
	v_add_nc_u32_e32 v27, 0xffffff91, v86
	v_lshrrev_b32_e32 v86, 23, v113
	v_cndmask_b32_e64 v27, v27, 0xffffff92, vcc_lo
	v_xor_b32_e32 v86, 1, v86
	v_add_nc_u32_e32 v27, v87, v27
	v_bfe_u32 v87, v113, 21, 1
	v_add_nc_u32_e32 v87, -1, v87
	v_cndmask_b32_e64 v87, 0, v87, s16
	s_mov_b32 s16, exec_lo
	v_add_nc_u32_e32 v87, v87, v113
	v_and_b32_e32 v87, 0x1fffff, v87
	v_add_nc_u32_e32 v87, v87, v113
                                        ; implicit-def: $vgpr113
	v_cmpx_ne_u32_e64 v27, v86
	s_xor_b32 s16, exec_lo, s16
; %bb.5282:                             ;   in Loop: Header=BB6_5227 Depth=3
	v_cmp_lt_u32_e32 vcc_lo, 0xffffff, v87
	v_sub_nc_u32_e32 v27, v27, v86
	v_cndmask_b32_e64 v86, 0, 1, vcc_lo
	v_add_co_ci_u32_e64 v113, null, 0, v27, vcc_lo
	v_lshrrev_b32_e32 v87, v86, v87
; %bb.5283:                             ;   in Loop: Header=BB6_5227 Depth=3
	s_andn2_saveexec_b32 s16, s16
; %bb.5284:                             ;   in Loop: Header=BB6_5227 Depth=3
	v_bfe_u32 v113, v87, 23, 1
; %bb.5285:                             ;   in Loop: Header=BB6_5227 Depth=3
	s_or_b32 exec_lo, exec_lo, s16
	v_lshrrev_b32_e32 v86, 21, v87
	v_cmp_gt_i32_e32 vcc_lo, 32, v113
	v_min_i32_e32 v87, 31, v113
	v_and_b32_sdwa v27, v112, v60 dst_sel:DWORD dst_unused:UNUSED_PAD src0_sel:BYTE_3 src1_sel:DWORD
	v_cndmask_b32_e32 v86, 3, v86, vcc_lo
	v_lshlrev_b32_e32 v87, 2, v87
	v_or_b32_e32 v112, v113, v86
	v_and_b32_e32 v86, 3, v86
	v_cmp_ne_u32_e32 vcc_lo, 0, v112
	v_or3_b32 v27, v87, v27, v86
	v_cndmask_b32_e32 v27, 0, v27, vcc_lo
.LBB6_5286:                             ;   in Loop: Header=BB6_5227 Depth=3
	s_or_b32 exec_lo, exec_lo, s23
.LBB6_5287:                             ;   in Loop: Header=BB6_5227 Depth=3
	s_or_b32 exec_lo, exec_lo, s19
	v_cmp_gt_i16_sdwa s19, v18, v59 src0_sel:BYTE_0 src1_sel:DWORD
	s_mov_b32 s16, 0
	s_and_saveexec_b32 s23, s19
	s_xor_b32 s19, exec_lo, s23
	s_cbranch_execz .LBB6_5877
; %bb.5288:                             ;   in Loop: Header=BB6_5227 Depth=3
	v_cmp_eq_u16_sdwa s72, v18, v60 src0_sel:BYTE_0 src1_sel:DWORD
	s_mov_b32 s16, -1
	s_and_saveexec_b32 s23, s72
; %bb.5289:                             ;   in Loop: Header=BB6_5227 Depth=3
	s_xor_b32 s16, exec_lo, -1
; %bb.5290:                             ;   in Loop: Header=BB6_5227 Depth=3
	s_or_b32 exec_lo, exec_lo, s23
	s_and_b32 s16, s16, exec_lo
	s_or_saveexec_b32 s19, s19
	v_mov_b32_e32 v86, 0x7f800001
	s_xor_b32 exec_lo, exec_lo, s19
	s_cbranch_execnz .LBB6_5878
.LBB6_5291:                             ;   in Loop: Header=BB6_5227 Depth=3
	s_or_b32 exec_lo, exec_lo, s19
	s_and_saveexec_b32 s19, s16
	s_cbranch_execz .LBB6_5293
.LBB6_5292:                             ;   in Loop: Header=BB6_5227 Depth=3
	v_and_b32_e32 v86, 3, v18
	v_lshrrev_b16 v112, 2, v18
	v_ffbh_u32_e32 v87, v86
	v_and_b32_e32 v112, 31, v112
	v_min_u32_e32 v87, 32, v87
	v_cmp_eq_u32_e32 vcc_lo, 0, v112
	v_subrev_nc_u32_e32 v113, 29, v87
	v_sub_nc_u32_e32 v87, 30, v87
	v_lshlrev_b32_e32 v113, v113, v18
	v_lshlrev_b32_e32 v18, 24, v18
	v_cndmask_b32_e32 v87, v112, v87, vcc_lo
	v_and_b32_e32 v113, 3, v113
	v_and_b32_e32 v18, 0x80000000, v18
	v_lshl_add_u32 v87, v87, 23, 0x37800000
	v_cndmask_b32_e32 v86, v86, v113, vcc_lo
	v_lshlrev_b32_e32 v86, 21, v86
	v_or3_b32 v86, v18, v87, v86
.LBB6_5293:                             ;   in Loop: Header=BB6_5227 Depth=3
	s_or_b32 exec_lo, exec_lo, s19
	s_waitcnt vmcnt(28) lgkmcnt(28)
	v_cmp_gt_i16_sdwa s19, v30, v59 src0_sel:BYTE_0 src1_sel:DWORD
	s_mov_b32 s16, 0
	s_and_saveexec_b32 s23, s19
	s_xor_b32 s19, exec_lo, s23
	s_cbranch_execz .LBB6_5879
; %bb.5294:                             ;   in Loop: Header=BB6_5227 Depth=3
	v_cmp_eq_u16_sdwa s72, v30, v60 src0_sel:BYTE_0 src1_sel:DWORD
	s_mov_b32 s16, -1
	s_and_saveexec_b32 s23, s72
; %bb.5295:                             ;   in Loop: Header=BB6_5227 Depth=3
	s_xor_b32 s16, exec_lo, -1
; %bb.5296:                             ;   in Loop: Header=BB6_5227 Depth=3
	s_or_b32 exec_lo, exec_lo, s23
	s_and_b32 s16, s16, exec_lo
	s_or_saveexec_b32 s19, s19
	v_mov_b32_e32 v18, 0x7f800001
	s_xor_b32 exec_lo, exec_lo, s19
	s_cbranch_execnz .LBB6_5880
.LBB6_5297:                             ;   in Loop: Header=BB6_5227 Depth=3
	s_or_b32 exec_lo, exec_lo, s19
	s_and_saveexec_b32 s19, s16
	s_cbranch_execz .LBB6_5299
.LBB6_5298:                             ;   in Loop: Header=BB6_5227 Depth=3
	v_and_b32_e32 v18, 3, v30
	v_lshrrev_b16 v112, 2, v30
	v_ffbh_u32_e32 v87, v18
	v_and_b32_e32 v112, 31, v112
	v_min_u32_e32 v87, 32, v87
	v_cmp_eq_u32_e32 vcc_lo, 0, v112
	v_subrev_nc_u32_e32 v113, 29, v87
	v_sub_nc_u32_e32 v87, 30, v87
	v_lshlrev_b32_e32 v113, v113, v30
	v_lshlrev_b32_e32 v30, 24, v30
	v_cndmask_b32_e32 v87, v112, v87, vcc_lo
	v_and_b32_e32 v113, 3, v113
	v_and_b32_e32 v30, 0x80000000, v30
	v_lshl_add_u32 v87, v87, 23, 0x37800000
	v_cndmask_b32_e32 v18, v18, v113, vcc_lo
	v_lshlrev_b32_e32 v18, 21, v18
	v_or3_b32 v18, v30, v87, v18
.LBB6_5299:                             ;   in Loop: Header=BB6_5227 Depth=3
	s_or_b32 exec_lo, exec_lo, s19
	v_mul_f32_e32 v18, v86, v18
	v_and_b32_e32 v30, 0x7f800000, v18
	v_cmp_ne_u32_e32 vcc_lo, 0x7f800000, v30
	v_mov_b32_e32 v30, 0x80
	s_and_saveexec_b32 s19, vcc_lo
	s_cbranch_execz .LBB6_5307
; %bb.5300:                             ;   in Loop: Header=BB6_5227 Depth=3
	v_mov_b32_e32 v30, 0
	s_mov_b32 s23, exec_lo
	v_cmpx_ne_u32_e32 0, v18
	s_cbranch_execz .LBB6_5306
; %bb.5301:                             ;   in Loop: Header=BB6_5227 Depth=3
	v_bfe_u32 v86, v18, 23, 8
	v_and_b32_e32 v30, 0x7fffff, v18
	v_cmp_gt_u32_e64 s16, 0x71, v86
	v_sub_nc_u32_e32 v87, 0x70, v86
	v_cmp_eq_u32_e32 vcc_lo, 0, v86
	v_or_b32_e32 v112, 0x800000, v30
	v_cndmask_b32_e64 v87, 0, v87, s16
	v_cndmask_b32_e32 v30, v112, v30, vcc_lo
	v_cndmask_b32_e64 v87, v87, 0x6f, vcc_lo
	v_lshl_add_u32 v112, 0x200000, v87, -1
	v_lshlrev_b32_e64 v113, v87, 0x100000
	v_and_b32_e32 v112, v112, v30
	v_cmp_eq_u32_e64 s16, v112, v113
	v_lshrrev_b32_e32 v112, v87, v30
	v_add_nc_u32_e32 v30, 0xffffff91, v86
	v_lshrrev_b32_e32 v86, 23, v112
	v_cndmask_b32_e64 v30, v30, 0xffffff92, vcc_lo
	v_xor_b32_e32 v86, 1, v86
	v_add_nc_u32_e32 v30, v87, v30
	v_bfe_u32 v87, v112, 21, 1
	v_add_nc_u32_e32 v87, -1, v87
	v_cndmask_b32_e64 v87, 0, v87, s16
	s_mov_b32 s16, exec_lo
	v_add_nc_u32_e32 v87, v87, v112
	v_and_b32_e32 v87, 0x1fffff, v87
	v_add_nc_u32_e32 v87, v87, v112
                                        ; implicit-def: $vgpr112
	v_cmpx_ne_u32_e64 v30, v86
	s_xor_b32 s16, exec_lo, s16
; %bb.5302:                             ;   in Loop: Header=BB6_5227 Depth=3
	v_cmp_lt_u32_e32 vcc_lo, 0xffffff, v87
	v_sub_nc_u32_e32 v30, v30, v86
	v_cndmask_b32_e64 v86, 0, 1, vcc_lo
	v_add_co_ci_u32_e64 v112, null, 0, v30, vcc_lo
	v_lshrrev_b32_e32 v87, v86, v87
; %bb.5303:                             ;   in Loop: Header=BB6_5227 Depth=3
	s_andn2_saveexec_b32 s16, s16
; %bb.5304:                             ;   in Loop: Header=BB6_5227 Depth=3
	v_bfe_u32 v112, v87, 23, 1
; %bb.5305:                             ;   in Loop: Header=BB6_5227 Depth=3
	s_or_b32 exec_lo, exec_lo, s16
	v_lshrrev_b32_e32 v30, 21, v87
	v_cmp_gt_i32_e32 vcc_lo, 32, v112
	v_min_i32_e32 v86, 31, v112
	v_and_b32_sdwa v18, v18, v60 dst_sel:DWORD dst_unused:UNUSED_PAD src0_sel:BYTE_3 src1_sel:DWORD
	v_cndmask_b32_e32 v30, 3, v30, vcc_lo
	v_lshlrev_b32_e32 v86, 2, v86
	v_or_b32_e32 v87, v112, v30
	v_and_b32_e32 v30, 3, v30
	v_cmp_ne_u32_e32 vcc_lo, 0, v87
	v_or3_b32 v18, v86, v18, v30
	v_cndmask_b32_e32 v30, 0, v18, vcc_lo
.LBB6_5306:                             ;   in Loop: Header=BB6_5227 Depth=3
	s_or_b32 exec_lo, exec_lo, s23
.LBB6_5307:                             ;   in Loop: Header=BB6_5227 Depth=3
	s_or_b32 exec_lo, exec_lo, s19
	v_cmp_gt_i16_sdwa s19, v58, v59 src0_sel:BYTE_0 src1_sel:DWORD
	s_mov_b32 s16, 0
	s_and_saveexec_b32 s23, s19
	s_xor_b32 s19, exec_lo, s23
	s_cbranch_execz .LBB6_5881
; %bb.5308:                             ;   in Loop: Header=BB6_5227 Depth=3
	v_cmp_eq_u16_sdwa s72, v58, v60 src0_sel:BYTE_0 src1_sel:DWORD
	s_mov_b32 s16, -1
	s_and_saveexec_b32 s23, s72
; %bb.5309:                             ;   in Loop: Header=BB6_5227 Depth=3
	s_xor_b32 s16, exec_lo, -1
; %bb.5310:                             ;   in Loop: Header=BB6_5227 Depth=3
	s_or_b32 exec_lo, exec_lo, s23
	s_and_b32 s16, s16, exec_lo
	s_or_saveexec_b32 s19, s19
	v_mov_b32_e32 v18, 0x7f800001
	s_xor_b32 exec_lo, exec_lo, s19
	s_cbranch_execnz .LBB6_5882
.LBB6_5311:                             ;   in Loop: Header=BB6_5227 Depth=3
	s_or_b32 exec_lo, exec_lo, s19
	s_and_saveexec_b32 s19, s16
	s_cbranch_execz .LBB6_5313
.LBB6_5312:                             ;   in Loop: Header=BB6_5227 Depth=3
	v_and_b32_e32 v18, 3, v58
	v_lshrrev_b16 v87, 2, v58
	v_lshlrev_b32_e32 v113, 24, v58
	v_ffbh_u32_e32 v86, v18
	v_and_b32_e32 v87, 31, v87
	v_min_u32_e32 v86, 32, v86
	v_cmp_eq_u32_e32 vcc_lo, 0, v87
	v_subrev_nc_u32_e32 v112, 29, v86
	v_sub_nc_u32_e32 v86, 30, v86
	v_lshlrev_b32_e32 v112, v112, v58
	v_cndmask_b32_e32 v86, v87, v86, vcc_lo
	v_and_b32_e32 v87, 0x80000000, v113
	v_and_b32_e32 v112, 3, v112
	v_lshl_add_u32 v86, v86, 23, 0x37800000
	v_cndmask_b32_e32 v18, v18, v112, vcc_lo
	v_lshlrev_b32_e32 v18, 21, v18
	v_or3_b32 v18, v87, v86, v18
.LBB6_5313:                             ;   in Loop: Header=BB6_5227 Depth=3
	s_or_b32 exec_lo, exec_lo, s19
	s_waitcnt vmcnt(27) lgkmcnt(27)
	v_cmp_gt_i16_sdwa s19, v33, v59 src0_sel:BYTE_0 src1_sel:DWORD
	s_mov_b32 s16, 0
	s_and_saveexec_b32 s23, s19
	s_xor_b32 s19, exec_lo, s23
	s_cbranch_execz .LBB6_5883
; %bb.5314:                             ;   in Loop: Header=BB6_5227 Depth=3
	v_cmp_eq_u16_sdwa s72, v33, v60 src0_sel:BYTE_0 src1_sel:DWORD
	s_mov_b32 s16, -1
	s_and_saveexec_b32 s23, s72
; %bb.5315:                             ;   in Loop: Header=BB6_5227 Depth=3
	s_xor_b32 s16, exec_lo, -1
; %bb.5316:                             ;   in Loop: Header=BB6_5227 Depth=3
	s_or_b32 exec_lo, exec_lo, s23
	s_and_b32 s16, s16, exec_lo
	s_or_saveexec_b32 s19, s19
	v_mov_b32_e32 v86, 0x7f800001
	s_xor_b32 exec_lo, exec_lo, s19
	s_cbranch_execnz .LBB6_5884
.LBB6_5317:                             ;   in Loop: Header=BB6_5227 Depth=3
	s_or_b32 exec_lo, exec_lo, s19
	s_and_saveexec_b32 s19, s16
	s_cbranch_execz .LBB6_5319
.LBB6_5318:                             ;   in Loop: Header=BB6_5227 Depth=3
	v_and_b32_e32 v86, 3, v33
	v_lshrrev_b16 v112, 2, v33
	v_ffbh_u32_e32 v87, v86
	v_and_b32_e32 v112, 31, v112
	v_min_u32_e32 v87, 32, v87
	v_cmp_eq_u32_e32 vcc_lo, 0, v112
	v_subrev_nc_u32_e32 v113, 29, v87
	v_sub_nc_u32_e32 v87, 30, v87
	v_lshlrev_b32_e32 v113, v113, v33
	v_lshlrev_b32_e32 v33, 24, v33
	v_cndmask_b32_e32 v87, v112, v87, vcc_lo
	v_and_b32_e32 v113, 3, v113
	v_and_b32_e32 v33, 0x80000000, v33
	v_lshl_add_u32 v87, v87, 23, 0x37800000
	v_cndmask_b32_e32 v86, v86, v113, vcc_lo
	v_lshlrev_b32_e32 v86, 21, v86
	v_or3_b32 v86, v33, v87, v86
.LBB6_5319:                             ;   in Loop: Header=BB6_5227 Depth=3
	s_or_b32 exec_lo, exec_lo, s19
	v_mul_f32_e32 v18, v18, v86
	v_and_b32_e32 v33, 0x7f800000, v18
	v_cmp_ne_u32_e32 vcc_lo, 0x7f800000, v33
	v_mov_b32_e32 v33, 0x80
	s_and_saveexec_b32 s19, vcc_lo
	s_cbranch_execz .LBB6_5327
; %bb.5320:                             ;   in Loop: Header=BB6_5227 Depth=3
	v_mov_b32_e32 v33, 0
	s_mov_b32 s23, exec_lo
	v_cmpx_ne_u32_e32 0, v18
	s_cbranch_execz .LBB6_5326
; %bb.5321:                             ;   in Loop: Header=BB6_5227 Depth=3
	v_bfe_u32 v86, v18, 23, 8
	v_and_b32_e32 v33, 0x7fffff, v18
	v_cmp_gt_u32_e64 s16, 0x71, v86
	v_sub_nc_u32_e32 v87, 0x70, v86
	v_cmp_eq_u32_e32 vcc_lo, 0, v86
	v_or_b32_e32 v112, 0x800000, v33
	v_cndmask_b32_e64 v87, 0, v87, s16
	v_cndmask_b32_e32 v33, v112, v33, vcc_lo
	v_cndmask_b32_e64 v87, v87, 0x6f, vcc_lo
	v_lshl_add_u32 v112, 0x200000, v87, -1
	v_lshlrev_b32_e64 v113, v87, 0x100000
	v_and_b32_e32 v112, v112, v33
	v_cmp_eq_u32_e64 s16, v112, v113
	v_lshrrev_b32_e32 v112, v87, v33
	v_add_nc_u32_e32 v33, 0xffffff91, v86
	v_lshrrev_b32_e32 v86, 23, v112
	v_cndmask_b32_e64 v33, v33, 0xffffff92, vcc_lo
	v_xor_b32_e32 v86, 1, v86
	v_add_nc_u32_e32 v33, v87, v33
	v_bfe_u32 v87, v112, 21, 1
	v_add_nc_u32_e32 v87, -1, v87
	v_cndmask_b32_e64 v87, 0, v87, s16
	s_mov_b32 s16, exec_lo
	v_add_nc_u32_e32 v87, v87, v112
	v_and_b32_e32 v87, 0x1fffff, v87
	v_add_nc_u32_e32 v87, v87, v112
                                        ; implicit-def: $vgpr112
	v_cmpx_ne_u32_e64 v33, v86
	s_xor_b32 s16, exec_lo, s16
; %bb.5322:                             ;   in Loop: Header=BB6_5227 Depth=3
	v_cmp_lt_u32_e32 vcc_lo, 0xffffff, v87
	v_sub_nc_u32_e32 v33, v33, v86
	v_cndmask_b32_e64 v86, 0, 1, vcc_lo
	v_add_co_ci_u32_e64 v112, null, 0, v33, vcc_lo
	v_lshrrev_b32_e32 v87, v86, v87
; %bb.5323:                             ;   in Loop: Header=BB6_5227 Depth=3
	s_andn2_saveexec_b32 s16, s16
; %bb.5324:                             ;   in Loop: Header=BB6_5227 Depth=3
	v_bfe_u32 v112, v87, 23, 1
; %bb.5325:                             ;   in Loop: Header=BB6_5227 Depth=3
	s_or_b32 exec_lo, exec_lo, s16
	v_lshrrev_b32_e32 v33, 21, v87
	v_cmp_gt_i32_e32 vcc_lo, 32, v112
	v_min_i32_e32 v86, 31, v112
	v_and_b32_sdwa v18, v18, v60 dst_sel:DWORD dst_unused:UNUSED_PAD src0_sel:BYTE_3 src1_sel:DWORD
	v_cndmask_b32_e32 v33, 3, v33, vcc_lo
	v_lshlrev_b32_e32 v86, 2, v86
	v_or_b32_e32 v87, v112, v33
	v_and_b32_e32 v33, 3, v33
	v_cmp_ne_u32_e32 vcc_lo, 0, v87
	v_or3_b32 v18, v86, v18, v33
	v_cndmask_b32_e32 v33, 0, v18, vcc_lo
.LBB6_5326:                             ;   in Loop: Header=BB6_5227 Depth=3
	s_or_b32 exec_lo, exec_lo, s23
.LBB6_5327:                             ;   in Loop: Header=BB6_5227 Depth=3
	s_or_b32 exec_lo, exec_lo, s19
	v_cmp_gt_i16_sdwa s19, v126, v59 src0_sel:BYTE_0 src1_sel:DWORD
	s_mov_b32 s16, 0
	s_and_saveexec_b32 s23, s19
	s_xor_b32 s19, exec_lo, s23
	s_cbranch_execz .LBB6_5885
; %bb.5328:                             ;   in Loop: Header=BB6_5227 Depth=3
	v_cmp_eq_u16_sdwa s72, v126, v60 src0_sel:BYTE_0 src1_sel:DWORD
	s_mov_b32 s16, -1
	s_and_saveexec_b32 s23, s72
; %bb.5329:                             ;   in Loop: Header=BB6_5227 Depth=3
	s_xor_b32 s16, exec_lo, -1
; %bb.5330:                             ;   in Loop: Header=BB6_5227 Depth=3
	s_or_b32 exec_lo, exec_lo, s23
	s_and_b32 s16, s16, exec_lo
	s_or_saveexec_b32 s19, s19
	v_mov_b32_e32 v18, 0x7f800001
	s_xor_b32 exec_lo, exec_lo, s19
	s_cbranch_execnz .LBB6_5886
.LBB6_5331:                             ;   in Loop: Header=BB6_5227 Depth=3
	s_or_b32 exec_lo, exec_lo, s19
	s_and_saveexec_b32 s19, s16
	s_cbranch_execz .LBB6_5333
.LBB6_5332:                             ;   in Loop: Header=BB6_5227 Depth=3
	v_and_b32_e32 v18, 3, v126
	v_lshrrev_b16 v87, 2, v126
	v_lshlrev_b32_e32 v113, 24, v126
	v_ffbh_u32_e32 v86, v18
	v_and_b32_e32 v87, 31, v87
	v_min_u32_e32 v86, 32, v86
	v_cmp_eq_u32_e32 vcc_lo, 0, v87
	v_subrev_nc_u32_e32 v112, 29, v86
	v_sub_nc_u32_e32 v86, 30, v86
	v_lshlrev_b32_e32 v112, v112, v126
	v_cndmask_b32_e32 v86, v87, v86, vcc_lo
	v_and_b32_e32 v87, 0x80000000, v113
	v_and_b32_e32 v112, 3, v112
	v_lshl_add_u32 v86, v86, 23, 0x37800000
	v_cndmask_b32_e32 v18, v18, v112, vcc_lo
	v_lshlrev_b32_e32 v18, 21, v18
	v_or3_b32 v18, v87, v86, v18
.LBB6_5333:                             ;   in Loop: Header=BB6_5227 Depth=3
	s_or_b32 exec_lo, exec_lo, s19
	s_waitcnt vmcnt(26) lgkmcnt(26)
	v_cmp_gt_i16_sdwa s19, v36, v59 src0_sel:BYTE_0 src1_sel:DWORD
	s_mov_b32 s16, 0
	s_and_saveexec_b32 s23, s19
	s_xor_b32 s19, exec_lo, s23
	s_cbranch_execz .LBB6_5887
; %bb.5334:                             ;   in Loop: Header=BB6_5227 Depth=3
	v_cmp_eq_u16_sdwa s72, v36, v60 src0_sel:BYTE_0 src1_sel:DWORD
	s_mov_b32 s16, -1
	s_and_saveexec_b32 s23, s72
; %bb.5335:                             ;   in Loop: Header=BB6_5227 Depth=3
	s_xor_b32 s16, exec_lo, -1
; %bb.5336:                             ;   in Loop: Header=BB6_5227 Depth=3
	s_or_b32 exec_lo, exec_lo, s23
	s_and_b32 s16, s16, exec_lo
	s_or_saveexec_b32 s19, s19
	v_mov_b32_e32 v86, 0x7f800001
	s_xor_b32 exec_lo, exec_lo, s19
	s_cbranch_execnz .LBB6_5888
.LBB6_5337:                             ;   in Loop: Header=BB6_5227 Depth=3
	s_or_b32 exec_lo, exec_lo, s19
	s_and_saveexec_b32 s19, s16
	s_cbranch_execz .LBB6_5339
.LBB6_5338:                             ;   in Loop: Header=BB6_5227 Depth=3
	v_and_b32_e32 v86, 3, v36
	v_lshrrev_b16 v112, 2, v36
	v_ffbh_u32_e32 v87, v86
	v_and_b32_e32 v112, 31, v112
	v_min_u32_e32 v87, 32, v87
	v_cmp_eq_u32_e32 vcc_lo, 0, v112
	v_subrev_nc_u32_e32 v113, 29, v87
	v_sub_nc_u32_e32 v87, 30, v87
	v_lshlrev_b32_e32 v113, v113, v36
	v_lshlrev_b32_e32 v36, 24, v36
	v_cndmask_b32_e32 v87, v112, v87, vcc_lo
	v_and_b32_e32 v113, 3, v113
	v_and_b32_e32 v36, 0x80000000, v36
	v_lshl_add_u32 v87, v87, 23, 0x37800000
	v_cndmask_b32_e32 v86, v86, v113, vcc_lo
	v_lshlrev_b32_e32 v86, 21, v86
	v_or3_b32 v86, v36, v87, v86
.LBB6_5339:                             ;   in Loop: Header=BB6_5227 Depth=3
	s_or_b32 exec_lo, exec_lo, s19
	v_mul_f32_e32 v18, v18, v86
	v_and_b32_e32 v36, 0x7f800000, v18
	v_cmp_ne_u32_e32 vcc_lo, 0x7f800000, v36
	v_mov_b32_e32 v36, 0x80
	s_and_saveexec_b32 s19, vcc_lo
	s_cbranch_execz .LBB6_5347
; %bb.5340:                             ;   in Loop: Header=BB6_5227 Depth=3
	v_mov_b32_e32 v36, 0
	s_mov_b32 s23, exec_lo
	v_cmpx_ne_u32_e32 0, v18
	s_cbranch_execz .LBB6_5346
; %bb.5341:                             ;   in Loop: Header=BB6_5227 Depth=3
	v_bfe_u32 v86, v18, 23, 8
	v_and_b32_e32 v36, 0x7fffff, v18
	v_cmp_gt_u32_e64 s16, 0x71, v86
	v_sub_nc_u32_e32 v87, 0x70, v86
	v_cmp_eq_u32_e32 vcc_lo, 0, v86
	v_or_b32_e32 v112, 0x800000, v36
	v_cndmask_b32_e64 v87, 0, v87, s16
	v_cndmask_b32_e32 v36, v112, v36, vcc_lo
	v_cndmask_b32_e64 v87, v87, 0x6f, vcc_lo
	v_lshl_add_u32 v112, 0x200000, v87, -1
	v_lshlrev_b32_e64 v113, v87, 0x100000
	v_and_b32_e32 v112, v112, v36
	v_cmp_eq_u32_e64 s16, v112, v113
	v_lshrrev_b32_e32 v112, v87, v36
	v_add_nc_u32_e32 v36, 0xffffff91, v86
	v_lshrrev_b32_e32 v86, 23, v112
	v_cndmask_b32_e64 v36, v36, 0xffffff92, vcc_lo
	v_xor_b32_e32 v86, 1, v86
	v_add_nc_u32_e32 v36, v87, v36
	v_bfe_u32 v87, v112, 21, 1
	v_add_nc_u32_e32 v87, -1, v87
	v_cndmask_b32_e64 v87, 0, v87, s16
	s_mov_b32 s16, exec_lo
	v_add_nc_u32_e32 v87, v87, v112
	v_and_b32_e32 v87, 0x1fffff, v87
	v_add_nc_u32_e32 v87, v87, v112
                                        ; implicit-def: $vgpr112
	v_cmpx_ne_u32_e64 v36, v86
	s_xor_b32 s16, exec_lo, s16
; %bb.5342:                             ;   in Loop: Header=BB6_5227 Depth=3
	v_cmp_lt_u32_e32 vcc_lo, 0xffffff, v87
	v_sub_nc_u32_e32 v36, v36, v86
	v_cndmask_b32_e64 v86, 0, 1, vcc_lo
	v_add_co_ci_u32_e64 v112, null, 0, v36, vcc_lo
	v_lshrrev_b32_e32 v87, v86, v87
; %bb.5343:                             ;   in Loop: Header=BB6_5227 Depth=3
	s_andn2_saveexec_b32 s16, s16
; %bb.5344:                             ;   in Loop: Header=BB6_5227 Depth=3
	v_bfe_u32 v112, v87, 23, 1
; %bb.5345:                             ;   in Loop: Header=BB6_5227 Depth=3
	s_or_b32 exec_lo, exec_lo, s16
	v_lshrrev_b32_e32 v36, 21, v87
	v_cmp_gt_i32_e32 vcc_lo, 32, v112
	v_min_i32_e32 v86, 31, v112
	v_and_b32_sdwa v18, v18, v60 dst_sel:DWORD dst_unused:UNUSED_PAD src0_sel:BYTE_3 src1_sel:DWORD
	v_cndmask_b32_e32 v36, 3, v36, vcc_lo
	v_lshlrev_b32_e32 v86, 2, v86
	v_or_b32_e32 v87, v112, v36
	v_and_b32_e32 v36, 3, v36
	v_cmp_ne_u32_e32 vcc_lo, 0, v87
	v_or3_b32 v18, v86, v18, v36
	v_cndmask_b32_e32 v36, 0, v18, vcc_lo
.LBB6_5346:                             ;   in Loop: Header=BB6_5227 Depth=3
	s_or_b32 exec_lo, exec_lo, s23
.LBB6_5347:                             ;   in Loop: Header=BB6_5227 Depth=3
	s_or_b32 exec_lo, exec_lo, s19
	v_cmp_gt_i16_sdwa s19, v46, v59 src0_sel:BYTE_0 src1_sel:DWORD
	s_mov_b32 s16, 0
	s_and_saveexec_b32 s23, s19
	s_xor_b32 s19, exec_lo, s23
	s_cbranch_execz .LBB6_5889
; %bb.5348:                             ;   in Loop: Header=BB6_5227 Depth=3
	v_cmp_eq_u16_sdwa s72, v46, v60 src0_sel:BYTE_0 src1_sel:DWORD
	s_mov_b32 s16, -1
	s_and_saveexec_b32 s23, s72
; %bb.5349:                             ;   in Loop: Header=BB6_5227 Depth=3
	s_xor_b32 s16, exec_lo, -1
; %bb.5350:                             ;   in Loop: Header=BB6_5227 Depth=3
	s_or_b32 exec_lo, exec_lo, s23
	s_and_b32 s16, s16, exec_lo
	s_or_saveexec_b32 s19, s19
	v_mov_b32_e32 v18, 0x7f800001
	s_xor_b32 exec_lo, exec_lo, s19
	s_cbranch_execnz .LBB6_5890
.LBB6_5351:                             ;   in Loop: Header=BB6_5227 Depth=3
	s_or_b32 exec_lo, exec_lo, s19
	s_and_saveexec_b32 s19, s16
	s_cbranch_execz .LBB6_5353
.LBB6_5352:                             ;   in Loop: Header=BB6_5227 Depth=3
	v_and_b32_e32 v18, 3, v46
	v_lshrrev_b16 v87, 2, v46
	v_lshlrev_b32_e32 v113, 24, v46
	v_ffbh_u32_e32 v86, v18
	v_and_b32_e32 v87, 31, v87
	v_min_u32_e32 v86, 32, v86
	v_cmp_eq_u32_e32 vcc_lo, 0, v87
	v_subrev_nc_u32_e32 v112, 29, v86
	v_sub_nc_u32_e32 v86, 30, v86
	v_lshlrev_b32_e32 v112, v112, v46
	v_cndmask_b32_e32 v86, v87, v86, vcc_lo
	v_and_b32_e32 v87, 0x80000000, v113
	v_and_b32_e32 v112, 3, v112
	v_lshl_add_u32 v86, v86, 23, 0x37800000
	v_cndmask_b32_e32 v18, v18, v112, vcc_lo
	v_lshlrev_b32_e32 v18, 21, v18
	v_or3_b32 v18, v87, v86, v18
.LBB6_5353:                             ;   in Loop: Header=BB6_5227 Depth=3
	s_or_b32 exec_lo, exec_lo, s19
	s_waitcnt vmcnt(25) lgkmcnt(25)
	v_cmp_gt_i16_sdwa s19, v39, v59 src0_sel:BYTE_0 src1_sel:DWORD
	s_mov_b32 s16, 0
	s_and_saveexec_b32 s23, s19
	s_xor_b32 s19, exec_lo, s23
	s_cbranch_execz .LBB6_5891
; %bb.5354:                             ;   in Loop: Header=BB6_5227 Depth=3
	v_cmp_eq_u16_sdwa s72, v39, v60 src0_sel:BYTE_0 src1_sel:DWORD
	s_mov_b32 s16, -1
	s_and_saveexec_b32 s23, s72
; %bb.5355:                             ;   in Loop: Header=BB6_5227 Depth=3
	s_xor_b32 s16, exec_lo, -1
; %bb.5356:                             ;   in Loop: Header=BB6_5227 Depth=3
	s_or_b32 exec_lo, exec_lo, s23
	s_and_b32 s16, s16, exec_lo
	s_or_saveexec_b32 s19, s19
	v_mov_b32_e32 v86, 0x7f800001
	s_xor_b32 exec_lo, exec_lo, s19
	s_cbranch_execnz .LBB6_5892
.LBB6_5357:                             ;   in Loop: Header=BB6_5227 Depth=3
	s_or_b32 exec_lo, exec_lo, s19
	s_and_saveexec_b32 s19, s16
	s_cbranch_execz .LBB6_5359
.LBB6_5358:                             ;   in Loop: Header=BB6_5227 Depth=3
	v_and_b32_e32 v86, 3, v39
	v_lshrrev_b16 v112, 2, v39
	v_ffbh_u32_e32 v87, v86
	v_and_b32_e32 v112, 31, v112
	v_min_u32_e32 v87, 32, v87
	v_cmp_eq_u32_e32 vcc_lo, 0, v112
	v_subrev_nc_u32_e32 v113, 29, v87
	v_sub_nc_u32_e32 v87, 30, v87
	v_lshlrev_b32_e32 v113, v113, v39
	v_lshlrev_b32_e32 v39, 24, v39
	v_cndmask_b32_e32 v87, v112, v87, vcc_lo
	v_and_b32_e32 v113, 3, v113
	v_and_b32_e32 v39, 0x80000000, v39
	v_lshl_add_u32 v87, v87, 23, 0x37800000
	v_cndmask_b32_e32 v86, v86, v113, vcc_lo
	v_lshlrev_b32_e32 v86, 21, v86
	v_or3_b32 v86, v39, v87, v86
.LBB6_5359:                             ;   in Loop: Header=BB6_5227 Depth=3
	s_or_b32 exec_lo, exec_lo, s19
	v_mul_f32_e32 v18, v18, v86
	v_and_b32_e32 v39, 0x7f800000, v18
	v_cmp_ne_u32_e32 vcc_lo, 0x7f800000, v39
	v_mov_b32_e32 v39, 0x80
	s_and_saveexec_b32 s19, vcc_lo
	s_cbranch_execz .LBB6_5367
; %bb.5360:                             ;   in Loop: Header=BB6_5227 Depth=3
	v_mov_b32_e32 v39, 0
	s_mov_b32 s23, exec_lo
	v_cmpx_ne_u32_e32 0, v18
	s_cbranch_execz .LBB6_5366
; %bb.5361:                             ;   in Loop: Header=BB6_5227 Depth=3
	v_bfe_u32 v86, v18, 23, 8
	v_and_b32_e32 v39, 0x7fffff, v18
	v_cmp_gt_u32_e64 s16, 0x71, v86
	v_sub_nc_u32_e32 v87, 0x70, v86
	v_cmp_eq_u32_e32 vcc_lo, 0, v86
	v_or_b32_e32 v112, 0x800000, v39
	v_cndmask_b32_e64 v87, 0, v87, s16
	v_cndmask_b32_e32 v39, v112, v39, vcc_lo
	v_cndmask_b32_e64 v87, v87, 0x6f, vcc_lo
	v_lshl_add_u32 v112, 0x200000, v87, -1
	v_lshlrev_b32_e64 v113, v87, 0x100000
	v_and_b32_e32 v112, v112, v39
	v_cmp_eq_u32_e64 s16, v112, v113
	v_lshrrev_b32_e32 v112, v87, v39
	v_add_nc_u32_e32 v39, 0xffffff91, v86
	v_lshrrev_b32_e32 v86, 23, v112
	v_cndmask_b32_e64 v39, v39, 0xffffff92, vcc_lo
	v_xor_b32_e32 v86, 1, v86
	v_add_nc_u32_e32 v39, v87, v39
	v_bfe_u32 v87, v112, 21, 1
	v_add_nc_u32_e32 v87, -1, v87
	v_cndmask_b32_e64 v87, 0, v87, s16
	s_mov_b32 s16, exec_lo
	v_add_nc_u32_e32 v87, v87, v112
	v_and_b32_e32 v87, 0x1fffff, v87
	v_add_nc_u32_e32 v87, v87, v112
                                        ; implicit-def: $vgpr112
	v_cmpx_ne_u32_e64 v39, v86
	s_xor_b32 s16, exec_lo, s16
; %bb.5362:                             ;   in Loop: Header=BB6_5227 Depth=3
	v_cmp_lt_u32_e32 vcc_lo, 0xffffff, v87
	v_sub_nc_u32_e32 v39, v39, v86
	v_cndmask_b32_e64 v86, 0, 1, vcc_lo
	v_add_co_ci_u32_e64 v112, null, 0, v39, vcc_lo
	v_lshrrev_b32_e32 v87, v86, v87
; %bb.5363:                             ;   in Loop: Header=BB6_5227 Depth=3
	s_andn2_saveexec_b32 s16, s16
; %bb.5364:                             ;   in Loop: Header=BB6_5227 Depth=3
	v_bfe_u32 v112, v87, 23, 1
; %bb.5365:                             ;   in Loop: Header=BB6_5227 Depth=3
	s_or_b32 exec_lo, exec_lo, s16
	v_lshrrev_b32_e32 v39, 21, v87
	v_cmp_gt_i32_e32 vcc_lo, 32, v112
	v_min_i32_e32 v86, 31, v112
	v_and_b32_sdwa v18, v18, v60 dst_sel:DWORD dst_unused:UNUSED_PAD src0_sel:BYTE_3 src1_sel:DWORD
	v_cndmask_b32_e32 v39, 3, v39, vcc_lo
	v_lshlrev_b32_e32 v86, 2, v86
	v_or_b32_e32 v87, v112, v39
	v_and_b32_e32 v39, 3, v39
	v_cmp_ne_u32_e32 vcc_lo, 0, v87
	v_or3_b32 v18, v86, v18, v39
	v_cndmask_b32_e32 v39, 0, v18, vcc_lo
.LBB6_5366:                             ;   in Loop: Header=BB6_5227 Depth=3
	s_or_b32 exec_lo, exec_lo, s23
.LBB6_5367:                             ;   in Loop: Header=BB6_5227 Depth=3
	s_or_b32 exec_lo, exec_lo, s19
	v_cmp_gt_i16_sdwa s19, v125, v59 src0_sel:BYTE_0 src1_sel:DWORD
	s_mov_b32 s16, 0
	s_and_saveexec_b32 s23, s19
	s_xor_b32 s19, exec_lo, s23
	s_cbranch_execz .LBB6_5893
; %bb.5368:                             ;   in Loop: Header=BB6_5227 Depth=3
	v_cmp_eq_u16_sdwa s72, v125, v60 src0_sel:BYTE_0 src1_sel:DWORD
	s_mov_b32 s16, -1
	s_and_saveexec_b32 s23, s72
; %bb.5369:                             ;   in Loop: Header=BB6_5227 Depth=3
	s_xor_b32 s16, exec_lo, -1
; %bb.5370:                             ;   in Loop: Header=BB6_5227 Depth=3
	s_or_b32 exec_lo, exec_lo, s23
	s_and_b32 s16, s16, exec_lo
	s_or_saveexec_b32 s19, s19
	v_mov_b32_e32 v18, 0x7f800001
	s_xor_b32 exec_lo, exec_lo, s19
	s_cbranch_execnz .LBB6_5894
.LBB6_5371:                             ;   in Loop: Header=BB6_5227 Depth=3
	s_or_b32 exec_lo, exec_lo, s19
	s_and_saveexec_b32 s19, s16
	s_cbranch_execz .LBB6_5373
.LBB6_5372:                             ;   in Loop: Header=BB6_5227 Depth=3
	v_and_b32_e32 v18, 3, v125
	v_lshrrev_b16 v87, 2, v125
	v_lshlrev_b32_e32 v113, 24, v125
	v_ffbh_u32_e32 v86, v18
	v_and_b32_e32 v87, 31, v87
	v_min_u32_e32 v86, 32, v86
	v_cmp_eq_u32_e32 vcc_lo, 0, v87
	v_subrev_nc_u32_e32 v112, 29, v86
	v_sub_nc_u32_e32 v86, 30, v86
	v_lshlrev_b32_e32 v112, v112, v125
	v_cndmask_b32_e32 v86, v87, v86, vcc_lo
	v_and_b32_e32 v87, 0x80000000, v113
	v_and_b32_e32 v112, 3, v112
	v_lshl_add_u32 v86, v86, 23, 0x37800000
	v_cndmask_b32_e32 v18, v18, v112, vcc_lo
	v_lshlrev_b32_e32 v18, 21, v18
	v_or3_b32 v18, v87, v86, v18
.LBB6_5373:                             ;   in Loop: Header=BB6_5227 Depth=3
	s_or_b32 exec_lo, exec_lo, s19
	s_waitcnt vmcnt(24) lgkmcnt(24)
	v_cmp_gt_i16_sdwa s19, v50, v59 src0_sel:BYTE_0 src1_sel:DWORD
	s_mov_b32 s16, 0
	s_and_saveexec_b32 s23, s19
	s_xor_b32 s19, exec_lo, s23
	s_cbranch_execz .LBB6_5895
; %bb.5374:                             ;   in Loop: Header=BB6_5227 Depth=3
	v_cmp_eq_u16_sdwa s72, v50, v60 src0_sel:BYTE_0 src1_sel:DWORD
	s_mov_b32 s16, -1
	s_and_saveexec_b32 s23, s72
; %bb.5375:                             ;   in Loop: Header=BB6_5227 Depth=3
	s_xor_b32 s16, exec_lo, -1
; %bb.5376:                             ;   in Loop: Header=BB6_5227 Depth=3
	s_or_b32 exec_lo, exec_lo, s23
	s_and_b32 s16, s16, exec_lo
	s_or_saveexec_b32 s19, s19
	v_mov_b32_e32 v86, 0x7f800001
	s_xor_b32 exec_lo, exec_lo, s19
	s_cbranch_execnz .LBB6_5896
.LBB6_5377:                             ;   in Loop: Header=BB6_5227 Depth=3
	s_or_b32 exec_lo, exec_lo, s19
	s_and_saveexec_b32 s19, s16
	s_cbranch_execz .LBB6_5379
.LBB6_5378:                             ;   in Loop: Header=BB6_5227 Depth=3
	v_and_b32_e32 v86, 3, v50
	v_lshrrev_b16 v112, 2, v50
	v_ffbh_u32_e32 v87, v86
	v_and_b32_e32 v112, 31, v112
	v_min_u32_e32 v87, 32, v87
	v_cmp_eq_u32_e32 vcc_lo, 0, v112
	v_subrev_nc_u32_e32 v113, 29, v87
	v_sub_nc_u32_e32 v87, 30, v87
	v_lshlrev_b32_e32 v113, v113, v50
	v_lshlrev_b32_e32 v50, 24, v50
	v_cndmask_b32_e32 v87, v112, v87, vcc_lo
	v_and_b32_e32 v113, 3, v113
	v_and_b32_e32 v50, 0x80000000, v50
	v_lshl_add_u32 v87, v87, 23, 0x37800000
	v_cndmask_b32_e32 v86, v86, v113, vcc_lo
	v_lshlrev_b32_e32 v86, 21, v86
	v_or3_b32 v86, v50, v87, v86
.LBB6_5379:                             ;   in Loop: Header=BB6_5227 Depth=3
	s_or_b32 exec_lo, exec_lo, s19
	v_mul_f32_e32 v18, v18, v86
	v_and_b32_e32 v50, 0x7f800000, v18
	v_cmp_ne_u32_e32 vcc_lo, 0x7f800000, v50
	v_mov_b32_e32 v50, 0x80
	s_and_saveexec_b32 s19, vcc_lo
	s_cbranch_execz .LBB6_5387
; %bb.5380:                             ;   in Loop: Header=BB6_5227 Depth=3
	v_mov_b32_e32 v50, 0
	s_mov_b32 s23, exec_lo
	v_cmpx_ne_u32_e32 0, v18
	s_cbranch_execz .LBB6_5386
; %bb.5381:                             ;   in Loop: Header=BB6_5227 Depth=3
	v_bfe_u32 v86, v18, 23, 8
	v_and_b32_e32 v50, 0x7fffff, v18
	v_cmp_gt_u32_e64 s16, 0x71, v86
	v_sub_nc_u32_e32 v87, 0x70, v86
	v_cmp_eq_u32_e32 vcc_lo, 0, v86
	v_or_b32_e32 v112, 0x800000, v50
	v_cndmask_b32_e64 v87, 0, v87, s16
	v_cndmask_b32_e32 v50, v112, v50, vcc_lo
	v_cndmask_b32_e64 v87, v87, 0x6f, vcc_lo
	v_lshl_add_u32 v112, 0x200000, v87, -1
	v_lshlrev_b32_e64 v113, v87, 0x100000
	v_and_b32_e32 v112, v112, v50
	v_cmp_eq_u32_e64 s16, v112, v113
	v_lshrrev_b32_e32 v112, v87, v50
	v_add_nc_u32_e32 v50, 0xffffff91, v86
	v_lshrrev_b32_e32 v86, 23, v112
	v_cndmask_b32_e64 v50, v50, 0xffffff92, vcc_lo
	v_xor_b32_e32 v86, 1, v86
	v_add_nc_u32_e32 v50, v87, v50
	v_bfe_u32 v87, v112, 21, 1
	v_add_nc_u32_e32 v87, -1, v87
	v_cndmask_b32_e64 v87, 0, v87, s16
	s_mov_b32 s16, exec_lo
	v_add_nc_u32_e32 v87, v87, v112
	v_and_b32_e32 v87, 0x1fffff, v87
	v_add_nc_u32_e32 v87, v87, v112
                                        ; implicit-def: $vgpr112
	v_cmpx_ne_u32_e64 v50, v86
	s_xor_b32 s16, exec_lo, s16
; %bb.5382:                             ;   in Loop: Header=BB6_5227 Depth=3
	v_cmp_lt_u32_e32 vcc_lo, 0xffffff, v87
	v_sub_nc_u32_e32 v50, v50, v86
	v_cndmask_b32_e64 v86, 0, 1, vcc_lo
	v_add_co_ci_u32_e64 v112, null, 0, v50, vcc_lo
	v_lshrrev_b32_e32 v87, v86, v87
; %bb.5383:                             ;   in Loop: Header=BB6_5227 Depth=3
	s_andn2_saveexec_b32 s16, s16
; %bb.5384:                             ;   in Loop: Header=BB6_5227 Depth=3
	v_bfe_u32 v112, v87, 23, 1
; %bb.5385:                             ;   in Loop: Header=BB6_5227 Depth=3
	s_or_b32 exec_lo, exec_lo, s16
	v_lshrrev_b32_e32 v50, 21, v87
	v_cmp_gt_i32_e32 vcc_lo, 32, v112
	v_min_i32_e32 v86, 31, v112
	v_and_b32_sdwa v18, v18, v60 dst_sel:DWORD dst_unused:UNUSED_PAD src0_sel:BYTE_3 src1_sel:DWORD
	v_cndmask_b32_e32 v50, 3, v50, vcc_lo
	v_lshlrev_b32_e32 v86, 2, v86
	v_or_b32_e32 v87, v112, v50
	v_and_b32_e32 v50, 3, v50
	v_cmp_ne_u32_e32 vcc_lo, 0, v87
	v_or3_b32 v18, v86, v18, v50
	v_cndmask_b32_e32 v50, 0, v18, vcc_lo
.LBB6_5386:                             ;   in Loop: Header=BB6_5227 Depth=3
	s_or_b32 exec_lo, exec_lo, s23
.LBB6_5387:                             ;   in Loop: Header=BB6_5227 Depth=3
	s_or_b32 exec_lo, exec_lo, s19
	v_cmp_gt_i16_sdwa s19, v53, v59 src0_sel:BYTE_0 src1_sel:DWORD
	s_mov_b32 s16, 0
	s_and_saveexec_b32 s23, s19
	s_xor_b32 s19, exec_lo, s23
	s_cbranch_execz .LBB6_5897
; %bb.5388:                             ;   in Loop: Header=BB6_5227 Depth=3
	v_cmp_eq_u16_sdwa s72, v53, v60 src0_sel:BYTE_0 src1_sel:DWORD
	s_mov_b32 s16, -1
	s_and_saveexec_b32 s23, s72
; %bb.5389:                             ;   in Loop: Header=BB6_5227 Depth=3
	s_xor_b32 s16, exec_lo, -1
; %bb.5390:                             ;   in Loop: Header=BB6_5227 Depth=3
	s_or_b32 exec_lo, exec_lo, s23
	s_and_b32 s16, s16, exec_lo
	s_or_saveexec_b32 s19, s19
	v_mov_b32_e32 v18, 0x7f800001
	s_xor_b32 exec_lo, exec_lo, s19
	s_cbranch_execnz .LBB6_5898
.LBB6_5391:                             ;   in Loop: Header=BB6_5227 Depth=3
	s_or_b32 exec_lo, exec_lo, s19
	s_and_saveexec_b32 s19, s16
	s_cbranch_execz .LBB6_5393
.LBB6_5392:                             ;   in Loop: Header=BB6_5227 Depth=3
	v_and_b32_e32 v18, 3, v53
	v_lshrrev_b16 v87, 2, v53
	v_ffbh_u32_e32 v86, v18
	v_and_b32_e32 v87, 31, v87
	v_min_u32_e32 v86, 32, v86
	v_cmp_eq_u32_e32 vcc_lo, 0, v87
	v_subrev_nc_u32_e32 v112, 29, v86
	v_sub_nc_u32_e32 v86, 30, v86
	v_lshlrev_b32_e32 v112, v112, v53
	v_lshlrev_b32_e32 v53, 24, v53
	v_cndmask_b32_e32 v86, v87, v86, vcc_lo
	v_and_b32_e32 v112, 3, v112
	v_and_b32_e32 v53, 0x80000000, v53
	v_lshl_add_u32 v86, v86, 23, 0x37800000
	v_cndmask_b32_e32 v18, v18, v112, vcc_lo
	v_lshlrev_b32_e32 v18, 21, v18
	v_or3_b32 v18, v53, v86, v18
.LBB6_5393:                             ;   in Loop: Header=BB6_5227 Depth=3
	s_or_b32 exec_lo, exec_lo, s19
	s_waitcnt vmcnt(23) lgkmcnt(23)
	v_cmp_gt_i16_sdwa s19, v124, v59 src0_sel:BYTE_0 src1_sel:DWORD
	s_mov_b32 s16, 0
	s_and_saveexec_b32 s23, s19
	s_xor_b32 s19, exec_lo, s23
	s_cbranch_execz .LBB6_5899
; %bb.5394:                             ;   in Loop: Header=BB6_5227 Depth=3
	v_cmp_eq_u16_sdwa s72, v124, v60 src0_sel:BYTE_0 src1_sel:DWORD
	s_mov_b32 s16, -1
	s_and_saveexec_b32 s23, s72
; %bb.5395:                             ;   in Loop: Header=BB6_5227 Depth=3
	s_xor_b32 s16, exec_lo, -1
; %bb.5396:                             ;   in Loop: Header=BB6_5227 Depth=3
	s_or_b32 exec_lo, exec_lo, s23
	s_and_b32 s16, s16, exec_lo
	s_or_saveexec_b32 s19, s19
	v_mov_b32_e32 v53, 0x7f800001
	s_xor_b32 exec_lo, exec_lo, s19
	s_cbranch_execnz .LBB6_5900
.LBB6_5397:                             ;   in Loop: Header=BB6_5227 Depth=3
	s_or_b32 exec_lo, exec_lo, s19
	s_and_saveexec_b32 s19, s16
	s_cbranch_execz .LBB6_5399
.LBB6_5398:                             ;   in Loop: Header=BB6_5227 Depth=3
	v_and_b32_e32 v53, 3, v124
	v_lshrrev_b16 v87, 2, v124
	v_lshlrev_b32_e32 v113, 24, v124
	v_ffbh_u32_e32 v86, v53
	v_and_b32_e32 v87, 31, v87
	v_min_u32_e32 v86, 32, v86
	v_cmp_eq_u32_e32 vcc_lo, 0, v87
	v_subrev_nc_u32_e32 v112, 29, v86
	v_sub_nc_u32_e32 v86, 30, v86
	v_lshlrev_b32_e32 v112, v112, v124
	v_cndmask_b32_e32 v86, v87, v86, vcc_lo
	v_and_b32_e32 v87, 0x80000000, v113
	v_and_b32_e32 v112, 3, v112
	v_lshl_add_u32 v86, v86, 23, 0x37800000
	v_cndmask_b32_e32 v53, v53, v112, vcc_lo
	v_lshlrev_b32_e32 v53, 21, v53
	v_or3_b32 v53, v87, v86, v53
.LBB6_5399:                             ;   in Loop: Header=BB6_5227 Depth=3
	s_or_b32 exec_lo, exec_lo, s19
	v_mul_f32_e32 v18, v18, v53
	v_and_b32_e32 v53, 0x7f800000, v18
	v_cmp_ne_u32_e32 vcc_lo, 0x7f800000, v53
	v_mov_b32_e32 v53, 0x80
	s_and_saveexec_b32 s19, vcc_lo
	s_cbranch_execz .LBB6_5407
; %bb.5400:                             ;   in Loop: Header=BB6_5227 Depth=3
	v_mov_b32_e32 v53, 0
	s_mov_b32 s23, exec_lo
	v_cmpx_ne_u32_e32 0, v18
	s_cbranch_execz .LBB6_5406
; %bb.5401:                             ;   in Loop: Header=BB6_5227 Depth=3
	v_bfe_u32 v86, v18, 23, 8
	v_and_b32_e32 v53, 0x7fffff, v18
	v_cmp_gt_u32_e64 s16, 0x71, v86
	v_sub_nc_u32_e32 v87, 0x70, v86
	v_cmp_eq_u32_e32 vcc_lo, 0, v86
	v_or_b32_e32 v112, 0x800000, v53
	v_cndmask_b32_e64 v87, 0, v87, s16
	v_cndmask_b32_e32 v53, v112, v53, vcc_lo
	v_cndmask_b32_e64 v87, v87, 0x6f, vcc_lo
	v_lshl_add_u32 v112, 0x200000, v87, -1
	v_lshlrev_b32_e64 v113, v87, 0x100000
	v_and_b32_e32 v112, v112, v53
	v_cmp_eq_u32_e64 s16, v112, v113
	v_lshrrev_b32_e32 v112, v87, v53
	v_add_nc_u32_e32 v53, 0xffffff91, v86
	v_lshrrev_b32_e32 v86, 23, v112
	v_cndmask_b32_e64 v53, v53, 0xffffff92, vcc_lo
	v_xor_b32_e32 v86, 1, v86
	v_add_nc_u32_e32 v53, v87, v53
	v_bfe_u32 v87, v112, 21, 1
	v_add_nc_u32_e32 v87, -1, v87
	v_cndmask_b32_e64 v87, 0, v87, s16
	s_mov_b32 s16, exec_lo
	v_add_nc_u32_e32 v87, v87, v112
	v_and_b32_e32 v87, 0x1fffff, v87
	v_add_nc_u32_e32 v87, v87, v112
                                        ; implicit-def: $vgpr112
	v_cmpx_ne_u32_e64 v53, v86
	s_xor_b32 s16, exec_lo, s16
; %bb.5402:                             ;   in Loop: Header=BB6_5227 Depth=3
	v_cmp_lt_u32_e32 vcc_lo, 0xffffff, v87
	v_sub_nc_u32_e32 v53, v53, v86
	v_cndmask_b32_e64 v86, 0, 1, vcc_lo
	v_add_co_ci_u32_e64 v112, null, 0, v53, vcc_lo
	v_lshrrev_b32_e32 v87, v86, v87
; %bb.5403:                             ;   in Loop: Header=BB6_5227 Depth=3
	s_andn2_saveexec_b32 s16, s16
; %bb.5404:                             ;   in Loop: Header=BB6_5227 Depth=3
	v_bfe_u32 v112, v87, 23, 1
; %bb.5405:                             ;   in Loop: Header=BB6_5227 Depth=3
	s_or_b32 exec_lo, exec_lo, s16
	v_lshrrev_b32_e32 v53, 21, v87
	v_cmp_gt_i32_e32 vcc_lo, 32, v112
	v_min_i32_e32 v86, 31, v112
	v_and_b32_sdwa v18, v18, v60 dst_sel:DWORD dst_unused:UNUSED_PAD src0_sel:BYTE_3 src1_sel:DWORD
	v_cndmask_b32_e32 v53, 3, v53, vcc_lo
	v_lshlrev_b32_e32 v86, 2, v86
	v_or_b32_e32 v87, v112, v53
	v_and_b32_e32 v53, 3, v53
	v_cmp_ne_u32_e32 vcc_lo, 0, v87
	v_or3_b32 v18, v86, v18, v53
	v_cndmask_b32_e32 v53, 0, v18, vcc_lo
.LBB6_5406:                             ;   in Loop: Header=BB6_5227 Depth=3
	s_or_b32 exec_lo, exec_lo, s23
.LBB6_5407:                             ;   in Loop: Header=BB6_5227 Depth=3
	s_or_b32 exec_lo, exec_lo, s19
	v_cmp_gt_i16_sdwa s19, v82, v59 src0_sel:BYTE_0 src1_sel:DWORD
	s_mov_b32 s16, 0
	s_and_saveexec_b32 s23, s19
	s_xor_b32 s19, exec_lo, s23
	s_cbranch_execz .LBB6_5901
; %bb.5408:                             ;   in Loop: Header=BB6_5227 Depth=3
	v_cmp_eq_u16_sdwa s72, v82, v60 src0_sel:BYTE_0 src1_sel:DWORD
	s_mov_b32 s16, -1
	s_and_saveexec_b32 s23, s72
; %bb.5409:                             ;   in Loop: Header=BB6_5227 Depth=3
	s_xor_b32 s16, exec_lo, -1
; %bb.5410:                             ;   in Loop: Header=BB6_5227 Depth=3
	s_or_b32 exec_lo, exec_lo, s23
	s_and_b32 s16, s16, exec_lo
	s_or_saveexec_b32 s19, s19
	v_mov_b32_e32 v18, 0x7f800001
	s_xor_b32 exec_lo, exec_lo, s19
	s_cbranch_execnz .LBB6_5902
.LBB6_5411:                             ;   in Loop: Header=BB6_5227 Depth=3
	s_or_b32 exec_lo, exec_lo, s19
	s_and_saveexec_b32 s19, s16
	s_cbranch_execz .LBB6_5413
.LBB6_5412:                             ;   in Loop: Header=BB6_5227 Depth=3
	v_and_b32_e32 v18, 3, v82
	v_lshrrev_b16 v87, 2, v82
	v_ffbh_u32_e32 v86, v18
	v_and_b32_e32 v87, 31, v87
	v_min_u32_e32 v86, 32, v86
	v_cmp_eq_u32_e32 vcc_lo, 0, v87
	v_subrev_nc_u32_e32 v112, 29, v86
	v_sub_nc_u32_e32 v86, 30, v86
	v_lshlrev_b32_e32 v112, v112, v82
	v_lshlrev_b32_e32 v82, 24, v82
	v_cndmask_b32_e32 v86, v87, v86, vcc_lo
	v_and_b32_e32 v112, 3, v112
	v_and_b32_e32 v82, 0x80000000, v82
	v_lshl_add_u32 v86, v86, 23, 0x37800000
	v_cndmask_b32_e32 v18, v18, v112, vcc_lo
	v_lshlrev_b32_e32 v18, 21, v18
	v_or3_b32 v18, v82, v86, v18
.LBB6_5413:                             ;   in Loop: Header=BB6_5227 Depth=3
	s_or_b32 exec_lo, exec_lo, s19
	s_waitcnt vmcnt(22) lgkmcnt(22)
	v_cmp_gt_i16_sdwa s19, v73, v59 src0_sel:BYTE_0 src1_sel:DWORD
	s_mov_b32 s16, 0
	s_and_saveexec_b32 s23, s19
	s_xor_b32 s19, exec_lo, s23
	s_cbranch_execz .LBB6_5903
; %bb.5414:                             ;   in Loop: Header=BB6_5227 Depth=3
	v_cmp_eq_u16_sdwa s72, v73, v60 src0_sel:BYTE_0 src1_sel:DWORD
	s_mov_b32 s16, -1
	s_and_saveexec_b32 s23, s72
; %bb.5415:                             ;   in Loop: Header=BB6_5227 Depth=3
	s_xor_b32 s16, exec_lo, -1
; %bb.5416:                             ;   in Loop: Header=BB6_5227 Depth=3
	s_or_b32 exec_lo, exec_lo, s23
	s_and_b32 s16, s16, exec_lo
	s_or_saveexec_b32 s19, s19
	v_mov_b32_e32 v82, 0x7f800001
	s_xor_b32 exec_lo, exec_lo, s19
	s_cbranch_execnz .LBB6_5904
.LBB6_5417:                             ;   in Loop: Header=BB6_5227 Depth=3
	s_or_b32 exec_lo, exec_lo, s19
	s_and_saveexec_b32 s19, s16
	s_cbranch_execz .LBB6_5419
.LBB6_5418:                             ;   in Loop: Header=BB6_5227 Depth=3
	v_and_b32_e32 v82, 3, v73
	v_lshrrev_b16 v87, 2, v73
	v_lshlrev_b32_e32 v113, 24, v73
	v_ffbh_u32_e32 v86, v82
	v_and_b32_e32 v87, 31, v87
	v_min_u32_e32 v86, 32, v86
	v_cmp_eq_u32_e32 vcc_lo, 0, v87
	v_subrev_nc_u32_e32 v112, 29, v86
	v_sub_nc_u32_e32 v86, 30, v86
	v_lshlrev_b32_e32 v112, v112, v73
	v_cndmask_b32_e32 v86, v87, v86, vcc_lo
	v_and_b32_e32 v87, 0x80000000, v113
	v_and_b32_e32 v112, 3, v112
	v_lshl_add_u32 v86, v86, 23, 0x37800000
	v_cndmask_b32_e32 v82, v82, v112, vcc_lo
	v_lshlrev_b32_e32 v82, 21, v82
	v_or3_b32 v82, v87, v86, v82
.LBB6_5419:                             ;   in Loop: Header=BB6_5227 Depth=3
	s_or_b32 exec_lo, exec_lo, s19
	v_mul_f32_e32 v18, v18, v82
	v_and_b32_e32 v82, 0x7f800000, v18
	v_cmp_ne_u32_e32 vcc_lo, 0x7f800000, v82
	v_mov_b32_e32 v82, 0x80
	s_and_saveexec_b32 s19, vcc_lo
	s_cbranch_execz .LBB6_5427
; %bb.5420:                             ;   in Loop: Header=BB6_5227 Depth=3
	v_mov_b32_e32 v82, 0
	s_mov_b32 s23, exec_lo
	v_cmpx_ne_u32_e32 0, v18
	s_cbranch_execz .LBB6_5426
; %bb.5421:                             ;   in Loop: Header=BB6_5227 Depth=3
	v_bfe_u32 v86, v18, 23, 8
	v_and_b32_e32 v82, 0x7fffff, v18
	v_cmp_gt_u32_e64 s16, 0x71, v86
	v_sub_nc_u32_e32 v87, 0x70, v86
	v_cmp_eq_u32_e32 vcc_lo, 0, v86
	v_or_b32_e32 v112, 0x800000, v82
	v_cndmask_b32_e64 v87, 0, v87, s16
	v_cndmask_b32_e32 v82, v112, v82, vcc_lo
	v_cndmask_b32_e64 v87, v87, 0x6f, vcc_lo
	v_lshl_add_u32 v112, 0x200000, v87, -1
	v_lshlrev_b32_e64 v113, v87, 0x100000
	v_and_b32_e32 v112, v112, v82
	v_cmp_eq_u32_e64 s16, v112, v113
	v_lshrrev_b32_e32 v112, v87, v82
	v_add_nc_u32_e32 v82, 0xffffff91, v86
	v_lshrrev_b32_e32 v86, 23, v112
	v_cndmask_b32_e64 v82, v82, 0xffffff92, vcc_lo
	v_xor_b32_e32 v86, 1, v86
	v_add_nc_u32_e32 v82, v87, v82
	v_bfe_u32 v87, v112, 21, 1
	v_add_nc_u32_e32 v87, -1, v87
	v_cndmask_b32_e64 v87, 0, v87, s16
	s_mov_b32 s16, exec_lo
	v_add_nc_u32_e32 v87, v87, v112
	v_and_b32_e32 v87, 0x1fffff, v87
	v_add_nc_u32_e32 v87, v87, v112
                                        ; implicit-def: $vgpr112
	v_cmpx_ne_u32_e64 v82, v86
	s_xor_b32 s16, exec_lo, s16
; %bb.5422:                             ;   in Loop: Header=BB6_5227 Depth=3
	v_cmp_lt_u32_e32 vcc_lo, 0xffffff, v87
	v_sub_nc_u32_e32 v82, v82, v86
	v_cndmask_b32_e64 v86, 0, 1, vcc_lo
	v_add_co_ci_u32_e64 v112, null, 0, v82, vcc_lo
	v_lshrrev_b32_e32 v87, v86, v87
; %bb.5423:                             ;   in Loop: Header=BB6_5227 Depth=3
	s_andn2_saveexec_b32 s16, s16
; %bb.5424:                             ;   in Loop: Header=BB6_5227 Depth=3
	v_bfe_u32 v112, v87, 23, 1
; %bb.5425:                             ;   in Loop: Header=BB6_5227 Depth=3
	s_or_b32 exec_lo, exec_lo, s16
	v_lshrrev_b32_e32 v82, 21, v87
	v_cmp_gt_i32_e32 vcc_lo, 32, v112
	v_min_i32_e32 v86, 31, v112
	v_and_b32_sdwa v18, v18, v60 dst_sel:DWORD dst_unused:UNUSED_PAD src0_sel:BYTE_3 src1_sel:DWORD
	v_cndmask_b32_e32 v82, 3, v82, vcc_lo
	v_lshlrev_b32_e32 v86, 2, v86
	v_or_b32_e32 v87, v112, v82
	v_and_b32_e32 v82, 3, v82
	v_cmp_ne_u32_e32 vcc_lo, 0, v87
	v_or3_b32 v18, v86, v18, v82
	v_cndmask_b32_e32 v82, 0, v18, vcc_lo
.LBB6_5426:                             ;   in Loop: Header=BB6_5227 Depth=3
	s_or_b32 exec_lo, exec_lo, s23
.LBB6_5427:                             ;   in Loop: Header=BB6_5227 Depth=3
	s_or_b32 exec_lo, exec_lo, s19
	v_cmp_gt_i16_sdwa s19, v85, v59 src0_sel:BYTE_0 src1_sel:DWORD
	s_mov_b32 s16, 0
	s_and_saveexec_b32 s23, s19
	s_xor_b32 s19, exec_lo, s23
	s_cbranch_execz .LBB6_5905
; %bb.5428:                             ;   in Loop: Header=BB6_5227 Depth=3
	v_cmp_eq_u16_sdwa s72, v85, v60 src0_sel:BYTE_0 src1_sel:DWORD
	s_mov_b32 s16, -1
	s_and_saveexec_b32 s23, s72
; %bb.5429:                             ;   in Loop: Header=BB6_5227 Depth=3
	s_xor_b32 s16, exec_lo, -1
; %bb.5430:                             ;   in Loop: Header=BB6_5227 Depth=3
	s_or_b32 exec_lo, exec_lo, s23
	s_and_b32 s16, s16, exec_lo
	s_or_saveexec_b32 s19, s19
	v_mov_b32_e32 v18, 0x7f800001
	s_xor_b32 exec_lo, exec_lo, s19
	s_cbranch_execnz .LBB6_5906
.LBB6_5431:                             ;   in Loop: Header=BB6_5227 Depth=3
	s_or_b32 exec_lo, exec_lo, s19
	s_and_saveexec_b32 s19, s16
	s_cbranch_execz .LBB6_5433
.LBB6_5432:                             ;   in Loop: Header=BB6_5227 Depth=3
	v_and_b32_e32 v18, 3, v85
	v_lshrrev_b16 v87, 2, v85
	v_ffbh_u32_e32 v86, v18
	v_and_b32_e32 v87, 31, v87
	v_min_u32_e32 v86, 32, v86
	v_cmp_eq_u32_e32 vcc_lo, 0, v87
	v_subrev_nc_u32_e32 v112, 29, v86
	v_sub_nc_u32_e32 v86, 30, v86
	v_lshlrev_b32_e32 v112, v112, v85
	v_lshlrev_b32_e32 v85, 24, v85
	v_cndmask_b32_e32 v86, v87, v86, vcc_lo
	v_and_b32_e32 v112, 3, v112
	v_and_b32_e32 v85, 0x80000000, v85
	v_lshl_add_u32 v86, v86, 23, 0x37800000
	v_cndmask_b32_e32 v18, v18, v112, vcc_lo
	v_lshlrev_b32_e32 v18, 21, v18
	v_or3_b32 v18, v85, v86, v18
.LBB6_5433:                             ;   in Loop: Header=BB6_5227 Depth=3
	s_or_b32 exec_lo, exec_lo, s19
	s_waitcnt vmcnt(21) lgkmcnt(21)
	v_cmp_gt_i16_sdwa s19, v105, v59 src0_sel:BYTE_0 src1_sel:DWORD
	s_mov_b32 s16, 0
	s_and_saveexec_b32 s23, s19
	s_xor_b32 s19, exec_lo, s23
	s_cbranch_execz .LBB6_5907
; %bb.5434:                             ;   in Loop: Header=BB6_5227 Depth=3
	v_cmp_eq_u16_sdwa s72, v105, v60 src0_sel:BYTE_0 src1_sel:DWORD
	s_mov_b32 s16, -1
	s_and_saveexec_b32 s23, s72
; %bb.5435:                             ;   in Loop: Header=BB6_5227 Depth=3
	s_xor_b32 s16, exec_lo, -1
; %bb.5436:                             ;   in Loop: Header=BB6_5227 Depth=3
	s_or_b32 exec_lo, exec_lo, s23
	s_and_b32 s16, s16, exec_lo
	s_or_saveexec_b32 s19, s19
	v_mov_b32_e32 v85, 0x7f800001
	s_xor_b32 exec_lo, exec_lo, s19
	s_cbranch_execnz .LBB6_5908
.LBB6_5437:                             ;   in Loop: Header=BB6_5227 Depth=3
	s_or_b32 exec_lo, exec_lo, s19
	s_and_saveexec_b32 s19, s16
	s_cbranch_execz .LBB6_5439
.LBB6_5438:                             ;   in Loop: Header=BB6_5227 Depth=3
	v_and_b32_e32 v85, 3, v105
	v_lshrrev_b16 v87, 2, v105
	v_lshlrev_b32_e32 v113, 24, v105
	v_ffbh_u32_e32 v86, v85
	v_and_b32_e32 v87, 31, v87
	v_min_u32_e32 v86, 32, v86
	v_cmp_eq_u32_e32 vcc_lo, 0, v87
	v_subrev_nc_u32_e32 v112, 29, v86
	v_sub_nc_u32_e32 v86, 30, v86
	v_lshlrev_b32_e32 v112, v112, v105
	v_cndmask_b32_e32 v86, v87, v86, vcc_lo
	v_and_b32_e32 v87, 0x80000000, v113
	v_and_b32_e32 v112, 3, v112
	v_lshl_add_u32 v86, v86, 23, 0x37800000
	v_cndmask_b32_e32 v85, v85, v112, vcc_lo
	v_lshlrev_b32_e32 v85, 21, v85
	v_or3_b32 v85, v87, v86, v85
.LBB6_5439:                             ;   in Loop: Header=BB6_5227 Depth=3
	s_or_b32 exec_lo, exec_lo, s19
	v_mul_f32_e32 v18, v18, v85
	v_and_b32_e32 v85, 0x7f800000, v18
	v_cmp_ne_u32_e32 vcc_lo, 0x7f800000, v85
	v_mov_b32_e32 v85, 0x80
	s_and_saveexec_b32 s19, vcc_lo
	s_cbranch_execz .LBB6_5447
; %bb.5440:                             ;   in Loop: Header=BB6_5227 Depth=3
	v_mov_b32_e32 v85, 0
	s_mov_b32 s23, exec_lo
	v_cmpx_ne_u32_e32 0, v18
	s_cbranch_execz .LBB6_5446
; %bb.5441:                             ;   in Loop: Header=BB6_5227 Depth=3
	v_bfe_u32 v86, v18, 23, 8
	v_and_b32_e32 v85, 0x7fffff, v18
	v_cmp_gt_u32_e64 s16, 0x71, v86
	v_sub_nc_u32_e32 v87, 0x70, v86
	v_cmp_eq_u32_e32 vcc_lo, 0, v86
	v_or_b32_e32 v112, 0x800000, v85
	v_cndmask_b32_e64 v87, 0, v87, s16
	v_cndmask_b32_e32 v85, v112, v85, vcc_lo
	v_cndmask_b32_e64 v87, v87, 0x6f, vcc_lo
	v_lshl_add_u32 v112, 0x200000, v87, -1
	v_lshlrev_b32_e64 v113, v87, 0x100000
	v_and_b32_e32 v112, v112, v85
	v_cmp_eq_u32_e64 s16, v112, v113
	v_lshrrev_b32_e32 v112, v87, v85
	v_add_nc_u32_e32 v85, 0xffffff91, v86
	v_lshrrev_b32_e32 v86, 23, v112
	v_cndmask_b32_e64 v85, v85, 0xffffff92, vcc_lo
	v_xor_b32_e32 v86, 1, v86
	v_add_nc_u32_e32 v85, v87, v85
	v_bfe_u32 v87, v112, 21, 1
	v_add_nc_u32_e32 v87, -1, v87
	v_cndmask_b32_e64 v87, 0, v87, s16
	s_mov_b32 s16, exec_lo
	v_add_nc_u32_e32 v87, v87, v112
	v_and_b32_e32 v87, 0x1fffff, v87
	v_add_nc_u32_e32 v87, v87, v112
                                        ; implicit-def: $vgpr112
	v_cmpx_ne_u32_e64 v85, v86
	s_xor_b32 s16, exec_lo, s16
; %bb.5442:                             ;   in Loop: Header=BB6_5227 Depth=3
	v_cmp_lt_u32_e32 vcc_lo, 0xffffff, v87
	v_sub_nc_u32_e32 v85, v85, v86
	v_cndmask_b32_e64 v86, 0, 1, vcc_lo
	v_add_co_ci_u32_e64 v112, null, 0, v85, vcc_lo
	v_lshrrev_b32_e32 v87, v86, v87
; %bb.5443:                             ;   in Loop: Header=BB6_5227 Depth=3
	s_andn2_saveexec_b32 s16, s16
; %bb.5444:                             ;   in Loop: Header=BB6_5227 Depth=3
	v_bfe_u32 v112, v87, 23, 1
; %bb.5445:                             ;   in Loop: Header=BB6_5227 Depth=3
	s_or_b32 exec_lo, exec_lo, s16
	v_lshrrev_b32_e32 v85, 21, v87
	v_cmp_gt_i32_e32 vcc_lo, 32, v112
	v_min_i32_e32 v86, 31, v112
	v_and_b32_sdwa v18, v18, v60 dst_sel:DWORD dst_unused:UNUSED_PAD src0_sel:BYTE_3 src1_sel:DWORD
	v_cndmask_b32_e32 v85, 3, v85, vcc_lo
	v_lshlrev_b32_e32 v86, 2, v86
	v_or_b32_e32 v87, v112, v85
	v_and_b32_e32 v85, 3, v85
	v_cmp_ne_u32_e32 vcc_lo, 0, v87
	v_or3_b32 v18, v86, v18, v85
	v_cndmask_b32_e32 v85, 0, v18, vcc_lo
.LBB6_5446:                             ;   in Loop: Header=BB6_5227 Depth=3
	s_or_b32 exec_lo, exec_lo, s23
.LBB6_5447:                             ;   in Loop: Header=BB6_5227 Depth=3
	s_or_b32 exec_lo, exec_lo, s19
	v_cmp_gt_i16_sdwa s19, v116, v59 src0_sel:BYTE_0 src1_sel:DWORD
	s_mov_b32 s16, 0
	s_and_saveexec_b32 s23, s19
	s_xor_b32 s19, exec_lo, s23
	s_cbranch_execz .LBB6_5909
; %bb.5448:                             ;   in Loop: Header=BB6_5227 Depth=3
	v_cmp_eq_u16_sdwa s72, v116, v60 src0_sel:BYTE_0 src1_sel:DWORD
	s_mov_b32 s16, -1
	s_and_saveexec_b32 s23, s72
; %bb.5449:                             ;   in Loop: Header=BB6_5227 Depth=3
	s_xor_b32 s16, exec_lo, -1
; %bb.5450:                             ;   in Loop: Header=BB6_5227 Depth=3
	s_or_b32 exec_lo, exec_lo, s23
	s_and_b32 s16, s16, exec_lo
	s_or_saveexec_b32 s19, s19
	v_mov_b32_e32 v18, 0x7f800001
	s_xor_b32 exec_lo, exec_lo, s19
	s_cbranch_execnz .LBB6_5910
.LBB6_5451:                             ;   in Loop: Header=BB6_5227 Depth=3
	s_or_b32 exec_lo, exec_lo, s19
	s_and_saveexec_b32 s19, s16
	s_cbranch_execz .LBB6_5453
.LBB6_5452:                             ;   in Loop: Header=BB6_5227 Depth=3
	v_and_b32_e32 v18, 3, v116
	v_lshrrev_b16 v87, 2, v116
	v_lshlrev_b32_e32 v113, 24, v116
	v_ffbh_u32_e32 v86, v18
	v_and_b32_e32 v87, 31, v87
	v_min_u32_e32 v86, 32, v86
	v_cmp_eq_u32_e32 vcc_lo, 0, v87
	v_subrev_nc_u32_e32 v112, 29, v86
	v_sub_nc_u32_e32 v86, 30, v86
	v_lshlrev_b32_e32 v112, v112, v116
	v_cndmask_b32_e32 v86, v87, v86, vcc_lo
	v_and_b32_e32 v87, 0x80000000, v113
	v_and_b32_e32 v112, 3, v112
	v_lshl_add_u32 v86, v86, 23, 0x37800000
	v_cndmask_b32_e32 v18, v18, v112, vcc_lo
	v_lshlrev_b32_e32 v18, 21, v18
	v_or3_b32 v18, v87, v86, v18
.LBB6_5453:                             ;   in Loop: Header=BB6_5227 Depth=3
	s_or_b32 exec_lo, exec_lo, s19
	s_waitcnt vmcnt(20) lgkmcnt(20)
	v_cmp_gt_i16_sdwa s19, v123, v59 src0_sel:BYTE_0 src1_sel:DWORD
	s_mov_b32 s16, 0
	s_and_saveexec_b32 s23, s19
	s_xor_b32 s19, exec_lo, s23
	s_cbranch_execz .LBB6_5911
; %bb.5454:                             ;   in Loop: Header=BB6_5227 Depth=3
	v_cmp_eq_u16_sdwa s72, v123, v60 src0_sel:BYTE_0 src1_sel:DWORD
	s_mov_b32 s16, -1
	s_and_saveexec_b32 s23, s72
; %bb.5455:                             ;   in Loop: Header=BB6_5227 Depth=3
	s_xor_b32 s16, exec_lo, -1
; %bb.5456:                             ;   in Loop: Header=BB6_5227 Depth=3
	s_or_b32 exec_lo, exec_lo, s23
	s_and_b32 s16, s16, exec_lo
	s_or_saveexec_b32 s19, s19
	v_mov_b32_e32 v86, 0x7f800001
	s_xor_b32 exec_lo, exec_lo, s19
	s_cbranch_execnz .LBB6_5912
.LBB6_5457:                             ;   in Loop: Header=BB6_5227 Depth=3
	s_or_b32 exec_lo, exec_lo, s19
	s_and_saveexec_b32 s19, s16
	s_cbranch_execz .LBB6_5459
.LBB6_5458:                             ;   in Loop: Header=BB6_5227 Depth=3
	v_and_b32_e32 v86, 3, v123
	v_lshrrev_b16 v112, 2, v123
	v_lshlrev_b32_e32 v116, 24, v123
	v_ffbh_u32_e32 v87, v86
	v_and_b32_e32 v112, 31, v112
	v_min_u32_e32 v87, 32, v87
	v_cmp_eq_u32_e32 vcc_lo, 0, v112
	v_subrev_nc_u32_e32 v113, 29, v87
	v_sub_nc_u32_e32 v87, 30, v87
	v_lshlrev_b32_e32 v113, v113, v123
	v_cndmask_b32_e32 v87, v112, v87, vcc_lo
	v_and_b32_e32 v112, 0x80000000, v116
	v_and_b32_e32 v113, 3, v113
	v_lshl_add_u32 v87, v87, 23, 0x37800000
	v_cndmask_b32_e32 v86, v86, v113, vcc_lo
	v_lshlrev_b32_e32 v86, 21, v86
	v_or3_b32 v86, v112, v87, v86
.LBB6_5459:                             ;   in Loop: Header=BB6_5227 Depth=3
	s_or_b32 exec_lo, exec_lo, s19
	v_mul_f32_e32 v18, v18, v86
	v_mov_b32_e32 v116, 0x80
	s_mov_b32 s19, exec_lo
	v_and_b32_e32 v86, 0x7f800000, v18
	v_cmpx_ne_u32_e32 0x7f800000, v86
	s_cbranch_execz .LBB6_5467
; %bb.5460:                             ;   in Loop: Header=BB6_5227 Depth=3
	v_mov_b32_e32 v116, 0
	s_mov_b32 s23, exec_lo
	v_cmpx_ne_u32_e32 0, v18
	s_cbranch_execz .LBB6_5466
; %bb.5461:                             ;   in Loop: Header=BB6_5227 Depth=3
	v_bfe_u32 v87, v18, 23, 8
	v_and_b32_e32 v86, 0x7fffff, v18
	v_cmp_gt_u32_e64 s16, 0x71, v87
	v_sub_nc_u32_e32 v112, 0x70, v87
	v_cmp_eq_u32_e32 vcc_lo, 0, v87
	v_or_b32_e32 v113, 0x800000, v86
	v_cndmask_b32_e64 v112, 0, v112, s16
	v_cndmask_b32_e32 v86, v113, v86, vcc_lo
	v_cndmask_b32_e64 v112, v112, 0x6f, vcc_lo
	v_lshl_add_u32 v113, 0x200000, v112, -1
	v_lshlrev_b32_e64 v116, v112, 0x100000
	v_and_b32_e32 v113, v113, v86
	v_cmp_eq_u32_e64 s16, v113, v116
	v_lshrrev_b32_e32 v113, v112, v86
	v_add_nc_u32_e32 v86, 0xffffff91, v87
	v_lshrrev_b32_e32 v87, 23, v113
	v_cndmask_b32_e64 v86, v86, 0xffffff92, vcc_lo
	v_xor_b32_e32 v87, 1, v87
	v_add_nc_u32_e32 v86, v112, v86
	v_bfe_u32 v112, v113, 21, 1
	v_add_nc_u32_e32 v112, -1, v112
	v_cndmask_b32_e64 v112, 0, v112, s16
	s_mov_b32 s16, exec_lo
	v_add_nc_u32_e32 v112, v112, v113
	v_and_b32_e32 v112, 0x1fffff, v112
	v_add_nc_u32_e32 v112, v112, v113
                                        ; implicit-def: $vgpr113
	v_cmpx_ne_u32_e64 v86, v87
	s_xor_b32 s16, exec_lo, s16
; %bb.5462:                             ;   in Loop: Header=BB6_5227 Depth=3
	v_cmp_lt_u32_e32 vcc_lo, 0xffffff, v112
	v_sub_nc_u32_e32 v86, v86, v87
	v_cndmask_b32_e64 v87, 0, 1, vcc_lo
	v_add_co_ci_u32_e64 v113, null, 0, v86, vcc_lo
	v_lshrrev_b32_e32 v112, v87, v112
; %bb.5463:                             ;   in Loop: Header=BB6_5227 Depth=3
	s_andn2_saveexec_b32 s16, s16
; %bb.5464:                             ;   in Loop: Header=BB6_5227 Depth=3
	v_bfe_u32 v113, v112, 23, 1
; %bb.5465:                             ;   in Loop: Header=BB6_5227 Depth=3
	s_or_b32 exec_lo, exec_lo, s16
	v_lshrrev_b32_e32 v86, 21, v112
	v_cmp_gt_i32_e32 vcc_lo, 32, v113
	v_min_i32_e32 v87, 31, v113
	v_and_b32_sdwa v18, v18, v60 dst_sel:DWORD dst_unused:UNUSED_PAD src0_sel:BYTE_3 src1_sel:DWORD
	v_cndmask_b32_e32 v86, 3, v86, vcc_lo
	v_lshlrev_b32_e32 v87, 2, v87
	v_or_b32_e32 v112, v113, v86
	v_and_b32_e32 v86, 3, v86
	v_cmp_ne_u32_e32 vcc_lo, 0, v112
	v_or3_b32 v18, v87, v18, v86
	v_cndmask_b32_e32 v116, 0, v18, vcc_lo
.LBB6_5466:                             ;   in Loop: Header=BB6_5227 Depth=3
	s_or_b32 exec_lo, exec_lo, s23
.LBB6_5467:                             ;   in Loop: Header=BB6_5227 Depth=3
	s_or_b32 exec_lo, exec_lo, s19
	v_cmp_gt_i16_sdwa s19, v119, v59 src0_sel:BYTE_0 src1_sel:DWORD
	s_mov_b32 s16, 0
	s_and_saveexec_b32 s23, s19
	s_xor_b32 s19, exec_lo, s23
	s_cbranch_execz .LBB6_5913
; %bb.5468:                             ;   in Loop: Header=BB6_5227 Depth=3
	v_cmp_eq_u16_sdwa s72, v119, v60 src0_sel:BYTE_0 src1_sel:DWORD
	s_mov_b32 s16, -1
	s_and_saveexec_b32 s23, s72
; %bb.5469:                             ;   in Loop: Header=BB6_5227 Depth=3
	s_xor_b32 s16, exec_lo, -1
; %bb.5470:                             ;   in Loop: Header=BB6_5227 Depth=3
	s_or_b32 exec_lo, exec_lo, s23
	s_and_b32 s16, s16, exec_lo
	s_or_saveexec_b32 s19, s19
	v_mov_b32_e32 v18, 0x7f800001
	s_xor_b32 exec_lo, exec_lo, s19
	s_cbranch_execnz .LBB6_5914
.LBB6_5471:                             ;   in Loop: Header=BB6_5227 Depth=3
	s_or_b32 exec_lo, exec_lo, s19
	s_and_saveexec_b32 s19, s16
	s_cbranch_execz .LBB6_5473
.LBB6_5472:                             ;   in Loop: Header=BB6_5227 Depth=3
	v_and_b32_e32 v18, 3, v119
	v_lshrrev_b16 v87, 2, v119
	v_lshlrev_b32_e32 v113, 24, v119
	v_ffbh_u32_e32 v86, v18
	v_and_b32_e32 v87, 31, v87
	v_min_u32_e32 v86, 32, v86
	v_cmp_eq_u32_e32 vcc_lo, 0, v87
	v_subrev_nc_u32_e32 v112, 29, v86
	v_sub_nc_u32_e32 v86, 30, v86
	v_lshlrev_b32_e32 v112, v112, v119
	v_cndmask_b32_e32 v86, v87, v86, vcc_lo
	v_and_b32_e32 v87, 0x80000000, v113
	v_and_b32_e32 v112, 3, v112
	v_lshl_add_u32 v86, v86, 23, 0x37800000
	v_cndmask_b32_e32 v18, v18, v112, vcc_lo
	v_lshlrev_b32_e32 v18, 21, v18
	v_or3_b32 v18, v87, v86, v18
.LBB6_5473:                             ;   in Loop: Header=BB6_5227 Depth=3
	s_or_b32 exec_lo, exec_lo, s19
	s_waitcnt vmcnt(19) lgkmcnt(19)
	v_cmp_gt_i16_sdwa s19, v122, v59 src0_sel:BYTE_0 src1_sel:DWORD
	s_mov_b32 s16, 0
	s_and_saveexec_b32 s23, s19
	s_xor_b32 s19, exec_lo, s23
	s_cbranch_execz .LBB6_5915
; %bb.5474:                             ;   in Loop: Header=BB6_5227 Depth=3
	v_cmp_eq_u16_sdwa s72, v122, v60 src0_sel:BYTE_0 src1_sel:DWORD
	s_mov_b32 s16, -1
	s_and_saveexec_b32 s23, s72
; %bb.5475:                             ;   in Loop: Header=BB6_5227 Depth=3
	s_xor_b32 s16, exec_lo, -1
; %bb.5476:                             ;   in Loop: Header=BB6_5227 Depth=3
	s_or_b32 exec_lo, exec_lo, s23
	s_and_b32 s16, s16, exec_lo
	s_or_saveexec_b32 s19, s19
	v_mov_b32_e32 v86, 0x7f800001
	s_xor_b32 exec_lo, exec_lo, s19
	s_cbranch_execnz .LBB6_5916
.LBB6_5477:                             ;   in Loop: Header=BB6_5227 Depth=3
	s_or_b32 exec_lo, exec_lo, s19
	s_and_saveexec_b32 s19, s16
	s_cbranch_execz .LBB6_5479
.LBB6_5478:                             ;   in Loop: Header=BB6_5227 Depth=3
	v_and_b32_e32 v86, 3, v122
	v_lshrrev_b16 v112, 2, v122
	v_lshlrev_b32_e32 v119, 24, v122
	v_ffbh_u32_e32 v87, v86
	v_and_b32_e32 v112, 31, v112
	v_min_u32_e32 v87, 32, v87
	v_cmp_eq_u32_e32 vcc_lo, 0, v112
	v_subrev_nc_u32_e32 v113, 29, v87
	v_sub_nc_u32_e32 v87, 30, v87
	v_lshlrev_b32_e32 v113, v113, v122
	v_cndmask_b32_e32 v87, v112, v87, vcc_lo
	v_and_b32_e32 v112, 0x80000000, v119
	v_and_b32_e32 v113, 3, v113
	v_lshl_add_u32 v87, v87, 23, 0x37800000
	v_cndmask_b32_e32 v86, v86, v113, vcc_lo
	v_lshlrev_b32_e32 v86, 21, v86
	v_or3_b32 v86, v112, v87, v86
.LBB6_5479:                             ;   in Loop: Header=BB6_5227 Depth=3
	s_or_b32 exec_lo, exec_lo, s19
	v_mul_f32_e32 v18, v18, v86
	v_mov_b32_e32 v119, 0x80
	s_mov_b32 s19, exec_lo
	v_and_b32_e32 v86, 0x7f800000, v18
	v_cmpx_ne_u32_e32 0x7f800000, v86
	s_cbranch_execz .LBB6_5487
; %bb.5480:                             ;   in Loop: Header=BB6_5227 Depth=3
	v_mov_b32_e32 v119, 0
	s_mov_b32 s23, exec_lo
	v_cmpx_ne_u32_e32 0, v18
	s_cbranch_execz .LBB6_5486
; %bb.5481:                             ;   in Loop: Header=BB6_5227 Depth=3
	v_bfe_u32 v87, v18, 23, 8
	v_and_b32_e32 v86, 0x7fffff, v18
	v_cmp_gt_u32_e64 s16, 0x71, v87
	v_sub_nc_u32_e32 v112, 0x70, v87
	v_cmp_eq_u32_e32 vcc_lo, 0, v87
	v_or_b32_e32 v113, 0x800000, v86
	v_cndmask_b32_e64 v112, 0, v112, s16
	v_cndmask_b32_e32 v86, v113, v86, vcc_lo
	v_cndmask_b32_e64 v112, v112, 0x6f, vcc_lo
	v_lshl_add_u32 v113, 0x200000, v112, -1
	v_lshlrev_b32_e64 v119, v112, 0x100000
	v_and_b32_e32 v113, v113, v86
	v_cmp_eq_u32_e64 s16, v113, v119
	v_lshrrev_b32_e32 v113, v112, v86
	v_add_nc_u32_e32 v86, 0xffffff91, v87
	v_lshrrev_b32_e32 v87, 23, v113
	v_cndmask_b32_e64 v86, v86, 0xffffff92, vcc_lo
	v_xor_b32_e32 v87, 1, v87
	v_add_nc_u32_e32 v86, v112, v86
	v_bfe_u32 v112, v113, 21, 1
	v_add_nc_u32_e32 v112, -1, v112
	v_cndmask_b32_e64 v112, 0, v112, s16
	s_mov_b32 s16, exec_lo
	v_add_nc_u32_e32 v112, v112, v113
	v_and_b32_e32 v112, 0x1fffff, v112
	v_add_nc_u32_e32 v112, v112, v113
                                        ; implicit-def: $vgpr113
	v_cmpx_ne_u32_e64 v86, v87
	s_xor_b32 s16, exec_lo, s16
; %bb.5482:                             ;   in Loop: Header=BB6_5227 Depth=3
	v_cmp_lt_u32_e32 vcc_lo, 0xffffff, v112
	v_sub_nc_u32_e32 v86, v86, v87
	v_cndmask_b32_e64 v87, 0, 1, vcc_lo
	v_add_co_ci_u32_e64 v113, null, 0, v86, vcc_lo
	v_lshrrev_b32_e32 v112, v87, v112
; %bb.5483:                             ;   in Loop: Header=BB6_5227 Depth=3
	s_andn2_saveexec_b32 s16, s16
; %bb.5484:                             ;   in Loop: Header=BB6_5227 Depth=3
	v_bfe_u32 v113, v112, 23, 1
; %bb.5485:                             ;   in Loop: Header=BB6_5227 Depth=3
	s_or_b32 exec_lo, exec_lo, s16
	v_lshrrev_b32_e32 v86, 21, v112
	v_cmp_gt_i32_e32 vcc_lo, 32, v113
	v_min_i32_e32 v87, 31, v113
	v_and_b32_sdwa v18, v18, v60 dst_sel:DWORD dst_unused:UNUSED_PAD src0_sel:BYTE_3 src1_sel:DWORD
	v_cndmask_b32_e32 v86, 3, v86, vcc_lo
	v_lshlrev_b32_e32 v87, 2, v87
	v_or_b32_e32 v112, v113, v86
	v_and_b32_e32 v86, 3, v86
	v_cmp_ne_u32_e32 vcc_lo, 0, v112
	v_or3_b32 v18, v87, v18, v86
	v_cndmask_b32_e32 v119, 0, v18, vcc_lo
.LBB6_5486:                             ;   in Loop: Header=BB6_5227 Depth=3
	s_or_b32 exec_lo, exec_lo, s23
.LBB6_5487:                             ;   in Loop: Header=BB6_5227 Depth=3
	s_or_b32 exec_lo, exec_lo, s19
	v_cmp_gt_i16_sdwa s19, v42, v59 src0_sel:BYTE_0 src1_sel:DWORD
	s_mov_b32 s16, 0
	s_and_saveexec_b32 s23, s19
	s_xor_b32 s19, exec_lo, s23
	s_cbranch_execz .LBB6_5917
; %bb.5488:                             ;   in Loop: Header=BB6_5227 Depth=3
	v_cmp_eq_u16_sdwa s72, v42, v60 src0_sel:BYTE_0 src1_sel:DWORD
	s_mov_b32 s16, -1
	s_and_saveexec_b32 s23, s72
; %bb.5489:                             ;   in Loop: Header=BB6_5227 Depth=3
	s_xor_b32 s16, exec_lo, -1
; %bb.5490:                             ;   in Loop: Header=BB6_5227 Depth=3
	s_or_b32 exec_lo, exec_lo, s23
	s_and_b32 s16, s16, exec_lo
	s_or_saveexec_b32 s19, s19
	v_mov_b32_e32 v18, 0x7f800001
	s_xor_b32 exec_lo, exec_lo, s19
	s_cbranch_execnz .LBB6_5918
.LBB6_5491:                             ;   in Loop: Header=BB6_5227 Depth=3
	s_or_b32 exec_lo, exec_lo, s19
	s_and_saveexec_b32 s19, s16
	s_cbranch_execz .LBB6_5493
.LBB6_5492:                             ;   in Loop: Header=BB6_5227 Depth=3
	v_and_b32_e32 v18, 3, v42
	v_lshrrev_b16 v87, 2, v42
	v_lshlrev_b32_e32 v113, 24, v42
	v_ffbh_u32_e32 v86, v18
	v_and_b32_e32 v87, 31, v87
	v_min_u32_e32 v86, 32, v86
	v_cmp_eq_u32_e32 vcc_lo, 0, v87
	v_subrev_nc_u32_e32 v112, 29, v86
	v_sub_nc_u32_e32 v86, 30, v86
	v_lshlrev_b32_e32 v112, v112, v42
	v_cndmask_b32_e32 v86, v87, v86, vcc_lo
	v_and_b32_e32 v87, 0x80000000, v113
	v_and_b32_e32 v112, 3, v112
	v_lshl_add_u32 v86, v86, 23, 0x37800000
	v_cndmask_b32_e32 v18, v18, v112, vcc_lo
	v_lshlrev_b32_e32 v18, 21, v18
	v_or3_b32 v18, v87, v86, v18
.LBB6_5493:                             ;   in Loop: Header=BB6_5227 Depth=3
	s_or_b32 exec_lo, exec_lo, s19
	s_waitcnt vmcnt(18) lgkmcnt(18)
	v_cmp_gt_i16_sdwa s19, v107, v59 src0_sel:BYTE_0 src1_sel:DWORD
	s_mov_b32 s16, 0
	s_and_saveexec_b32 s23, s19
	s_xor_b32 s19, exec_lo, s23
	s_cbranch_execz .LBB6_5919
; %bb.5494:                             ;   in Loop: Header=BB6_5227 Depth=3
	v_cmp_eq_u16_sdwa s72, v107, v60 src0_sel:BYTE_0 src1_sel:DWORD
	s_mov_b32 s16, -1
	s_and_saveexec_b32 s23, s72
; %bb.5495:                             ;   in Loop: Header=BB6_5227 Depth=3
	s_xor_b32 s16, exec_lo, -1
; %bb.5496:                             ;   in Loop: Header=BB6_5227 Depth=3
	s_or_b32 exec_lo, exec_lo, s23
	s_and_b32 s16, s16, exec_lo
	s_or_saveexec_b32 s19, s19
	v_mov_b32_e32 v86, 0x7f800001
	s_xor_b32 exec_lo, exec_lo, s19
	s_cbranch_execnz .LBB6_5920
.LBB6_5497:                             ;   in Loop: Header=BB6_5227 Depth=3
	s_or_b32 exec_lo, exec_lo, s19
	s_and_saveexec_b32 s19, s16
	s_cbranch_execz .LBB6_5499
.LBB6_5498:                             ;   in Loop: Header=BB6_5227 Depth=3
	v_and_b32_e32 v86, 3, v107
	v_lshrrev_b16 v112, 2, v107
	v_lshlrev_b32_e32 v42, 24, v107
	v_ffbh_u32_e32 v87, v86
	v_and_b32_e32 v112, 31, v112
	v_min_u32_e32 v87, 32, v87
	v_cmp_eq_u32_e32 vcc_lo, 0, v112
	v_subrev_nc_u32_e32 v113, 29, v87
	v_sub_nc_u32_e32 v87, 30, v87
	v_lshlrev_b32_e32 v113, v113, v107
	v_cndmask_b32_e32 v87, v112, v87, vcc_lo
	v_and_b32_e32 v112, 0x80000000, v42
	v_and_b32_e32 v113, 3, v113
	v_lshl_add_u32 v87, v87, 23, 0x37800000
	v_cndmask_b32_e32 v86, v86, v113, vcc_lo
	v_lshlrev_b32_e32 v86, 21, v86
	v_or3_b32 v86, v112, v87, v86
.LBB6_5499:                             ;   in Loop: Header=BB6_5227 Depth=3
	s_or_b32 exec_lo, exec_lo, s19
	v_mul_f32_e32 v18, v18, v86
	v_mov_b32_e32 v42, 0x80
	s_mov_b32 s19, exec_lo
	v_and_b32_e32 v86, 0x7f800000, v18
	v_cmpx_ne_u32_e32 0x7f800000, v86
	s_cbranch_execz .LBB6_5507
; %bb.5500:                             ;   in Loop: Header=BB6_5227 Depth=3
	v_mov_b32_e32 v42, 0
	s_mov_b32 s23, exec_lo
	v_cmpx_ne_u32_e32 0, v18
	s_cbranch_execz .LBB6_5506
; %bb.5501:                             ;   in Loop: Header=BB6_5227 Depth=3
	v_bfe_u32 v87, v18, 23, 8
	v_and_b32_e32 v86, 0x7fffff, v18
	v_cmp_gt_u32_e64 s16, 0x71, v87
	v_sub_nc_u32_e32 v112, 0x70, v87
	v_cmp_eq_u32_e32 vcc_lo, 0, v87
	v_or_b32_e32 v113, 0x800000, v86
	v_cndmask_b32_e64 v112, 0, v112, s16
	v_cndmask_b32_e32 v86, v113, v86, vcc_lo
	v_cndmask_b32_e64 v112, v112, 0x6f, vcc_lo
	v_lshl_add_u32 v113, 0x200000, v112, -1
	v_lshlrev_b32_e64 v42, v112, 0x100000
	v_and_b32_e32 v113, v113, v86
	v_cmp_eq_u32_e64 s16, v113, v42
	v_lshrrev_b32_e32 v113, v112, v86
	v_add_nc_u32_e32 v86, 0xffffff91, v87
	v_lshrrev_b32_e32 v87, 23, v113
	v_cndmask_b32_e64 v86, v86, 0xffffff92, vcc_lo
	v_xor_b32_e32 v87, 1, v87
	v_add_nc_u32_e32 v86, v112, v86
	v_bfe_u32 v112, v113, 21, 1
	v_add_nc_u32_e32 v112, -1, v112
	v_cndmask_b32_e64 v112, 0, v112, s16
	s_mov_b32 s16, exec_lo
	v_add_nc_u32_e32 v112, v112, v113
	v_and_b32_e32 v112, 0x1fffff, v112
	v_add_nc_u32_e32 v112, v112, v113
                                        ; implicit-def: $vgpr113
	v_cmpx_ne_u32_e64 v86, v87
	s_xor_b32 s16, exec_lo, s16
; %bb.5502:                             ;   in Loop: Header=BB6_5227 Depth=3
	v_cmp_lt_u32_e32 vcc_lo, 0xffffff, v112
	v_sub_nc_u32_e32 v86, v86, v87
	v_cndmask_b32_e64 v87, 0, 1, vcc_lo
	v_add_co_ci_u32_e64 v113, null, 0, v86, vcc_lo
	v_lshrrev_b32_e32 v112, v87, v112
; %bb.5503:                             ;   in Loop: Header=BB6_5227 Depth=3
	s_andn2_saveexec_b32 s16, s16
; %bb.5504:                             ;   in Loop: Header=BB6_5227 Depth=3
	v_bfe_u32 v113, v112, 23, 1
; %bb.5505:                             ;   in Loop: Header=BB6_5227 Depth=3
	s_or_b32 exec_lo, exec_lo, s16
	v_lshrrev_b32_e32 v86, 21, v112
	v_cmp_gt_i32_e32 vcc_lo, 32, v113
	v_min_i32_e32 v87, 31, v113
	v_and_b32_sdwa v18, v18, v60 dst_sel:DWORD dst_unused:UNUSED_PAD src0_sel:BYTE_3 src1_sel:DWORD
	v_cndmask_b32_e32 v86, 3, v86, vcc_lo
	v_lshlrev_b32_e32 v87, 2, v87
	v_or_b32_e32 v112, v113, v86
	v_and_b32_e32 v86, 3, v86
	v_cmp_ne_u32_e32 vcc_lo, 0, v112
	v_or3_b32 v18, v87, v18, v86
	v_cndmask_b32_e32 v42, 0, v18, vcc_lo
.LBB6_5506:                             ;   in Loop: Header=BB6_5227 Depth=3
	s_or_b32 exec_lo, exec_lo, s23
.LBB6_5507:                             ;   in Loop: Header=BB6_5227 Depth=3
	s_or_b32 exec_lo, exec_lo, s19
	v_cmp_gt_i16_sdwa s19, v98, v59 src0_sel:BYTE_0 src1_sel:DWORD
	s_mov_b32 s16, 0
	s_and_saveexec_b32 s23, s19
	s_xor_b32 s19, exec_lo, s23
	s_cbranch_execz .LBB6_5921
; %bb.5508:                             ;   in Loop: Header=BB6_5227 Depth=3
	v_cmp_eq_u16_sdwa s72, v98, v60 src0_sel:BYTE_0 src1_sel:DWORD
	s_mov_b32 s16, -1
	s_and_saveexec_b32 s23, s72
; %bb.5509:                             ;   in Loop: Header=BB6_5227 Depth=3
	s_xor_b32 s16, exec_lo, -1
; %bb.5510:                             ;   in Loop: Header=BB6_5227 Depth=3
	s_or_b32 exec_lo, exec_lo, s23
	s_and_b32 s16, s16, exec_lo
	s_or_saveexec_b32 s19, s19
	v_mov_b32_e32 v18, 0x7f800001
	s_xor_b32 exec_lo, exec_lo, s19
	s_cbranch_execnz .LBB6_5922
.LBB6_5511:                             ;   in Loop: Header=BB6_5227 Depth=3
	s_or_b32 exec_lo, exec_lo, s19
	s_and_saveexec_b32 s19, s16
	s_cbranch_execz .LBB6_5513
.LBB6_5512:                             ;   in Loop: Header=BB6_5227 Depth=3
	v_and_b32_e32 v18, 3, v98
	v_lshrrev_b16 v87, 2, v98
	v_ffbh_u32_e32 v86, v18
	v_and_b32_e32 v87, 31, v87
	v_min_u32_e32 v86, 32, v86
	v_cmp_eq_u32_e32 vcc_lo, 0, v87
	v_subrev_nc_u32_e32 v112, 29, v86
	v_sub_nc_u32_e32 v86, 30, v86
	v_lshlrev_b32_e32 v112, v112, v98
	v_lshlrev_b32_e32 v98, 24, v98
	v_cndmask_b32_e32 v86, v87, v86, vcc_lo
	v_and_b32_e32 v112, 3, v112
	v_and_b32_e32 v87, 0x80000000, v98
	v_lshl_add_u32 v86, v86, 23, 0x37800000
	v_cndmask_b32_e32 v18, v18, v112, vcc_lo
	v_lshlrev_b32_e32 v18, 21, v18
	v_or3_b32 v18, v87, v86, v18
.LBB6_5513:                             ;   in Loop: Header=BB6_5227 Depth=3
	s_or_b32 exec_lo, exec_lo, s19
	s_waitcnt vmcnt(17) lgkmcnt(17)
	v_cmp_gt_i16_sdwa s19, v99, v59 src0_sel:BYTE_0 src1_sel:DWORD
	s_mov_b32 s16, 0
	s_and_saveexec_b32 s23, s19
	s_xor_b32 s19, exec_lo, s23
	s_cbranch_execz .LBB6_5923
; %bb.5514:                             ;   in Loop: Header=BB6_5227 Depth=3
	v_cmp_eq_u16_sdwa s72, v99, v60 src0_sel:BYTE_0 src1_sel:DWORD
	s_mov_b32 s16, -1
	s_and_saveexec_b32 s23, s72
; %bb.5515:                             ;   in Loop: Header=BB6_5227 Depth=3
	s_xor_b32 s16, exec_lo, -1
; %bb.5516:                             ;   in Loop: Header=BB6_5227 Depth=3
	s_or_b32 exec_lo, exec_lo, s23
	s_and_b32 s16, s16, exec_lo
	s_or_saveexec_b32 s19, s19
	v_mov_b32_e32 v86, 0x7f800001
	s_xor_b32 exec_lo, exec_lo, s19
	s_cbranch_execnz .LBB6_5924
.LBB6_5517:                             ;   in Loop: Header=BB6_5227 Depth=3
	s_or_b32 exec_lo, exec_lo, s19
	s_and_saveexec_b32 s19, s16
	s_cbranch_execz .LBB6_5519
.LBB6_5518:                             ;   in Loop: Header=BB6_5227 Depth=3
	v_and_b32_e32 v86, 3, v99
	v_lshrrev_b16 v98, 2, v99
	v_ffbh_u32_e32 v87, v86
	v_and_b32_e32 v98, 31, v98
	v_min_u32_e32 v87, 32, v87
	v_cmp_eq_u32_e32 vcc_lo, 0, v98
	v_subrev_nc_u32_e32 v112, 29, v87
	v_sub_nc_u32_e32 v87, 30, v87
	v_lshlrev_b32_e32 v112, v112, v99
	v_lshlrev_b32_e32 v99, 24, v99
	v_cndmask_b32_e32 v87, v98, v87, vcc_lo
	v_and_b32_e32 v112, 3, v112
	v_and_b32_e32 v98, 0x80000000, v99
	v_lshl_add_u32 v87, v87, 23, 0x37800000
	v_cndmask_b32_e32 v86, v86, v112, vcc_lo
	v_lshlrev_b32_e32 v86, 21, v86
	v_or3_b32 v86, v98, v87, v86
.LBB6_5519:                             ;   in Loop: Header=BB6_5227 Depth=3
	s_or_b32 exec_lo, exec_lo, s19
	v_mul_f32_e32 v18, v18, v86
	v_mov_b32_e32 v107, 0x80
	s_mov_b32 s19, exec_lo
	v_and_b32_e32 v86, 0x7f800000, v18
	v_cmpx_ne_u32_e32 0x7f800000, v86
	s_cbranch_execz .LBB6_5527
; %bb.5520:                             ;   in Loop: Header=BB6_5227 Depth=3
	v_mov_b32_e32 v107, 0
	s_mov_b32 s23, exec_lo
	v_cmpx_ne_u32_e32 0, v18
	s_cbranch_execz .LBB6_5526
; %bb.5521:                             ;   in Loop: Header=BB6_5227 Depth=3
	v_bfe_u32 v87, v18, 23, 8
	v_and_b32_e32 v86, 0x7fffff, v18
	v_cmp_gt_u32_e64 s16, 0x71, v87
	v_sub_nc_u32_e32 v98, 0x70, v87
	v_cmp_eq_u32_e32 vcc_lo, 0, v87
	v_or_b32_e32 v99, 0x800000, v86
	v_cndmask_b32_e64 v98, 0, v98, s16
	v_cndmask_b32_e32 v86, v99, v86, vcc_lo
	v_cndmask_b32_e64 v98, v98, 0x6f, vcc_lo
	v_lshl_add_u32 v99, 0x200000, v98, -1
	v_lshlrev_b32_e64 v112, v98, 0x100000
	v_and_b32_e32 v99, v99, v86
	v_cmp_eq_u32_e64 s16, v99, v112
	v_lshrrev_b32_e32 v99, v98, v86
	v_add_nc_u32_e32 v86, 0xffffff91, v87
	v_lshrrev_b32_e32 v87, 23, v99
	v_cndmask_b32_e64 v86, v86, 0xffffff92, vcc_lo
	v_xor_b32_e32 v87, 1, v87
	v_add_nc_u32_e32 v86, v98, v86
	v_bfe_u32 v98, v99, 21, 1
	v_add_nc_u32_e32 v98, -1, v98
	v_cndmask_b32_e64 v98, 0, v98, s16
	s_mov_b32 s16, exec_lo
	v_add_nc_u32_e32 v98, v98, v99
	v_and_b32_e32 v98, 0x1fffff, v98
	v_add_nc_u32_e32 v98, v98, v99
                                        ; implicit-def: $vgpr99
	v_cmpx_ne_u32_e64 v86, v87
	s_xor_b32 s16, exec_lo, s16
; %bb.5522:                             ;   in Loop: Header=BB6_5227 Depth=3
	v_cmp_lt_u32_e32 vcc_lo, 0xffffff, v98
	v_sub_nc_u32_e32 v86, v86, v87
	v_cndmask_b32_e64 v87, 0, 1, vcc_lo
	v_add_co_ci_u32_e64 v99, null, 0, v86, vcc_lo
	v_lshrrev_b32_e32 v98, v87, v98
; %bb.5523:                             ;   in Loop: Header=BB6_5227 Depth=3
	s_andn2_saveexec_b32 s16, s16
; %bb.5524:                             ;   in Loop: Header=BB6_5227 Depth=3
	v_bfe_u32 v99, v98, 23, 1
; %bb.5525:                             ;   in Loop: Header=BB6_5227 Depth=3
	s_or_b32 exec_lo, exec_lo, s16
	v_lshrrev_b32_e32 v86, 21, v98
	v_cmp_gt_i32_e32 vcc_lo, 32, v99
	v_min_i32_e32 v87, 31, v99
	v_and_b32_sdwa v18, v18, v60 dst_sel:DWORD dst_unused:UNUSED_PAD src0_sel:BYTE_3 src1_sel:DWORD
	v_cndmask_b32_e32 v86, 3, v86, vcc_lo
	v_lshlrev_b32_e32 v87, 2, v87
	v_or_b32_e32 v98, v99, v86
	v_and_b32_e32 v86, 3, v86
	v_cmp_ne_u32_e32 vcc_lo, 0, v98
	v_or3_b32 v18, v87, v18, v86
	v_cndmask_b32_e32 v107, 0, v18, vcc_lo
.LBB6_5526:                             ;   in Loop: Header=BB6_5227 Depth=3
	s_or_b32 exec_lo, exec_lo, s23
.LBB6_5527:                             ;   in Loop: Header=BB6_5227 Depth=3
	s_or_b32 exec_lo, exec_lo, s19
	v_cmp_gt_i16_sdwa s19, v120, v59 src0_sel:BYTE_0 src1_sel:DWORD
	s_mov_b32 s16, 0
	s_and_saveexec_b32 s23, s19
	s_xor_b32 s19, exec_lo, s23
	s_cbranch_execz .LBB6_5925
; %bb.5528:                             ;   in Loop: Header=BB6_5227 Depth=3
	v_cmp_eq_u16_sdwa s72, v120, v60 src0_sel:BYTE_0 src1_sel:DWORD
	s_mov_b32 s16, -1
	s_and_saveexec_b32 s23, s72
; %bb.5529:                             ;   in Loop: Header=BB6_5227 Depth=3
	s_xor_b32 s16, exec_lo, -1
; %bb.5530:                             ;   in Loop: Header=BB6_5227 Depth=3
	s_or_b32 exec_lo, exec_lo, s23
	s_and_b32 s16, s16, exec_lo
	s_or_saveexec_b32 s19, s19
	v_mov_b32_e32 v18, 0x7f800001
	s_xor_b32 exec_lo, exec_lo, s19
	s_cbranch_execnz .LBB6_5926
.LBB6_5531:                             ;   in Loop: Header=BB6_5227 Depth=3
	s_or_b32 exec_lo, exec_lo, s19
	s_and_saveexec_b32 s19, s16
	s_cbranch_execz .LBB6_5533
.LBB6_5532:                             ;   in Loop: Header=BB6_5227 Depth=3
	v_and_b32_e32 v18, 3, v120
	v_lshrrev_b16 v87, 2, v120
	v_lshlrev_b32_e32 v99, 24, v120
	v_ffbh_u32_e32 v86, v18
	v_and_b32_e32 v87, 31, v87
	v_min_u32_e32 v86, 32, v86
	v_cmp_eq_u32_e32 vcc_lo, 0, v87
	v_subrev_nc_u32_e32 v98, 29, v86
	v_sub_nc_u32_e32 v86, 30, v86
	v_lshlrev_b32_e32 v98, v98, v120
	v_cndmask_b32_e32 v86, v87, v86, vcc_lo
	v_and_b32_e32 v87, 0x80000000, v99
	v_and_b32_e32 v98, 3, v98
	v_lshl_add_u32 v86, v86, 23, 0x37800000
	v_cndmask_b32_e32 v18, v18, v98, vcc_lo
	v_lshlrev_b32_e32 v18, 21, v18
	v_or3_b32 v18, v87, v86, v18
.LBB6_5533:                             ;   in Loop: Header=BB6_5227 Depth=3
	s_or_b32 exec_lo, exec_lo, s19
	s_waitcnt vmcnt(16) lgkmcnt(16)
	v_cmp_gt_i16_sdwa s19, v121, v59 src0_sel:BYTE_0 src1_sel:DWORD
	s_mov_b32 s16, 0
	s_and_saveexec_b32 s23, s19
	s_xor_b32 s19, exec_lo, s23
	s_cbranch_execz .LBB6_5927
; %bb.5534:                             ;   in Loop: Header=BB6_5227 Depth=3
	v_cmp_eq_u16_sdwa s72, v121, v60 src0_sel:BYTE_0 src1_sel:DWORD
	s_mov_b32 s16, -1
	s_and_saveexec_b32 s23, s72
; %bb.5535:                             ;   in Loop: Header=BB6_5227 Depth=3
	s_xor_b32 s16, exec_lo, -1
; %bb.5536:                             ;   in Loop: Header=BB6_5227 Depth=3
	s_or_b32 exec_lo, exec_lo, s23
	s_and_b32 s16, s16, exec_lo
	s_or_saveexec_b32 s19, s19
	v_mov_b32_e32 v86, 0x7f800001
	s_xor_b32 exec_lo, exec_lo, s19
	s_cbranch_execnz .LBB6_5928
.LBB6_5537:                             ;   in Loop: Header=BB6_5227 Depth=3
	s_or_b32 exec_lo, exec_lo, s19
	s_and_saveexec_b32 s19, s16
	s_cbranch_execz .LBB6_5539
.LBB6_5538:                             ;   in Loop: Header=BB6_5227 Depth=3
	v_and_b32_e32 v86, 3, v121
	v_lshrrev_b16 v98, 2, v121
	v_lshlrev_b32_e32 v112, 24, v121
	v_ffbh_u32_e32 v87, v86
	v_and_b32_e32 v98, 31, v98
	v_min_u32_e32 v87, 32, v87
	v_cmp_eq_u32_e32 vcc_lo, 0, v98
	v_subrev_nc_u32_e32 v99, 29, v87
	v_sub_nc_u32_e32 v87, 30, v87
	v_lshlrev_b32_e32 v99, v99, v121
	v_cndmask_b32_e32 v87, v98, v87, vcc_lo
	v_and_b32_e32 v98, 0x80000000, v112
	v_and_b32_e32 v99, 3, v99
	v_lshl_add_u32 v87, v87, 23, 0x37800000
	v_cndmask_b32_e32 v86, v86, v99, vcc_lo
	v_lshlrev_b32_e32 v86, 21, v86
	v_or3_b32 v86, v98, v87, v86
.LBB6_5539:                             ;   in Loop: Header=BB6_5227 Depth=3
	s_or_b32 exec_lo, exec_lo, s19
	v_mul_f32_e32 v18, v18, v86
	v_mov_b32_e32 v120, 0x80
	s_mov_b32 s19, exec_lo
	v_and_b32_e32 v86, 0x7f800000, v18
	v_cmpx_ne_u32_e32 0x7f800000, v86
	s_cbranch_execz .LBB6_5547
; %bb.5540:                             ;   in Loop: Header=BB6_5227 Depth=3
	v_mov_b32_e32 v120, 0
	s_mov_b32 s23, exec_lo
	v_cmpx_ne_u32_e32 0, v18
	s_cbranch_execz .LBB6_5546
; %bb.5541:                             ;   in Loop: Header=BB6_5227 Depth=3
	v_bfe_u32 v87, v18, 23, 8
	v_and_b32_e32 v86, 0x7fffff, v18
	v_cmp_gt_u32_e64 s16, 0x71, v87
	v_sub_nc_u32_e32 v98, 0x70, v87
	v_cmp_eq_u32_e32 vcc_lo, 0, v87
	v_or_b32_e32 v99, 0x800000, v86
	v_cndmask_b32_e64 v98, 0, v98, s16
	v_cndmask_b32_e32 v86, v99, v86, vcc_lo
	v_cndmask_b32_e64 v98, v98, 0x6f, vcc_lo
	v_lshl_add_u32 v99, 0x200000, v98, -1
	v_lshlrev_b32_e64 v112, v98, 0x100000
	v_and_b32_e32 v99, v99, v86
	v_cmp_eq_u32_e64 s16, v99, v112
	v_lshrrev_b32_e32 v99, v98, v86
	v_add_nc_u32_e32 v86, 0xffffff91, v87
	v_lshrrev_b32_e32 v87, 23, v99
	v_cndmask_b32_e64 v86, v86, 0xffffff92, vcc_lo
	v_xor_b32_e32 v87, 1, v87
	v_add_nc_u32_e32 v86, v98, v86
	v_bfe_u32 v98, v99, 21, 1
	v_add_nc_u32_e32 v98, -1, v98
	v_cndmask_b32_e64 v98, 0, v98, s16
	s_mov_b32 s16, exec_lo
	v_add_nc_u32_e32 v98, v98, v99
	v_and_b32_e32 v98, 0x1fffff, v98
	v_add_nc_u32_e32 v98, v98, v99
                                        ; implicit-def: $vgpr99
	v_cmpx_ne_u32_e64 v86, v87
	s_xor_b32 s16, exec_lo, s16
; %bb.5542:                             ;   in Loop: Header=BB6_5227 Depth=3
	v_cmp_lt_u32_e32 vcc_lo, 0xffffff, v98
	v_sub_nc_u32_e32 v86, v86, v87
	v_cndmask_b32_e64 v87, 0, 1, vcc_lo
	v_add_co_ci_u32_e64 v99, null, 0, v86, vcc_lo
	v_lshrrev_b32_e32 v98, v87, v98
; %bb.5543:                             ;   in Loop: Header=BB6_5227 Depth=3
	s_andn2_saveexec_b32 s16, s16
; %bb.5544:                             ;   in Loop: Header=BB6_5227 Depth=3
	v_bfe_u32 v99, v98, 23, 1
; %bb.5545:                             ;   in Loop: Header=BB6_5227 Depth=3
	s_or_b32 exec_lo, exec_lo, s16
	v_lshrrev_b32_e32 v86, 21, v98
	v_cmp_gt_i32_e32 vcc_lo, 32, v99
	v_min_i32_e32 v87, 31, v99
	v_and_b32_sdwa v18, v18, v60 dst_sel:DWORD dst_unused:UNUSED_PAD src0_sel:BYTE_3 src1_sel:DWORD
	v_cndmask_b32_e32 v86, 3, v86, vcc_lo
	v_lshlrev_b32_e32 v87, 2, v87
	v_or_b32_e32 v98, v99, v86
	v_and_b32_e32 v86, 3, v86
	v_cmp_ne_u32_e32 vcc_lo, 0, v98
	v_or3_b32 v18, v87, v18, v86
	v_cndmask_b32_e32 v120, 0, v18, vcc_lo
.LBB6_5546:                             ;   in Loop: Header=BB6_5227 Depth=3
	s_or_b32 exec_lo, exec_lo, s23
.LBB6_5547:                             ;   in Loop: Header=BB6_5227 Depth=3
	s_or_b32 exec_lo, exec_lo, s19
	v_cmp_gt_i16_sdwa s19, v110, v59 src0_sel:BYTE_0 src1_sel:DWORD
	s_mov_b32 s16, 0
	s_and_saveexec_b32 s23, s19
	s_xor_b32 s19, exec_lo, s23
	s_cbranch_execz .LBB6_5929
; %bb.5548:                             ;   in Loop: Header=BB6_5227 Depth=3
	v_cmp_eq_u16_sdwa s72, v110, v60 src0_sel:BYTE_0 src1_sel:DWORD
	s_mov_b32 s16, -1
	s_and_saveexec_b32 s23, s72
; %bb.5549:                             ;   in Loop: Header=BB6_5227 Depth=3
	s_xor_b32 s16, exec_lo, -1
; %bb.5550:                             ;   in Loop: Header=BB6_5227 Depth=3
	s_or_b32 exec_lo, exec_lo, s23
	s_and_b32 s16, s16, exec_lo
	s_or_saveexec_b32 s19, s19
	v_mov_b32_e32 v18, 0x7f800001
	s_xor_b32 exec_lo, exec_lo, s19
	s_cbranch_execnz .LBB6_5930
.LBB6_5551:                             ;   in Loop: Header=BB6_5227 Depth=3
	s_or_b32 exec_lo, exec_lo, s19
	s_and_saveexec_b32 s19, s16
	s_cbranch_execz .LBB6_5553
.LBB6_5552:                             ;   in Loop: Header=BB6_5227 Depth=3
	v_and_b32_e32 v18, 3, v110
	v_lshrrev_b16 v87, 2, v110
	v_lshlrev_b32_e32 v99, 24, v110
	v_ffbh_u32_e32 v86, v18
	v_and_b32_e32 v87, 31, v87
	v_min_u32_e32 v86, 32, v86
	v_cmp_eq_u32_e32 vcc_lo, 0, v87
	v_subrev_nc_u32_e32 v98, 29, v86
	v_sub_nc_u32_e32 v86, 30, v86
	v_lshlrev_b32_e32 v98, v98, v110
	v_cndmask_b32_e32 v86, v87, v86, vcc_lo
	v_and_b32_e32 v87, 0x80000000, v99
	v_and_b32_e32 v98, 3, v98
	v_lshl_add_u32 v86, v86, 23, 0x37800000
	v_cndmask_b32_e32 v18, v18, v98, vcc_lo
	v_lshlrev_b32_e32 v18, 21, v18
	v_or3_b32 v18, v87, v86, v18
.LBB6_5553:                             ;   in Loop: Header=BB6_5227 Depth=3
	s_or_b32 exec_lo, exec_lo, s19
	s_waitcnt vmcnt(15) lgkmcnt(15)
	v_cmp_gt_i16_sdwa s19, v111, v59 src0_sel:BYTE_0 src1_sel:DWORD
	s_mov_b32 s16, 0
	s_and_saveexec_b32 s23, s19
	s_xor_b32 s19, exec_lo, s23
	s_cbranch_execz .LBB6_5931
; %bb.5554:                             ;   in Loop: Header=BB6_5227 Depth=3
	v_cmp_eq_u16_sdwa s72, v111, v60 src0_sel:BYTE_0 src1_sel:DWORD
	s_mov_b32 s16, -1
	s_and_saveexec_b32 s23, s72
; %bb.5555:                             ;   in Loop: Header=BB6_5227 Depth=3
	s_xor_b32 s16, exec_lo, -1
; %bb.5556:                             ;   in Loop: Header=BB6_5227 Depth=3
	s_or_b32 exec_lo, exec_lo, s23
	s_and_b32 s16, s16, exec_lo
	s_or_saveexec_b32 s19, s19
	v_mov_b32_e32 v86, 0x7f800001
	s_xor_b32 exec_lo, exec_lo, s19
	s_cbranch_execnz .LBB6_5932
.LBB6_5557:                             ;   in Loop: Header=BB6_5227 Depth=3
	s_or_b32 exec_lo, exec_lo, s19
	s_and_saveexec_b32 s19, s16
	s_cbranch_execz .LBB6_5559
.LBB6_5558:                             ;   in Loop: Header=BB6_5227 Depth=3
	v_and_b32_e32 v86, 3, v111
	v_lshrrev_b16 v98, 2, v111
	v_lshlrev_b32_e32 v112, 24, v111
	v_ffbh_u32_e32 v87, v86
	v_and_b32_e32 v98, 31, v98
	v_min_u32_e32 v87, 32, v87
	v_cmp_eq_u32_e32 vcc_lo, 0, v98
	v_subrev_nc_u32_e32 v99, 29, v87
	v_sub_nc_u32_e32 v87, 30, v87
	v_lshlrev_b32_e32 v99, v99, v111
	v_cndmask_b32_e32 v87, v98, v87, vcc_lo
	v_and_b32_e32 v98, 0x80000000, v112
	v_and_b32_e32 v99, 3, v99
	v_lshl_add_u32 v87, v87, 23, 0x37800000
	v_cndmask_b32_e32 v86, v86, v99, vcc_lo
	v_lshlrev_b32_e32 v86, 21, v86
	v_or3_b32 v86, v98, v87, v86
.LBB6_5559:                             ;   in Loop: Header=BB6_5227 Depth=3
	s_or_b32 exec_lo, exec_lo, s19
	v_mul_f32_e32 v18, v18, v86
	v_mov_b32_e32 v110, 0x80
	s_mov_b32 s19, exec_lo
	v_and_b32_e32 v86, 0x7f800000, v18
	v_cmpx_ne_u32_e32 0x7f800000, v86
	s_cbranch_execz .LBB6_5567
; %bb.5560:                             ;   in Loop: Header=BB6_5227 Depth=3
	v_mov_b32_e32 v110, 0
	s_mov_b32 s23, exec_lo
	v_cmpx_ne_u32_e32 0, v18
	s_cbranch_execz .LBB6_5566
; %bb.5561:                             ;   in Loop: Header=BB6_5227 Depth=3
	v_bfe_u32 v87, v18, 23, 8
	v_and_b32_e32 v86, 0x7fffff, v18
	v_cmp_gt_u32_e64 s16, 0x71, v87
	v_sub_nc_u32_e32 v98, 0x70, v87
	v_cmp_eq_u32_e32 vcc_lo, 0, v87
	v_or_b32_e32 v99, 0x800000, v86
	v_cndmask_b32_e64 v98, 0, v98, s16
	v_cndmask_b32_e32 v86, v99, v86, vcc_lo
	v_cndmask_b32_e64 v98, v98, 0x6f, vcc_lo
	v_lshl_add_u32 v99, 0x200000, v98, -1
	v_lshlrev_b32_e64 v112, v98, 0x100000
	v_and_b32_e32 v99, v99, v86
	v_cmp_eq_u32_e64 s16, v99, v112
	v_lshrrev_b32_e32 v99, v98, v86
	v_add_nc_u32_e32 v86, 0xffffff91, v87
	v_lshrrev_b32_e32 v87, 23, v99
	v_cndmask_b32_e64 v86, v86, 0xffffff92, vcc_lo
	v_xor_b32_e32 v87, 1, v87
	v_add_nc_u32_e32 v86, v98, v86
	v_bfe_u32 v98, v99, 21, 1
	v_add_nc_u32_e32 v98, -1, v98
	v_cndmask_b32_e64 v98, 0, v98, s16
	s_mov_b32 s16, exec_lo
	v_add_nc_u32_e32 v98, v98, v99
	v_and_b32_e32 v98, 0x1fffff, v98
	v_add_nc_u32_e32 v98, v98, v99
                                        ; implicit-def: $vgpr99
	v_cmpx_ne_u32_e64 v86, v87
	s_xor_b32 s16, exec_lo, s16
; %bb.5562:                             ;   in Loop: Header=BB6_5227 Depth=3
	v_cmp_lt_u32_e32 vcc_lo, 0xffffff, v98
	v_sub_nc_u32_e32 v86, v86, v87
	v_cndmask_b32_e64 v87, 0, 1, vcc_lo
	v_add_co_ci_u32_e64 v99, null, 0, v86, vcc_lo
	v_lshrrev_b32_e32 v98, v87, v98
; %bb.5563:                             ;   in Loop: Header=BB6_5227 Depth=3
	s_andn2_saveexec_b32 s16, s16
; %bb.5564:                             ;   in Loop: Header=BB6_5227 Depth=3
	v_bfe_u32 v99, v98, 23, 1
; %bb.5565:                             ;   in Loop: Header=BB6_5227 Depth=3
	s_or_b32 exec_lo, exec_lo, s16
	v_lshrrev_b32_e32 v86, 21, v98
	v_cmp_gt_i32_e32 vcc_lo, 32, v99
	v_min_i32_e32 v87, 31, v99
	v_and_b32_sdwa v18, v18, v60 dst_sel:DWORD dst_unused:UNUSED_PAD src0_sel:BYTE_3 src1_sel:DWORD
	v_cndmask_b32_e32 v86, 3, v86, vcc_lo
	v_lshlrev_b32_e32 v87, 2, v87
	v_or_b32_e32 v98, v99, v86
	v_and_b32_e32 v86, 3, v86
	v_cmp_ne_u32_e32 vcc_lo, 0, v98
	v_or3_b32 v18, v87, v18, v86
	v_cndmask_b32_e32 v110, 0, v18, vcc_lo
.LBB6_5566:                             ;   in Loop: Header=BB6_5227 Depth=3
	s_or_b32 exec_lo, exec_lo, s23
.LBB6_5567:                             ;   in Loop: Header=BB6_5227 Depth=3
	s_or_b32 exec_lo, exec_lo, s19
	v_cmp_gt_i16_sdwa s19, v43, v59 src0_sel:BYTE_0 src1_sel:DWORD
	s_mov_b32 s16, 0
	s_and_saveexec_b32 s23, s19
	s_xor_b32 s19, exec_lo, s23
	s_cbranch_execz .LBB6_5933
; %bb.5568:                             ;   in Loop: Header=BB6_5227 Depth=3
	v_cmp_eq_u16_sdwa s72, v43, v60 src0_sel:BYTE_0 src1_sel:DWORD
	s_mov_b32 s16, -1
	s_and_saveexec_b32 s23, s72
; %bb.5569:                             ;   in Loop: Header=BB6_5227 Depth=3
	s_xor_b32 s16, exec_lo, -1
; %bb.5570:                             ;   in Loop: Header=BB6_5227 Depth=3
	s_or_b32 exec_lo, exec_lo, s23
	s_and_b32 s16, s16, exec_lo
	s_or_saveexec_b32 s19, s19
	v_mov_b32_e32 v18, 0x7f800001
	s_xor_b32 exec_lo, exec_lo, s19
	s_cbranch_execnz .LBB6_5934
.LBB6_5571:                             ;   in Loop: Header=BB6_5227 Depth=3
	s_or_b32 exec_lo, exec_lo, s19
	s_and_saveexec_b32 s19, s16
	s_cbranch_execz .LBB6_5573
.LBB6_5572:                             ;   in Loop: Header=BB6_5227 Depth=3
	v_and_b32_e32 v18, 3, v43
	v_lshrrev_b16 v87, 2, v43
	v_lshlrev_b32_e32 v99, 24, v43
	v_ffbh_u32_e32 v86, v18
	v_and_b32_e32 v87, 31, v87
	v_min_u32_e32 v86, 32, v86
	v_cmp_eq_u32_e32 vcc_lo, 0, v87
	v_subrev_nc_u32_e32 v98, 29, v86
	v_sub_nc_u32_e32 v86, 30, v86
	v_lshlrev_b32_e32 v98, v98, v43
	v_cndmask_b32_e32 v86, v87, v86, vcc_lo
	v_and_b32_e32 v87, 0x80000000, v99
	v_and_b32_e32 v98, 3, v98
	v_lshl_add_u32 v86, v86, 23, 0x37800000
	v_cndmask_b32_e32 v18, v18, v98, vcc_lo
	v_lshlrev_b32_e32 v18, 21, v18
	v_or3_b32 v18, v87, v86, v18
.LBB6_5573:                             ;   in Loop: Header=BB6_5227 Depth=3
	s_or_b32 exec_lo, exec_lo, s19
	s_waitcnt vmcnt(14) lgkmcnt(14)
	v_cmp_gt_i16_sdwa s19, v91, v59 src0_sel:BYTE_0 src1_sel:DWORD
	s_mov_b32 s16, 0
	s_and_saveexec_b32 s23, s19
	s_xor_b32 s19, exec_lo, s23
	s_cbranch_execz .LBB6_5935
; %bb.5574:                             ;   in Loop: Header=BB6_5227 Depth=3
	v_cmp_eq_u16_sdwa s72, v91, v60 src0_sel:BYTE_0 src1_sel:DWORD
	s_mov_b32 s16, -1
	s_and_saveexec_b32 s23, s72
; %bb.5575:                             ;   in Loop: Header=BB6_5227 Depth=3
	s_xor_b32 s16, exec_lo, -1
; %bb.5576:                             ;   in Loop: Header=BB6_5227 Depth=3
	s_or_b32 exec_lo, exec_lo, s23
	s_and_b32 s16, s16, exec_lo
	s_or_saveexec_b32 s19, s19
	v_mov_b32_e32 v86, 0x7f800001
	s_xor_b32 exec_lo, exec_lo, s19
	s_cbranch_execnz .LBB6_5936
.LBB6_5577:                             ;   in Loop: Header=BB6_5227 Depth=3
	s_or_b32 exec_lo, exec_lo, s19
	s_and_saveexec_b32 s19, s16
	s_cbranch_execz .LBB6_5579
.LBB6_5578:                             ;   in Loop: Header=BB6_5227 Depth=3
	v_and_b32_e32 v86, 3, v91
	v_lshrrev_b16 v98, 2, v91
	v_lshlrev_b32_e32 v112, 24, v91
	v_ffbh_u32_e32 v87, v86
	v_and_b32_e32 v98, 31, v98
	v_min_u32_e32 v87, 32, v87
	v_cmp_eq_u32_e32 vcc_lo, 0, v98
	v_subrev_nc_u32_e32 v99, 29, v87
	v_sub_nc_u32_e32 v87, 30, v87
	v_lshlrev_b32_e32 v99, v99, v91
	v_cndmask_b32_e32 v87, v98, v87, vcc_lo
	v_and_b32_e32 v98, 0x80000000, v112
	v_and_b32_e32 v99, 3, v99
	v_lshl_add_u32 v87, v87, 23, 0x37800000
	v_cndmask_b32_e32 v86, v86, v99, vcc_lo
	v_lshlrev_b32_e32 v86, 21, v86
	v_or3_b32 v86, v98, v87, v86
.LBB6_5579:                             ;   in Loop: Header=BB6_5227 Depth=3
	s_or_b32 exec_lo, exec_lo, s19
	v_mul_f32_e32 v18, v18, v86
	v_mov_b32_e32 v98, 0x80
	s_mov_b32 s19, exec_lo
	v_and_b32_e32 v86, 0x7f800000, v18
	v_cmpx_ne_u32_e32 0x7f800000, v86
	s_cbranch_execz .LBB6_5587
; %bb.5580:                             ;   in Loop: Header=BB6_5227 Depth=3
	v_mov_b32_e32 v98, 0
	s_mov_b32 s23, exec_lo
	v_cmpx_ne_u32_e32 0, v18
	s_cbranch_execz .LBB6_5586
; %bb.5581:                             ;   in Loop: Header=BB6_5227 Depth=3
	v_bfe_u32 v87, v18, 23, 8
	v_and_b32_e32 v86, 0x7fffff, v18
	v_cmp_gt_u32_e64 s16, 0x71, v87
	v_sub_nc_u32_e32 v98, 0x70, v87
	v_cmp_eq_u32_e32 vcc_lo, 0, v87
	v_or_b32_e32 v99, 0x800000, v86
	v_cndmask_b32_e64 v98, 0, v98, s16
	v_cndmask_b32_e32 v86, v99, v86, vcc_lo
	v_cndmask_b32_e64 v98, v98, 0x6f, vcc_lo
	v_lshl_add_u32 v99, 0x200000, v98, -1
	v_lshlrev_b32_e64 v112, v98, 0x100000
	v_and_b32_e32 v99, v99, v86
	v_cmp_eq_u32_e64 s16, v99, v112
	v_lshrrev_b32_e32 v99, v98, v86
	v_add_nc_u32_e32 v86, 0xffffff91, v87
	v_lshrrev_b32_e32 v87, 23, v99
	v_cndmask_b32_e64 v86, v86, 0xffffff92, vcc_lo
	v_xor_b32_e32 v87, 1, v87
	v_add_nc_u32_e32 v86, v98, v86
	v_bfe_u32 v98, v99, 21, 1
	v_add_nc_u32_e32 v98, -1, v98
	v_cndmask_b32_e64 v98, 0, v98, s16
	s_mov_b32 s16, exec_lo
	v_add_nc_u32_e32 v98, v98, v99
	v_and_b32_e32 v98, 0x1fffff, v98
	v_add_nc_u32_e32 v98, v98, v99
                                        ; implicit-def: $vgpr99
	v_cmpx_ne_u32_e64 v86, v87
	s_xor_b32 s16, exec_lo, s16
; %bb.5582:                             ;   in Loop: Header=BB6_5227 Depth=3
	v_cmp_lt_u32_e32 vcc_lo, 0xffffff, v98
	v_sub_nc_u32_e32 v86, v86, v87
	v_cndmask_b32_e64 v87, 0, 1, vcc_lo
	v_add_co_ci_u32_e64 v99, null, 0, v86, vcc_lo
	v_lshrrev_b32_e32 v98, v87, v98
; %bb.5583:                             ;   in Loop: Header=BB6_5227 Depth=3
	s_andn2_saveexec_b32 s16, s16
; %bb.5584:                             ;   in Loop: Header=BB6_5227 Depth=3
	v_bfe_u32 v99, v98, 23, 1
; %bb.5585:                             ;   in Loop: Header=BB6_5227 Depth=3
	s_or_b32 exec_lo, exec_lo, s16
	v_lshrrev_b32_e32 v86, 21, v98
	v_cmp_gt_i32_e32 vcc_lo, 32, v99
	v_min_i32_e32 v87, 31, v99
	v_and_b32_sdwa v18, v18, v60 dst_sel:DWORD dst_unused:UNUSED_PAD src0_sel:BYTE_3 src1_sel:DWORD
	v_cndmask_b32_e32 v86, 3, v86, vcc_lo
	v_lshlrev_b32_e32 v87, 2, v87
	v_or_b32_e32 v98, v99, v86
	v_and_b32_e32 v86, 3, v86
	v_cmp_ne_u32_e32 vcc_lo, 0, v98
	v_or3_b32 v18, v87, v18, v86
	v_cndmask_b32_e32 v98, 0, v18, vcc_lo
.LBB6_5586:                             ;   in Loop: Header=BB6_5227 Depth=3
	s_or_b32 exec_lo, exec_lo, s23
.LBB6_5587:                             ;   in Loop: Header=BB6_5227 Depth=3
	s_or_b32 exec_lo, exec_lo, s19
	v_cmp_gt_i16_sdwa s19, v40, v59 src0_sel:BYTE_0 src1_sel:DWORD
	s_mov_b32 s16, 0
	s_and_saveexec_b32 s23, s19
	s_xor_b32 s19, exec_lo, s23
	s_cbranch_execz .LBB6_5937
; %bb.5588:                             ;   in Loop: Header=BB6_5227 Depth=3
	v_cmp_eq_u16_sdwa s72, v40, v60 src0_sel:BYTE_0 src1_sel:DWORD
	s_mov_b32 s16, -1
	s_and_saveexec_b32 s23, s72
; %bb.5589:                             ;   in Loop: Header=BB6_5227 Depth=3
	s_xor_b32 s16, exec_lo, -1
; %bb.5590:                             ;   in Loop: Header=BB6_5227 Depth=3
	s_or_b32 exec_lo, exec_lo, s23
	s_and_b32 s16, s16, exec_lo
	s_or_saveexec_b32 s19, s19
	v_mov_b32_e32 v18, 0x7f800001
	s_xor_b32 exec_lo, exec_lo, s19
	s_cbranch_execnz .LBB6_5938
.LBB6_5591:                             ;   in Loop: Header=BB6_5227 Depth=3
	s_or_b32 exec_lo, exec_lo, s19
	s_and_saveexec_b32 s19, s16
	s_cbranch_execz .LBB6_5593
.LBB6_5592:                             ;   in Loop: Header=BB6_5227 Depth=3
	v_and_b32_e32 v18, 3, v40
	v_lshrrev_b16 v87, 2, v40
	v_lshlrev_b32_e32 v112, 24, v40
	v_ffbh_u32_e32 v86, v18
	v_and_b32_e32 v87, 31, v87
	v_min_u32_e32 v86, 32, v86
	v_cmp_eq_u32_e32 vcc_lo, 0, v87
	v_subrev_nc_u32_e32 v99, 29, v86
	v_sub_nc_u32_e32 v86, 30, v86
	v_lshlrev_b32_e32 v99, v99, v40
	v_cndmask_b32_e32 v86, v87, v86, vcc_lo
	v_and_b32_e32 v87, 0x80000000, v112
	v_and_b32_e32 v99, 3, v99
	v_lshl_add_u32 v86, v86, 23, 0x37800000
	v_cndmask_b32_e32 v18, v18, v99, vcc_lo
	v_lshlrev_b32_e32 v18, 21, v18
	v_or3_b32 v18, v87, v86, v18
.LBB6_5593:                             ;   in Loop: Header=BB6_5227 Depth=3
	s_or_b32 exec_lo, exec_lo, s19
	s_waitcnt vmcnt(13) lgkmcnt(13)
	v_cmp_gt_i16_sdwa s19, v41, v59 src0_sel:BYTE_0 src1_sel:DWORD
	s_mov_b32 s16, 0
	s_and_saveexec_b32 s23, s19
	s_xor_b32 s19, exec_lo, s23
	s_cbranch_execz .LBB6_5939
; %bb.5594:                             ;   in Loop: Header=BB6_5227 Depth=3
	v_cmp_eq_u16_sdwa s72, v41, v60 src0_sel:BYTE_0 src1_sel:DWORD
	s_mov_b32 s16, -1
	s_and_saveexec_b32 s23, s72
; %bb.5595:                             ;   in Loop: Header=BB6_5227 Depth=3
	s_xor_b32 s16, exec_lo, -1
; %bb.5596:                             ;   in Loop: Header=BB6_5227 Depth=3
	s_or_b32 exec_lo, exec_lo, s23
	s_and_b32 s16, s16, exec_lo
	s_or_saveexec_b32 s19, s19
	v_mov_b32_e32 v86, 0x7f800001
	s_xor_b32 exec_lo, exec_lo, s19
	s_cbranch_execnz .LBB6_5940
.LBB6_5597:                             ;   in Loop: Header=BB6_5227 Depth=3
	s_or_b32 exec_lo, exec_lo, s19
	s_and_saveexec_b32 s19, s16
	s_cbranch_execz .LBB6_5599
.LBB6_5598:                             ;   in Loop: Header=BB6_5227 Depth=3
	v_and_b32_e32 v86, 3, v41
	v_lshrrev_b16 v99, 2, v41
	v_lshlrev_b32_e32 v113, 24, v41
	v_ffbh_u32_e32 v87, v86
	v_and_b32_e32 v99, 31, v99
	v_min_u32_e32 v87, 32, v87
	v_cmp_eq_u32_e32 vcc_lo, 0, v99
	v_subrev_nc_u32_e32 v112, 29, v87
	v_sub_nc_u32_e32 v87, 30, v87
	v_lshlrev_b32_e32 v112, v112, v41
	v_cndmask_b32_e32 v87, v99, v87, vcc_lo
	v_and_b32_e32 v99, 0x80000000, v113
	v_and_b32_e32 v112, 3, v112
	v_lshl_add_u32 v87, v87, 23, 0x37800000
	v_cndmask_b32_e32 v86, v86, v112, vcc_lo
	v_lshlrev_b32_e32 v86, 21, v86
	v_or3_b32 v86, v99, v87, v86
.LBB6_5599:                             ;   in Loop: Header=BB6_5227 Depth=3
	s_or_b32 exec_lo, exec_lo, s19
	v_mul_f32_e32 v18, v18, v86
	v_mov_b32_e32 v99, 0x80
	s_mov_b32 s19, exec_lo
	v_and_b32_e32 v86, 0x7f800000, v18
	v_cmpx_ne_u32_e32 0x7f800000, v86
	s_cbranch_execz .LBB6_5607
; %bb.5600:                             ;   in Loop: Header=BB6_5227 Depth=3
	v_mov_b32_e32 v99, 0
	s_mov_b32 s23, exec_lo
	v_cmpx_ne_u32_e32 0, v18
	s_cbranch_execz .LBB6_5606
; %bb.5601:                             ;   in Loop: Header=BB6_5227 Depth=3
	v_bfe_u32 v87, v18, 23, 8
	v_and_b32_e32 v86, 0x7fffff, v18
	v_cmp_gt_u32_e64 s16, 0x71, v87
	v_sub_nc_u32_e32 v99, 0x70, v87
	v_cmp_eq_u32_e32 vcc_lo, 0, v87
	v_or_b32_e32 v112, 0x800000, v86
	v_cndmask_b32_e64 v99, 0, v99, s16
	v_cndmask_b32_e32 v86, v112, v86, vcc_lo
	v_cndmask_b32_e64 v99, v99, 0x6f, vcc_lo
	v_lshl_add_u32 v112, 0x200000, v99, -1
	v_lshlrev_b32_e64 v113, v99, 0x100000
	v_and_b32_e32 v112, v112, v86
	v_cmp_eq_u32_e64 s16, v112, v113
	v_lshrrev_b32_e32 v112, v99, v86
	v_add_nc_u32_e32 v86, 0xffffff91, v87
	v_lshrrev_b32_e32 v87, 23, v112
	v_cndmask_b32_e64 v86, v86, 0xffffff92, vcc_lo
	v_xor_b32_e32 v87, 1, v87
	v_add_nc_u32_e32 v86, v99, v86
	v_bfe_u32 v99, v112, 21, 1
	v_add_nc_u32_e32 v99, -1, v99
	v_cndmask_b32_e64 v99, 0, v99, s16
	s_mov_b32 s16, exec_lo
	v_add_nc_u32_e32 v99, v99, v112
	v_and_b32_e32 v99, 0x1fffff, v99
	v_add_nc_u32_e32 v99, v99, v112
                                        ; implicit-def: $vgpr112
	v_cmpx_ne_u32_e64 v86, v87
	s_xor_b32 s16, exec_lo, s16
; %bb.5602:                             ;   in Loop: Header=BB6_5227 Depth=3
	v_cmp_lt_u32_e32 vcc_lo, 0xffffff, v99
	v_sub_nc_u32_e32 v86, v86, v87
	v_cndmask_b32_e64 v87, 0, 1, vcc_lo
	v_add_co_ci_u32_e64 v112, null, 0, v86, vcc_lo
	v_lshrrev_b32_e32 v99, v87, v99
; %bb.5603:                             ;   in Loop: Header=BB6_5227 Depth=3
	s_andn2_saveexec_b32 s16, s16
; %bb.5604:                             ;   in Loop: Header=BB6_5227 Depth=3
	v_bfe_u32 v112, v99, 23, 1
; %bb.5605:                             ;   in Loop: Header=BB6_5227 Depth=3
	s_or_b32 exec_lo, exec_lo, s16
	v_lshrrev_b32_e32 v86, 21, v99
	v_cmp_gt_i32_e32 vcc_lo, 32, v112
	v_min_i32_e32 v87, 31, v112
	v_and_b32_sdwa v18, v18, v60 dst_sel:DWORD dst_unused:UNUSED_PAD src0_sel:BYTE_3 src1_sel:DWORD
	v_cndmask_b32_e32 v86, 3, v86, vcc_lo
	v_lshlrev_b32_e32 v87, 2, v87
	v_or_b32_e32 v99, v112, v86
	v_and_b32_e32 v86, 3, v86
	v_cmp_ne_u32_e32 vcc_lo, 0, v99
	v_or3_b32 v18, v87, v18, v86
	v_cndmask_b32_e32 v99, 0, v18, vcc_lo
.LBB6_5606:                             ;   in Loop: Header=BB6_5227 Depth=3
	s_or_b32 exec_lo, exec_lo, s23
.LBB6_5607:                             ;   in Loop: Header=BB6_5227 Depth=3
	s_or_b32 exec_lo, exec_lo, s19
	v_cmp_gt_i16_sdwa s19, v117, v59 src0_sel:BYTE_0 src1_sel:DWORD
	s_mov_b32 s16, 0
	s_and_saveexec_b32 s23, s19
	s_xor_b32 s19, exec_lo, s23
	s_cbranch_execz .LBB6_5941
; %bb.5608:                             ;   in Loop: Header=BB6_5227 Depth=3
	v_cmp_eq_u16_sdwa s72, v117, v60 src0_sel:BYTE_0 src1_sel:DWORD
	s_mov_b32 s16, -1
	s_and_saveexec_b32 s23, s72
; %bb.5609:                             ;   in Loop: Header=BB6_5227 Depth=3
	s_xor_b32 s16, exec_lo, -1
; %bb.5610:                             ;   in Loop: Header=BB6_5227 Depth=3
	s_or_b32 exec_lo, exec_lo, s23
	s_and_b32 s16, s16, exec_lo
	s_or_saveexec_b32 s19, s19
	v_mov_b32_e32 v18, 0x7f800001
	s_xor_b32 exec_lo, exec_lo, s19
	s_cbranch_execnz .LBB6_5942
.LBB6_5611:                             ;   in Loop: Header=BB6_5227 Depth=3
	s_or_b32 exec_lo, exec_lo, s19
	s_and_saveexec_b32 s19, s16
	s_cbranch_execz .LBB6_5613
.LBB6_5612:                             ;   in Loop: Header=BB6_5227 Depth=3
	v_and_b32_e32 v18, 3, v117
	v_lshrrev_b16 v87, 2, v117
	v_lshlrev_b32_e32 v113, 24, v117
	v_ffbh_u32_e32 v86, v18
	v_and_b32_e32 v87, 31, v87
	v_min_u32_e32 v86, 32, v86
	v_cmp_eq_u32_e32 vcc_lo, 0, v87
	v_subrev_nc_u32_e32 v112, 29, v86
	v_sub_nc_u32_e32 v86, 30, v86
	v_lshlrev_b32_e32 v112, v112, v117
	v_cndmask_b32_e32 v86, v87, v86, vcc_lo
	v_and_b32_e32 v87, 0x80000000, v113
	v_and_b32_e32 v112, 3, v112
	v_lshl_add_u32 v86, v86, 23, 0x37800000
	v_cndmask_b32_e32 v18, v18, v112, vcc_lo
	v_lshlrev_b32_e32 v18, 21, v18
	v_or3_b32 v18, v87, v86, v18
.LBB6_5613:                             ;   in Loop: Header=BB6_5227 Depth=3
	s_or_b32 exec_lo, exec_lo, s19
	s_waitcnt vmcnt(12) lgkmcnt(12)
	v_cmp_gt_i16_sdwa s19, v118, v59 src0_sel:BYTE_0 src1_sel:DWORD
	s_mov_b32 s16, 0
	s_and_saveexec_b32 s23, s19
	s_xor_b32 s19, exec_lo, s23
	s_cbranch_execz .LBB6_5943
; %bb.5614:                             ;   in Loop: Header=BB6_5227 Depth=3
	v_cmp_eq_u16_sdwa s72, v118, v60 src0_sel:BYTE_0 src1_sel:DWORD
	s_mov_b32 s16, -1
	s_and_saveexec_b32 s23, s72
; %bb.5615:                             ;   in Loop: Header=BB6_5227 Depth=3
	s_xor_b32 s16, exec_lo, -1
; %bb.5616:                             ;   in Loop: Header=BB6_5227 Depth=3
	s_or_b32 exec_lo, exec_lo, s23
	s_and_b32 s16, s16, exec_lo
	s_or_saveexec_b32 s19, s19
	v_mov_b32_e32 v86, 0x7f800001
	s_xor_b32 exec_lo, exec_lo, s19
	s_cbranch_execnz .LBB6_5944
.LBB6_5617:                             ;   in Loop: Header=BB6_5227 Depth=3
	s_or_b32 exec_lo, exec_lo, s19
	s_and_saveexec_b32 s19, s16
	s_cbranch_execz .LBB6_5619
.LBB6_5618:                             ;   in Loop: Header=BB6_5227 Depth=3
	v_and_b32_e32 v86, 3, v118
	v_lshrrev_b16 v112, 2, v118
	v_lshlrev_b32_e32 v117, 24, v118
	v_ffbh_u32_e32 v87, v86
	v_and_b32_e32 v112, 31, v112
	v_min_u32_e32 v87, 32, v87
	v_cmp_eq_u32_e32 vcc_lo, 0, v112
	v_subrev_nc_u32_e32 v113, 29, v87
	v_sub_nc_u32_e32 v87, 30, v87
	v_lshlrev_b32_e32 v113, v113, v118
	v_cndmask_b32_e32 v87, v112, v87, vcc_lo
	v_and_b32_e32 v112, 0x80000000, v117
	v_and_b32_e32 v113, 3, v113
	v_lshl_add_u32 v87, v87, 23, 0x37800000
	v_cndmask_b32_e32 v86, v86, v113, vcc_lo
	v_lshlrev_b32_e32 v86, 21, v86
	v_or3_b32 v86, v112, v87, v86
.LBB6_5619:                             ;   in Loop: Header=BB6_5227 Depth=3
	s_or_b32 exec_lo, exec_lo, s19
	v_mul_f32_e32 v18, v18, v86
	v_mov_b32_e32 v117, 0x80
	s_mov_b32 s19, exec_lo
	v_and_b32_e32 v86, 0x7f800000, v18
	v_cmpx_ne_u32_e32 0x7f800000, v86
	s_cbranch_execz .LBB6_5627
; %bb.5620:                             ;   in Loop: Header=BB6_5227 Depth=3
	v_mov_b32_e32 v117, 0
	s_mov_b32 s23, exec_lo
	v_cmpx_ne_u32_e32 0, v18
	s_cbranch_execz .LBB6_5626
; %bb.5621:                             ;   in Loop: Header=BB6_5227 Depth=3
	v_bfe_u32 v87, v18, 23, 8
	v_and_b32_e32 v86, 0x7fffff, v18
	v_cmp_gt_u32_e64 s16, 0x71, v87
	v_sub_nc_u32_e32 v112, 0x70, v87
	v_cmp_eq_u32_e32 vcc_lo, 0, v87
	v_or_b32_e32 v113, 0x800000, v86
	v_cndmask_b32_e64 v112, 0, v112, s16
	v_cndmask_b32_e32 v86, v113, v86, vcc_lo
	v_cndmask_b32_e64 v112, v112, 0x6f, vcc_lo
	v_lshl_add_u32 v113, 0x200000, v112, -1
	v_lshlrev_b32_e64 v117, v112, 0x100000
	v_and_b32_e32 v113, v113, v86
	v_cmp_eq_u32_e64 s16, v113, v117
	v_lshrrev_b32_e32 v113, v112, v86
	v_add_nc_u32_e32 v86, 0xffffff91, v87
	v_lshrrev_b32_e32 v87, 23, v113
	v_cndmask_b32_e64 v86, v86, 0xffffff92, vcc_lo
	v_xor_b32_e32 v87, 1, v87
	v_add_nc_u32_e32 v86, v112, v86
	v_bfe_u32 v112, v113, 21, 1
	v_add_nc_u32_e32 v112, -1, v112
	v_cndmask_b32_e64 v112, 0, v112, s16
	s_mov_b32 s16, exec_lo
	v_add_nc_u32_e32 v112, v112, v113
	v_and_b32_e32 v112, 0x1fffff, v112
	v_add_nc_u32_e32 v112, v112, v113
                                        ; implicit-def: $vgpr113
	v_cmpx_ne_u32_e64 v86, v87
	s_xor_b32 s16, exec_lo, s16
; %bb.5622:                             ;   in Loop: Header=BB6_5227 Depth=3
	v_cmp_lt_u32_e32 vcc_lo, 0xffffff, v112
	v_sub_nc_u32_e32 v86, v86, v87
	v_cndmask_b32_e64 v87, 0, 1, vcc_lo
	v_add_co_ci_u32_e64 v113, null, 0, v86, vcc_lo
	v_lshrrev_b32_e32 v112, v87, v112
; %bb.5623:                             ;   in Loop: Header=BB6_5227 Depth=3
	s_andn2_saveexec_b32 s16, s16
; %bb.5624:                             ;   in Loop: Header=BB6_5227 Depth=3
	v_bfe_u32 v113, v112, 23, 1
; %bb.5625:                             ;   in Loop: Header=BB6_5227 Depth=3
	s_or_b32 exec_lo, exec_lo, s16
	v_lshrrev_b32_e32 v86, 21, v112
	v_cmp_gt_i32_e32 vcc_lo, 32, v113
	v_min_i32_e32 v87, 31, v113
	v_and_b32_sdwa v18, v18, v60 dst_sel:DWORD dst_unused:UNUSED_PAD src0_sel:BYTE_3 src1_sel:DWORD
	v_cndmask_b32_e32 v86, 3, v86, vcc_lo
	v_lshlrev_b32_e32 v87, 2, v87
	v_or_b32_e32 v112, v113, v86
	v_and_b32_e32 v86, 3, v86
	v_cmp_ne_u32_e32 vcc_lo, 0, v112
	v_or3_b32 v18, v87, v18, v86
	v_cndmask_b32_e32 v117, 0, v18, vcc_lo
.LBB6_5626:                             ;   in Loop: Header=BB6_5227 Depth=3
	s_or_b32 exec_lo, exec_lo, s23
.LBB6_5627:                             ;   in Loop: Header=BB6_5227 Depth=3
	s_or_b32 exec_lo, exec_lo, s19
	v_cmp_gt_i16_sdwa s19, v114, v59 src0_sel:BYTE_0 src1_sel:DWORD
	s_mov_b32 s16, 0
	s_and_saveexec_b32 s23, s19
	s_xor_b32 s19, exec_lo, s23
	s_cbranch_execz .LBB6_5945
; %bb.5628:                             ;   in Loop: Header=BB6_5227 Depth=3
	v_cmp_eq_u16_sdwa s72, v114, v60 src0_sel:BYTE_0 src1_sel:DWORD
	s_mov_b32 s16, -1
	s_and_saveexec_b32 s23, s72
; %bb.5629:                             ;   in Loop: Header=BB6_5227 Depth=3
	s_xor_b32 s16, exec_lo, -1
; %bb.5630:                             ;   in Loop: Header=BB6_5227 Depth=3
	s_or_b32 exec_lo, exec_lo, s23
	s_and_b32 s16, s16, exec_lo
	s_or_saveexec_b32 s19, s19
	v_mov_b32_e32 v18, 0x7f800001
	s_xor_b32 exec_lo, exec_lo, s19
	s_cbranch_execnz .LBB6_5946
.LBB6_5631:                             ;   in Loop: Header=BB6_5227 Depth=3
	s_or_b32 exec_lo, exec_lo, s19
	s_and_saveexec_b32 s19, s16
	s_cbranch_execz .LBB6_5633
.LBB6_5632:                             ;   in Loop: Header=BB6_5227 Depth=3
	v_and_b32_e32 v18, 3, v114
	v_lshrrev_b16 v87, 2, v114
	v_lshlrev_b32_e32 v113, 24, v114
	v_ffbh_u32_e32 v86, v18
	v_and_b32_e32 v87, 31, v87
	v_min_u32_e32 v86, 32, v86
	v_cmp_eq_u32_e32 vcc_lo, 0, v87
	v_subrev_nc_u32_e32 v112, 29, v86
	v_sub_nc_u32_e32 v86, 30, v86
	v_lshlrev_b32_e32 v112, v112, v114
	v_cndmask_b32_e32 v86, v87, v86, vcc_lo
	v_and_b32_e32 v87, 0x80000000, v113
	v_and_b32_e32 v112, 3, v112
	v_lshl_add_u32 v86, v86, 23, 0x37800000
	v_cndmask_b32_e32 v18, v18, v112, vcc_lo
	v_lshlrev_b32_e32 v18, 21, v18
	v_or3_b32 v18, v87, v86, v18
.LBB6_5633:                             ;   in Loop: Header=BB6_5227 Depth=3
	s_or_b32 exec_lo, exec_lo, s19
	s_waitcnt vmcnt(11) lgkmcnt(11)
	v_cmp_gt_i16_sdwa s19, v115, v59 src0_sel:BYTE_0 src1_sel:DWORD
	s_mov_b32 s16, 0
	s_and_saveexec_b32 s23, s19
	s_xor_b32 s19, exec_lo, s23
	s_cbranch_execz .LBB6_5947
; %bb.5634:                             ;   in Loop: Header=BB6_5227 Depth=3
	v_cmp_eq_u16_sdwa s72, v115, v60 src0_sel:BYTE_0 src1_sel:DWORD
	s_mov_b32 s16, -1
	s_and_saveexec_b32 s23, s72
; %bb.5635:                             ;   in Loop: Header=BB6_5227 Depth=3
	s_xor_b32 s16, exec_lo, -1
; %bb.5636:                             ;   in Loop: Header=BB6_5227 Depth=3
	s_or_b32 exec_lo, exec_lo, s23
	s_and_b32 s16, s16, exec_lo
	s_or_saveexec_b32 s19, s19
	v_mov_b32_e32 v86, 0x7f800001
	s_xor_b32 exec_lo, exec_lo, s19
	s_cbranch_execnz .LBB6_5948
.LBB6_5637:                             ;   in Loop: Header=BB6_5227 Depth=3
	s_or_b32 exec_lo, exec_lo, s19
	s_and_saveexec_b32 s19, s16
	s_cbranch_execz .LBB6_5639
.LBB6_5638:                             ;   in Loop: Header=BB6_5227 Depth=3
	v_and_b32_e32 v86, 3, v115
	v_lshrrev_b16 v112, 2, v115
	v_lshlrev_b32_e32 v114, 24, v115
	v_ffbh_u32_e32 v87, v86
	v_and_b32_e32 v112, 31, v112
	v_min_u32_e32 v87, 32, v87
	v_cmp_eq_u32_e32 vcc_lo, 0, v112
	v_subrev_nc_u32_e32 v113, 29, v87
	v_sub_nc_u32_e32 v87, 30, v87
	v_lshlrev_b32_e32 v113, v113, v115
	v_cndmask_b32_e32 v87, v112, v87, vcc_lo
	v_and_b32_e32 v112, 0x80000000, v114
	v_and_b32_e32 v113, 3, v113
	v_lshl_add_u32 v87, v87, 23, 0x37800000
	v_cndmask_b32_e32 v86, v86, v113, vcc_lo
	v_lshlrev_b32_e32 v86, 21, v86
	v_or3_b32 v86, v112, v87, v86
.LBB6_5639:                             ;   in Loop: Header=BB6_5227 Depth=3
	s_or_b32 exec_lo, exec_lo, s19
	v_mul_f32_e32 v18, v18, v86
	v_mov_b32_e32 v114, 0x80
	s_mov_b32 s19, exec_lo
	v_and_b32_e32 v86, 0x7f800000, v18
	v_cmpx_ne_u32_e32 0x7f800000, v86
	s_cbranch_execz .LBB6_5647
; %bb.5640:                             ;   in Loop: Header=BB6_5227 Depth=3
	v_mov_b32_e32 v114, 0
	s_mov_b32 s23, exec_lo
	v_cmpx_ne_u32_e32 0, v18
	s_cbranch_execz .LBB6_5646
; %bb.5641:                             ;   in Loop: Header=BB6_5227 Depth=3
	v_bfe_u32 v87, v18, 23, 8
	v_and_b32_e32 v86, 0x7fffff, v18
	v_cmp_gt_u32_e64 s16, 0x71, v87
	v_sub_nc_u32_e32 v112, 0x70, v87
	v_cmp_eq_u32_e32 vcc_lo, 0, v87
	v_or_b32_e32 v113, 0x800000, v86
	v_cndmask_b32_e64 v112, 0, v112, s16
	v_cndmask_b32_e32 v86, v113, v86, vcc_lo
	v_cndmask_b32_e64 v112, v112, 0x6f, vcc_lo
	v_lshl_add_u32 v113, 0x200000, v112, -1
	v_lshlrev_b32_e64 v114, v112, 0x100000
	v_and_b32_e32 v113, v113, v86
	v_cmp_eq_u32_e64 s16, v113, v114
	v_lshrrev_b32_e32 v113, v112, v86
	v_add_nc_u32_e32 v86, 0xffffff91, v87
	v_lshrrev_b32_e32 v87, 23, v113
	v_cndmask_b32_e64 v86, v86, 0xffffff92, vcc_lo
	v_xor_b32_e32 v87, 1, v87
	v_add_nc_u32_e32 v86, v112, v86
	v_bfe_u32 v112, v113, 21, 1
	v_add_nc_u32_e32 v112, -1, v112
	v_cndmask_b32_e64 v112, 0, v112, s16
	s_mov_b32 s16, exec_lo
	v_add_nc_u32_e32 v112, v112, v113
	v_and_b32_e32 v112, 0x1fffff, v112
	v_add_nc_u32_e32 v112, v112, v113
                                        ; implicit-def: $vgpr113
	v_cmpx_ne_u32_e64 v86, v87
	s_xor_b32 s16, exec_lo, s16
; %bb.5642:                             ;   in Loop: Header=BB6_5227 Depth=3
	v_cmp_lt_u32_e32 vcc_lo, 0xffffff, v112
	v_sub_nc_u32_e32 v86, v86, v87
	v_cndmask_b32_e64 v87, 0, 1, vcc_lo
	v_add_co_ci_u32_e64 v113, null, 0, v86, vcc_lo
	v_lshrrev_b32_e32 v112, v87, v112
; %bb.5643:                             ;   in Loop: Header=BB6_5227 Depth=3
	s_andn2_saveexec_b32 s16, s16
; %bb.5644:                             ;   in Loop: Header=BB6_5227 Depth=3
	v_bfe_u32 v113, v112, 23, 1
; %bb.5645:                             ;   in Loop: Header=BB6_5227 Depth=3
	s_or_b32 exec_lo, exec_lo, s16
	v_lshrrev_b32_e32 v86, 21, v112
	v_cmp_gt_i32_e32 vcc_lo, 32, v113
	v_min_i32_e32 v87, 31, v113
	v_and_b32_sdwa v18, v18, v60 dst_sel:DWORD dst_unused:UNUSED_PAD src0_sel:BYTE_3 src1_sel:DWORD
	v_cndmask_b32_e32 v86, 3, v86, vcc_lo
	v_lshlrev_b32_e32 v87, 2, v87
	v_or_b32_e32 v112, v113, v86
	v_and_b32_e32 v86, 3, v86
	v_cmp_ne_u32_e32 vcc_lo, 0, v112
	v_or3_b32 v18, v87, v18, v86
	v_cndmask_b32_e32 v114, 0, v18, vcc_lo
.LBB6_5646:                             ;   in Loop: Header=BB6_5227 Depth=3
	s_or_b32 exec_lo, exec_lo, s23
.LBB6_5647:                             ;   in Loop: Header=BB6_5227 Depth=3
	s_or_b32 exec_lo, exec_lo, s19
	v_cmp_gt_i16_sdwa s19, v83, v59 src0_sel:BYTE_0 src1_sel:DWORD
	s_mov_b32 s16, 0
	s_and_saveexec_b32 s23, s19
	s_xor_b32 s19, exec_lo, s23
	s_cbranch_execz .LBB6_5949
; %bb.5648:                             ;   in Loop: Header=BB6_5227 Depth=3
	v_cmp_eq_u16_sdwa s72, v83, v60 src0_sel:BYTE_0 src1_sel:DWORD
	s_mov_b32 s16, -1
	s_and_saveexec_b32 s23, s72
; %bb.5649:                             ;   in Loop: Header=BB6_5227 Depth=3
	s_xor_b32 s16, exec_lo, -1
; %bb.5650:                             ;   in Loop: Header=BB6_5227 Depth=3
	s_or_b32 exec_lo, exec_lo, s23
	s_and_b32 s16, s16, exec_lo
	s_or_saveexec_b32 s19, s19
	v_mov_b32_e32 v18, 0x7f800001
	s_xor_b32 exec_lo, exec_lo, s19
	s_cbranch_execnz .LBB6_5950
.LBB6_5651:                             ;   in Loop: Header=BB6_5227 Depth=3
	s_or_b32 exec_lo, exec_lo, s19
	s_and_saveexec_b32 s19, s16
	s_cbranch_execz .LBB6_5653
.LBB6_5652:                             ;   in Loop: Header=BB6_5227 Depth=3
	v_and_b32_e32 v18, 3, v83
	v_lshrrev_b16 v87, 2, v83
	v_ffbh_u32_e32 v86, v18
	v_and_b32_e32 v87, 31, v87
	v_min_u32_e32 v86, 32, v86
	v_cmp_eq_u32_e32 vcc_lo, 0, v87
	v_subrev_nc_u32_e32 v112, 29, v86
	v_sub_nc_u32_e32 v86, 30, v86
	v_lshlrev_b32_e32 v112, v112, v83
	v_lshlrev_b32_e32 v83, 24, v83
	v_cndmask_b32_e32 v86, v87, v86, vcc_lo
	v_and_b32_e32 v112, 3, v112
	v_and_b32_e32 v83, 0x80000000, v83
	v_lshl_add_u32 v86, v86, 23, 0x37800000
	v_cndmask_b32_e32 v18, v18, v112, vcc_lo
	v_lshlrev_b32_e32 v18, 21, v18
	v_or3_b32 v18, v83, v86, v18
.LBB6_5653:                             ;   in Loop: Header=BB6_5227 Depth=3
	s_or_b32 exec_lo, exec_lo, s19
	s_waitcnt vmcnt(10) lgkmcnt(10)
	v_cmp_gt_i16_sdwa s19, v84, v59 src0_sel:BYTE_0 src1_sel:DWORD
	s_mov_b32 s16, 0
	s_and_saveexec_b32 s23, s19
	s_xor_b32 s19, exec_lo, s23
	s_cbranch_execz .LBB6_5951
; %bb.5654:                             ;   in Loop: Header=BB6_5227 Depth=3
	v_cmp_eq_u16_sdwa s72, v84, v60 src0_sel:BYTE_0 src1_sel:DWORD
	s_mov_b32 s16, -1
	s_and_saveexec_b32 s23, s72
; %bb.5655:                             ;   in Loop: Header=BB6_5227 Depth=3
	s_xor_b32 s16, exec_lo, -1
; %bb.5656:                             ;   in Loop: Header=BB6_5227 Depth=3
	s_or_b32 exec_lo, exec_lo, s23
	s_and_b32 s16, s16, exec_lo
	s_or_saveexec_b32 s19, s19
	v_mov_b32_e32 v83, 0x7f800001
	s_xor_b32 exec_lo, exec_lo, s19
	s_cbranch_execnz .LBB6_5952
.LBB6_5657:                             ;   in Loop: Header=BB6_5227 Depth=3
	s_or_b32 exec_lo, exec_lo, s19
	s_and_saveexec_b32 s19, s16
	s_cbranch_execz .LBB6_5659
.LBB6_5658:                             ;   in Loop: Header=BB6_5227 Depth=3
	v_and_b32_e32 v83, 3, v84
	v_lshrrev_b16 v87, 2, v84
	v_ffbh_u32_e32 v86, v83
	v_and_b32_e32 v87, 31, v87
	v_min_u32_e32 v86, 32, v86
	v_cmp_eq_u32_e32 vcc_lo, 0, v87
	v_subrev_nc_u32_e32 v112, 29, v86
	v_sub_nc_u32_e32 v86, 30, v86
	v_lshlrev_b32_e32 v112, v112, v84
	v_lshlrev_b32_e32 v84, 24, v84
	v_cndmask_b32_e32 v86, v87, v86, vcc_lo
	v_and_b32_e32 v112, 3, v112
	v_and_b32_e32 v84, 0x80000000, v84
	v_lshl_add_u32 v86, v86, 23, 0x37800000
	v_cndmask_b32_e32 v83, v83, v112, vcc_lo
	v_lshlrev_b32_e32 v83, 21, v83
	v_or3_b32 v83, v84, v86, v83
.LBB6_5659:                             ;   in Loop: Header=BB6_5227 Depth=3
	s_or_b32 exec_lo, exec_lo, s19
	v_mul_f32_e32 v18, v18, v83
	v_and_b32_e32 v83, 0x7f800000, v18
	v_cmp_ne_u32_e32 vcc_lo, 0x7f800000, v83
	v_mov_b32_e32 v83, 0x80
	s_and_saveexec_b32 s19, vcc_lo
	s_cbranch_execz .LBB6_5667
; %bb.5660:                             ;   in Loop: Header=BB6_5227 Depth=3
	v_mov_b32_e32 v83, 0
	s_mov_b32 s23, exec_lo
	v_cmpx_ne_u32_e32 0, v18
	s_cbranch_execz .LBB6_5666
; %bb.5661:                             ;   in Loop: Header=BB6_5227 Depth=3
	v_bfe_u32 v84, v18, 23, 8
	v_and_b32_e32 v83, 0x7fffff, v18
	v_cmp_gt_u32_e64 s16, 0x71, v84
	v_sub_nc_u32_e32 v86, 0x70, v84
	v_cmp_eq_u32_e32 vcc_lo, 0, v84
	v_or_b32_e32 v87, 0x800000, v83
	v_cndmask_b32_e64 v86, 0, v86, s16
	v_cndmask_b32_e32 v83, v87, v83, vcc_lo
	v_cndmask_b32_e64 v86, v86, 0x6f, vcc_lo
	v_lshl_add_u32 v87, 0x200000, v86, -1
	v_lshlrev_b32_e64 v112, v86, 0x100000
	v_and_b32_e32 v87, v87, v83
	v_cmp_eq_u32_e64 s16, v87, v112
	v_lshrrev_b32_e32 v87, v86, v83
	v_add_nc_u32_e32 v83, 0xffffff91, v84
	v_lshrrev_b32_e32 v84, 23, v87
	v_cndmask_b32_e64 v83, v83, 0xffffff92, vcc_lo
	v_xor_b32_e32 v84, 1, v84
	v_add_nc_u32_e32 v83, v86, v83
	v_bfe_u32 v86, v87, 21, 1
	v_add_nc_u32_e32 v86, -1, v86
	v_cndmask_b32_e64 v86, 0, v86, s16
	s_mov_b32 s16, exec_lo
	v_add_nc_u32_e32 v86, v86, v87
	v_and_b32_e32 v86, 0x1fffff, v86
	v_add_nc_u32_e32 v86, v86, v87
                                        ; implicit-def: $vgpr87
	v_cmpx_ne_u32_e64 v83, v84
	s_xor_b32 s16, exec_lo, s16
; %bb.5662:                             ;   in Loop: Header=BB6_5227 Depth=3
	v_cmp_lt_u32_e32 vcc_lo, 0xffffff, v86
	v_sub_nc_u32_e32 v83, v83, v84
	v_cndmask_b32_e64 v84, 0, 1, vcc_lo
	v_add_co_ci_u32_e64 v87, null, 0, v83, vcc_lo
	v_lshrrev_b32_e32 v86, v84, v86
; %bb.5663:                             ;   in Loop: Header=BB6_5227 Depth=3
	s_andn2_saveexec_b32 s16, s16
; %bb.5664:                             ;   in Loop: Header=BB6_5227 Depth=3
	v_bfe_u32 v87, v86, 23, 1
; %bb.5665:                             ;   in Loop: Header=BB6_5227 Depth=3
	s_or_b32 exec_lo, exec_lo, s16
	v_lshrrev_b32_e32 v83, 21, v86
	v_cmp_gt_i32_e32 vcc_lo, 32, v87
	v_min_i32_e32 v84, 31, v87
	v_and_b32_sdwa v18, v18, v60 dst_sel:DWORD dst_unused:UNUSED_PAD src0_sel:BYTE_3 src1_sel:DWORD
	v_cndmask_b32_e32 v83, 3, v83, vcc_lo
	v_lshlrev_b32_e32 v84, 2, v84
	v_or_b32_e32 v86, v87, v83
	v_and_b32_e32 v83, 3, v83
	v_cmp_ne_u32_e32 vcc_lo, 0, v86
	v_or3_b32 v18, v84, v18, v83
	v_cndmask_b32_e32 v83, 0, v18, vcc_lo
.LBB6_5666:                             ;   in Loop: Header=BB6_5227 Depth=3
	s_or_b32 exec_lo, exec_lo, s23
.LBB6_5667:                             ;   in Loop: Header=BB6_5227 Depth=3
	s_or_b32 exec_lo, exec_lo, s19
	v_cmp_gt_i16_sdwa s19, v54, v59 src0_sel:BYTE_0 src1_sel:DWORD
	s_mov_b32 s16, 0
	s_and_saveexec_b32 s23, s19
	s_xor_b32 s19, exec_lo, s23
	s_cbranch_execz .LBB6_5953
; %bb.5668:                             ;   in Loop: Header=BB6_5227 Depth=3
	v_cmp_eq_u16_sdwa s72, v54, v60 src0_sel:BYTE_0 src1_sel:DWORD
	s_mov_b32 s16, -1
	s_and_saveexec_b32 s23, s72
; %bb.5669:                             ;   in Loop: Header=BB6_5227 Depth=3
	s_xor_b32 s16, exec_lo, -1
; %bb.5670:                             ;   in Loop: Header=BB6_5227 Depth=3
	s_or_b32 exec_lo, exec_lo, s23
	s_and_b32 s16, s16, exec_lo
	s_or_saveexec_b32 s19, s19
	v_mov_b32_e32 v18, 0x7f800001
	s_xor_b32 exec_lo, exec_lo, s19
	s_cbranch_execnz .LBB6_5954
.LBB6_5671:                             ;   in Loop: Header=BB6_5227 Depth=3
	s_or_b32 exec_lo, exec_lo, s19
	s_and_saveexec_b32 s19, s16
	s_cbranch_execz .LBB6_5673
.LBB6_5672:                             ;   in Loop: Header=BB6_5227 Depth=3
	v_and_b32_e32 v18, 3, v54
	v_lshrrev_b16 v86, 2, v54
	v_ffbh_u32_e32 v84, v18
	v_and_b32_e32 v86, 31, v86
	v_min_u32_e32 v84, 32, v84
	v_cmp_eq_u32_e32 vcc_lo, 0, v86
	v_subrev_nc_u32_e32 v87, 29, v84
	v_sub_nc_u32_e32 v84, 30, v84
	v_lshlrev_b32_e32 v87, v87, v54
	v_lshlrev_b32_e32 v54, 24, v54
	v_cndmask_b32_e32 v84, v86, v84, vcc_lo
	v_and_b32_e32 v87, 3, v87
	v_and_b32_e32 v54, 0x80000000, v54
	v_lshl_add_u32 v84, v84, 23, 0x37800000
	v_cndmask_b32_e32 v18, v18, v87, vcc_lo
	v_lshlrev_b32_e32 v18, 21, v18
	v_or3_b32 v18, v54, v84, v18
.LBB6_5673:                             ;   in Loop: Header=BB6_5227 Depth=3
	s_or_b32 exec_lo, exec_lo, s19
	s_waitcnt vmcnt(9) lgkmcnt(9)
	v_cmp_gt_i16_sdwa s19, v55, v59 src0_sel:BYTE_0 src1_sel:DWORD
	s_mov_b32 s16, 0
	s_and_saveexec_b32 s23, s19
	s_xor_b32 s19, exec_lo, s23
	s_cbranch_execz .LBB6_5955
; %bb.5674:                             ;   in Loop: Header=BB6_5227 Depth=3
	v_cmp_eq_u16_sdwa s72, v55, v60 src0_sel:BYTE_0 src1_sel:DWORD
	s_mov_b32 s16, -1
	s_and_saveexec_b32 s23, s72
; %bb.5675:                             ;   in Loop: Header=BB6_5227 Depth=3
	s_xor_b32 s16, exec_lo, -1
; %bb.5676:                             ;   in Loop: Header=BB6_5227 Depth=3
	s_or_b32 exec_lo, exec_lo, s23
	s_and_b32 s16, s16, exec_lo
	s_or_saveexec_b32 s19, s19
	v_mov_b32_e32 v54, 0x7f800001
	s_xor_b32 exec_lo, exec_lo, s19
	s_cbranch_execnz .LBB6_5956
.LBB6_5677:                             ;   in Loop: Header=BB6_5227 Depth=3
	s_or_b32 exec_lo, exec_lo, s19
	s_and_saveexec_b32 s19, s16
	s_cbranch_execz .LBB6_5679
.LBB6_5678:                             ;   in Loop: Header=BB6_5227 Depth=3
	v_and_b32_e32 v54, 3, v55
	v_lshrrev_b16 v86, 2, v55
	v_ffbh_u32_e32 v84, v54
	v_and_b32_e32 v86, 31, v86
	v_min_u32_e32 v84, 32, v84
	v_cmp_eq_u32_e32 vcc_lo, 0, v86
	v_subrev_nc_u32_e32 v87, 29, v84
	v_sub_nc_u32_e32 v84, 30, v84
	v_lshlrev_b32_e32 v87, v87, v55
	v_lshlrev_b32_e32 v55, 24, v55
	v_cndmask_b32_e32 v84, v86, v84, vcc_lo
	v_and_b32_e32 v87, 3, v87
	v_and_b32_e32 v55, 0x80000000, v55
	v_lshl_add_u32 v84, v84, 23, 0x37800000
	v_cndmask_b32_e32 v54, v54, v87, vcc_lo
	v_lshlrev_b32_e32 v54, 21, v54
	v_or3_b32 v54, v55, v84, v54
.LBB6_5679:                             ;   in Loop: Header=BB6_5227 Depth=3
	s_or_b32 exec_lo, exec_lo, s19
	v_mul_f32_e32 v18, v18, v54
	v_and_b32_e32 v54, 0x7f800000, v18
	v_cmp_ne_u32_e32 vcc_lo, 0x7f800000, v54
	v_mov_b32_e32 v54, 0x80
	s_and_saveexec_b32 s19, vcc_lo
	s_cbranch_execz .LBB6_5687
; %bb.5680:                             ;   in Loop: Header=BB6_5227 Depth=3
	v_mov_b32_e32 v54, 0
	s_mov_b32 s23, exec_lo
	v_cmpx_ne_u32_e32 0, v18
	s_cbranch_execz .LBB6_5686
; %bb.5681:                             ;   in Loop: Header=BB6_5227 Depth=3
	v_bfe_u32 v55, v18, 23, 8
	v_and_b32_e32 v54, 0x7fffff, v18
	v_cmp_gt_u32_e64 s16, 0x71, v55
	v_sub_nc_u32_e32 v84, 0x70, v55
	v_cmp_eq_u32_e32 vcc_lo, 0, v55
	v_or_b32_e32 v86, 0x800000, v54
	v_cndmask_b32_e64 v84, 0, v84, s16
	v_cndmask_b32_e32 v54, v86, v54, vcc_lo
	v_cndmask_b32_e64 v84, v84, 0x6f, vcc_lo
	v_lshl_add_u32 v86, 0x200000, v84, -1
	v_lshlrev_b32_e64 v87, v84, 0x100000
	v_and_b32_e32 v86, v86, v54
	v_cmp_eq_u32_e64 s16, v86, v87
	v_lshrrev_b32_e32 v86, v84, v54
	v_add_nc_u32_e32 v54, 0xffffff91, v55
	v_lshrrev_b32_e32 v55, 23, v86
	v_cndmask_b32_e64 v54, v54, 0xffffff92, vcc_lo
	v_xor_b32_e32 v55, 1, v55
	v_add_nc_u32_e32 v54, v84, v54
	v_bfe_u32 v84, v86, 21, 1
	v_add_nc_u32_e32 v84, -1, v84
	v_cndmask_b32_e64 v84, 0, v84, s16
	s_mov_b32 s16, exec_lo
	v_add_nc_u32_e32 v84, v84, v86
	v_and_b32_e32 v84, 0x1fffff, v84
	v_add_nc_u32_e32 v84, v84, v86
                                        ; implicit-def: $vgpr86
	v_cmpx_ne_u32_e64 v54, v55
	s_xor_b32 s16, exec_lo, s16
; %bb.5682:                             ;   in Loop: Header=BB6_5227 Depth=3
	v_cmp_lt_u32_e32 vcc_lo, 0xffffff, v84
	v_sub_nc_u32_e32 v54, v54, v55
	v_cndmask_b32_e64 v55, 0, 1, vcc_lo
	v_add_co_ci_u32_e64 v86, null, 0, v54, vcc_lo
	v_lshrrev_b32_e32 v84, v55, v84
; %bb.5683:                             ;   in Loop: Header=BB6_5227 Depth=3
	s_andn2_saveexec_b32 s16, s16
; %bb.5684:                             ;   in Loop: Header=BB6_5227 Depth=3
	v_bfe_u32 v86, v84, 23, 1
; %bb.5685:                             ;   in Loop: Header=BB6_5227 Depth=3
	s_or_b32 exec_lo, exec_lo, s16
	v_lshrrev_b32_e32 v54, 21, v84
	v_cmp_gt_i32_e32 vcc_lo, 32, v86
	v_min_i32_e32 v55, 31, v86
	v_and_b32_sdwa v18, v18, v60 dst_sel:DWORD dst_unused:UNUSED_PAD src0_sel:BYTE_3 src1_sel:DWORD
	v_cndmask_b32_e32 v54, 3, v54, vcc_lo
	v_lshlrev_b32_e32 v55, 2, v55
	v_or_b32_e32 v84, v86, v54
	v_and_b32_e32 v54, 3, v54
	v_cmp_ne_u32_e32 vcc_lo, 0, v84
	v_or3_b32 v18, v55, v18, v54
	v_cndmask_b32_e32 v54, 0, v18, vcc_lo
.LBB6_5686:                             ;   in Loop: Header=BB6_5227 Depth=3
	s_or_b32 exec_lo, exec_lo, s23
.LBB6_5687:                             ;   in Loop: Header=BB6_5227 Depth=3
	s_or_b32 exec_lo, exec_lo, s19
	v_cmp_gt_i16_sdwa s19, v51, v59 src0_sel:BYTE_0 src1_sel:DWORD
	s_mov_b32 s16, 0
	s_and_saveexec_b32 s23, s19
	s_xor_b32 s19, exec_lo, s23
	s_cbranch_execz .LBB6_5957
; %bb.5688:                             ;   in Loop: Header=BB6_5227 Depth=3
	v_cmp_eq_u16_sdwa s72, v51, v60 src0_sel:BYTE_0 src1_sel:DWORD
	s_mov_b32 s16, -1
	s_and_saveexec_b32 s23, s72
; %bb.5689:                             ;   in Loop: Header=BB6_5227 Depth=3
	s_xor_b32 s16, exec_lo, -1
; %bb.5690:                             ;   in Loop: Header=BB6_5227 Depth=3
	s_or_b32 exec_lo, exec_lo, s23
	s_and_b32 s16, s16, exec_lo
	s_or_saveexec_b32 s19, s19
	v_mov_b32_e32 v18, 0x7f800001
	s_xor_b32 exec_lo, exec_lo, s19
	s_cbranch_execnz .LBB6_5958
.LBB6_5691:                             ;   in Loop: Header=BB6_5227 Depth=3
	s_or_b32 exec_lo, exec_lo, s19
	s_and_saveexec_b32 s19, s16
	s_cbranch_execz .LBB6_5693
.LBB6_5692:                             ;   in Loop: Header=BB6_5227 Depth=3
	v_and_b32_e32 v18, 3, v51
	v_lshrrev_b16 v84, 2, v51
	v_ffbh_u32_e32 v55, v18
	v_and_b32_e32 v84, 31, v84
	v_min_u32_e32 v55, 32, v55
	v_cmp_eq_u32_e32 vcc_lo, 0, v84
	v_subrev_nc_u32_e32 v86, 29, v55
	v_sub_nc_u32_e32 v55, 30, v55
	v_lshlrev_b32_e32 v86, v86, v51
	v_lshlrev_b32_e32 v51, 24, v51
	v_cndmask_b32_e32 v55, v84, v55, vcc_lo
	v_and_b32_e32 v86, 3, v86
	v_and_b32_e32 v51, 0x80000000, v51
	v_lshl_add_u32 v55, v55, 23, 0x37800000
	v_cndmask_b32_e32 v18, v18, v86, vcc_lo
	v_lshlrev_b32_e32 v18, 21, v18
	v_or3_b32 v18, v51, v55, v18
.LBB6_5693:                             ;   in Loop: Header=BB6_5227 Depth=3
	s_or_b32 exec_lo, exec_lo, s19
	s_waitcnt vmcnt(8) lgkmcnt(8)
	v_cmp_gt_i16_sdwa s19, v52, v59 src0_sel:BYTE_0 src1_sel:DWORD
	s_mov_b32 s16, 0
	s_and_saveexec_b32 s23, s19
	s_xor_b32 s19, exec_lo, s23
	s_cbranch_execz .LBB6_5959
; %bb.5694:                             ;   in Loop: Header=BB6_5227 Depth=3
	v_cmp_eq_u16_sdwa s72, v52, v60 src0_sel:BYTE_0 src1_sel:DWORD
	s_mov_b32 s16, -1
	s_and_saveexec_b32 s23, s72
; %bb.5695:                             ;   in Loop: Header=BB6_5227 Depth=3
	s_xor_b32 s16, exec_lo, -1
; %bb.5696:                             ;   in Loop: Header=BB6_5227 Depth=3
	s_or_b32 exec_lo, exec_lo, s23
	s_and_b32 s16, s16, exec_lo
	s_or_saveexec_b32 s19, s19
	v_mov_b32_e32 v51, 0x7f800001
	s_xor_b32 exec_lo, exec_lo, s19
	s_cbranch_execnz .LBB6_5960
.LBB6_5697:                             ;   in Loop: Header=BB6_5227 Depth=3
	s_or_b32 exec_lo, exec_lo, s19
	s_and_saveexec_b32 s19, s16
	s_cbranch_execz .LBB6_5699
.LBB6_5698:                             ;   in Loop: Header=BB6_5227 Depth=3
	v_and_b32_e32 v51, 3, v52
	v_lshrrev_b16 v84, 2, v52
	v_ffbh_u32_e32 v55, v51
	v_and_b32_e32 v84, 31, v84
	v_min_u32_e32 v55, 32, v55
	v_cmp_eq_u32_e32 vcc_lo, 0, v84
	v_subrev_nc_u32_e32 v86, 29, v55
	v_sub_nc_u32_e32 v55, 30, v55
	v_lshlrev_b32_e32 v86, v86, v52
	v_lshlrev_b32_e32 v52, 24, v52
	v_cndmask_b32_e32 v55, v84, v55, vcc_lo
	v_and_b32_e32 v86, 3, v86
	v_and_b32_e32 v52, 0x80000000, v52
	v_lshl_add_u32 v55, v55, 23, 0x37800000
	v_cndmask_b32_e32 v51, v51, v86, vcc_lo
	v_lshlrev_b32_e32 v51, 21, v51
	v_or3_b32 v51, v52, v55, v51
.LBB6_5699:                             ;   in Loop: Header=BB6_5227 Depth=3
	s_or_b32 exec_lo, exec_lo, s19
	v_mul_f32_e32 v18, v18, v51
	v_and_b32_e32 v51, 0x7f800000, v18
	v_cmp_ne_u32_e32 vcc_lo, 0x7f800000, v51
	v_mov_b32_e32 v51, 0x80
	s_and_saveexec_b32 s19, vcc_lo
	s_cbranch_execz .LBB6_5707
; %bb.5700:                             ;   in Loop: Header=BB6_5227 Depth=3
	v_mov_b32_e32 v51, 0
	s_mov_b32 s23, exec_lo
	v_cmpx_ne_u32_e32 0, v18
	s_cbranch_execz .LBB6_5706
; %bb.5701:                             ;   in Loop: Header=BB6_5227 Depth=3
	v_bfe_u32 v52, v18, 23, 8
	v_and_b32_e32 v51, 0x7fffff, v18
	v_cmp_gt_u32_e64 s16, 0x71, v52
	v_sub_nc_u32_e32 v55, 0x70, v52
	v_cmp_eq_u32_e32 vcc_lo, 0, v52
	v_or_b32_e32 v84, 0x800000, v51
	v_cndmask_b32_e64 v55, 0, v55, s16
	v_cndmask_b32_e32 v51, v84, v51, vcc_lo
	v_cndmask_b32_e64 v55, v55, 0x6f, vcc_lo
	v_lshl_add_u32 v84, 0x200000, v55, -1
	v_lshlrev_b32_e64 v86, v55, 0x100000
	v_and_b32_e32 v84, v84, v51
	v_cmp_eq_u32_e64 s16, v84, v86
	v_lshrrev_b32_e32 v84, v55, v51
	v_add_nc_u32_e32 v51, 0xffffff91, v52
	v_lshrrev_b32_e32 v52, 23, v84
	v_cndmask_b32_e64 v51, v51, 0xffffff92, vcc_lo
	v_xor_b32_e32 v52, 1, v52
	v_add_nc_u32_e32 v51, v55, v51
	v_bfe_u32 v55, v84, 21, 1
	v_add_nc_u32_e32 v55, -1, v55
	v_cndmask_b32_e64 v55, 0, v55, s16
	s_mov_b32 s16, exec_lo
	v_add_nc_u32_e32 v55, v55, v84
	v_and_b32_e32 v55, 0x1fffff, v55
	v_add_nc_u32_e32 v55, v55, v84
                                        ; implicit-def: $vgpr84
	v_cmpx_ne_u32_e64 v51, v52
	s_xor_b32 s16, exec_lo, s16
; %bb.5702:                             ;   in Loop: Header=BB6_5227 Depth=3
	v_cmp_lt_u32_e32 vcc_lo, 0xffffff, v55
	v_sub_nc_u32_e32 v51, v51, v52
	v_cndmask_b32_e64 v52, 0, 1, vcc_lo
	v_add_co_ci_u32_e64 v84, null, 0, v51, vcc_lo
	v_lshrrev_b32_e32 v55, v52, v55
; %bb.5703:                             ;   in Loop: Header=BB6_5227 Depth=3
	s_andn2_saveexec_b32 s16, s16
; %bb.5704:                             ;   in Loop: Header=BB6_5227 Depth=3
	v_bfe_u32 v84, v55, 23, 1
; %bb.5705:                             ;   in Loop: Header=BB6_5227 Depth=3
	s_or_b32 exec_lo, exec_lo, s16
	v_lshrrev_b32_e32 v51, 21, v55
	v_cmp_gt_i32_e32 vcc_lo, 32, v84
	v_min_i32_e32 v52, 31, v84
	v_and_b32_sdwa v18, v18, v60 dst_sel:DWORD dst_unused:UNUSED_PAD src0_sel:BYTE_3 src1_sel:DWORD
	v_cndmask_b32_e32 v51, 3, v51, vcc_lo
	v_lshlrev_b32_e32 v52, 2, v52
	v_or_b32_e32 v55, v84, v51
	v_and_b32_e32 v51, 3, v51
	v_cmp_ne_u32_e32 vcc_lo, 0, v55
	v_or3_b32 v18, v52, v18, v51
	v_cndmask_b32_e32 v51, 0, v18, vcc_lo
.LBB6_5706:                             ;   in Loop: Header=BB6_5227 Depth=3
	s_or_b32 exec_lo, exec_lo, s23
.LBB6_5707:                             ;   in Loop: Header=BB6_5227 Depth=3
	s_or_b32 exec_lo, exec_lo, s19
	v_cmp_gt_i16_sdwa s19, v48, v59 src0_sel:BYTE_0 src1_sel:DWORD
	s_mov_b32 s16, 0
	s_and_saveexec_b32 s23, s19
	s_xor_b32 s19, exec_lo, s23
	s_cbranch_execz .LBB6_5961
; %bb.5708:                             ;   in Loop: Header=BB6_5227 Depth=3
	v_cmp_eq_u16_sdwa s72, v48, v60 src0_sel:BYTE_0 src1_sel:DWORD
	s_mov_b32 s16, -1
	s_and_saveexec_b32 s23, s72
; %bb.5709:                             ;   in Loop: Header=BB6_5227 Depth=3
	s_xor_b32 s16, exec_lo, -1
; %bb.5710:                             ;   in Loop: Header=BB6_5227 Depth=3
	s_or_b32 exec_lo, exec_lo, s23
	s_and_b32 s16, s16, exec_lo
	s_or_saveexec_b32 s19, s19
	v_mov_b32_e32 v18, 0x7f800001
	s_xor_b32 exec_lo, exec_lo, s19
	s_cbranch_execnz .LBB6_5962
.LBB6_5711:                             ;   in Loop: Header=BB6_5227 Depth=3
	s_or_b32 exec_lo, exec_lo, s19
	s_and_saveexec_b32 s19, s16
	s_cbranch_execz .LBB6_5713
.LBB6_5712:                             ;   in Loop: Header=BB6_5227 Depth=3
	v_and_b32_e32 v18, 3, v48
	v_lshrrev_b16 v55, 2, v48
	v_ffbh_u32_e32 v52, v18
	v_and_b32_e32 v55, 31, v55
	v_min_u32_e32 v52, 32, v52
	v_cmp_eq_u32_e32 vcc_lo, 0, v55
	v_subrev_nc_u32_e32 v84, 29, v52
	v_sub_nc_u32_e32 v52, 30, v52
	v_lshlrev_b32_e32 v84, v84, v48
	v_lshlrev_b32_e32 v48, 24, v48
	v_cndmask_b32_e32 v52, v55, v52, vcc_lo
	v_and_b32_e32 v84, 3, v84
	v_and_b32_e32 v48, 0x80000000, v48
	v_lshl_add_u32 v52, v52, 23, 0x37800000
	v_cndmask_b32_e32 v18, v18, v84, vcc_lo
	v_lshlrev_b32_e32 v18, 21, v18
	v_or3_b32 v18, v48, v52, v18
.LBB6_5713:                             ;   in Loop: Header=BB6_5227 Depth=3
	s_or_b32 exec_lo, exec_lo, s19
	s_waitcnt vmcnt(7) lgkmcnt(7)
	v_cmp_gt_i16_sdwa s19, v49, v59 src0_sel:BYTE_0 src1_sel:DWORD
	s_mov_b32 s16, 0
	s_and_saveexec_b32 s23, s19
	s_xor_b32 s19, exec_lo, s23
	s_cbranch_execz .LBB6_5963
; %bb.5714:                             ;   in Loop: Header=BB6_5227 Depth=3
	v_cmp_eq_u16_sdwa s72, v49, v60 src0_sel:BYTE_0 src1_sel:DWORD
	s_mov_b32 s16, -1
	s_and_saveexec_b32 s23, s72
; %bb.5715:                             ;   in Loop: Header=BB6_5227 Depth=3
	s_xor_b32 s16, exec_lo, -1
; %bb.5716:                             ;   in Loop: Header=BB6_5227 Depth=3
	s_or_b32 exec_lo, exec_lo, s23
	s_and_b32 s16, s16, exec_lo
	s_or_saveexec_b32 s19, s19
	v_mov_b32_e32 v48, 0x7f800001
	s_xor_b32 exec_lo, exec_lo, s19
	s_cbranch_execnz .LBB6_5964
.LBB6_5717:                             ;   in Loop: Header=BB6_5227 Depth=3
	s_or_b32 exec_lo, exec_lo, s19
	s_and_saveexec_b32 s19, s16
	s_cbranch_execz .LBB6_5719
.LBB6_5718:                             ;   in Loop: Header=BB6_5227 Depth=3
	v_and_b32_e32 v48, 3, v49
	v_lshrrev_b16 v55, 2, v49
	v_ffbh_u32_e32 v52, v48
	v_and_b32_e32 v55, 31, v55
	v_min_u32_e32 v52, 32, v52
	v_cmp_eq_u32_e32 vcc_lo, 0, v55
	v_subrev_nc_u32_e32 v84, 29, v52
	v_sub_nc_u32_e32 v52, 30, v52
	v_lshlrev_b32_e32 v84, v84, v49
	v_lshlrev_b32_e32 v49, 24, v49
	v_cndmask_b32_e32 v52, v55, v52, vcc_lo
	v_and_b32_e32 v84, 3, v84
	v_and_b32_e32 v49, 0x80000000, v49
	v_lshl_add_u32 v52, v52, 23, 0x37800000
	v_cndmask_b32_e32 v48, v48, v84, vcc_lo
	v_lshlrev_b32_e32 v48, 21, v48
	v_or3_b32 v48, v49, v52, v48
.LBB6_5719:                             ;   in Loop: Header=BB6_5227 Depth=3
	s_or_b32 exec_lo, exec_lo, s19
	v_mul_f32_e32 v18, v18, v48
	v_and_b32_e32 v48, 0x7f800000, v18
	v_cmp_ne_u32_e32 vcc_lo, 0x7f800000, v48
	v_mov_b32_e32 v48, 0x80
	s_and_saveexec_b32 s19, vcc_lo
	s_cbranch_execz .LBB6_5727
; %bb.5720:                             ;   in Loop: Header=BB6_5227 Depth=3
	v_mov_b32_e32 v48, 0
	s_mov_b32 s23, exec_lo
	v_cmpx_ne_u32_e32 0, v18
	s_cbranch_execz .LBB6_5726
; %bb.5721:                             ;   in Loop: Header=BB6_5227 Depth=3
	v_bfe_u32 v49, v18, 23, 8
	v_and_b32_e32 v48, 0x7fffff, v18
	v_cmp_gt_u32_e64 s16, 0x71, v49
	v_sub_nc_u32_e32 v52, 0x70, v49
	v_cmp_eq_u32_e32 vcc_lo, 0, v49
	v_or_b32_e32 v55, 0x800000, v48
	v_cndmask_b32_e64 v52, 0, v52, s16
	v_cndmask_b32_e32 v48, v55, v48, vcc_lo
	v_cndmask_b32_e64 v52, v52, 0x6f, vcc_lo
	v_lshl_add_u32 v55, 0x200000, v52, -1
	v_lshlrev_b32_e64 v84, v52, 0x100000
	v_and_b32_e32 v55, v55, v48
	v_cmp_eq_u32_e64 s16, v55, v84
	v_lshrrev_b32_e32 v55, v52, v48
	v_add_nc_u32_e32 v48, 0xffffff91, v49
	v_lshrrev_b32_e32 v49, 23, v55
	v_cndmask_b32_e64 v48, v48, 0xffffff92, vcc_lo
	v_xor_b32_e32 v49, 1, v49
	v_add_nc_u32_e32 v48, v52, v48
	v_bfe_u32 v52, v55, 21, 1
	v_add_nc_u32_e32 v52, -1, v52
	v_cndmask_b32_e64 v52, 0, v52, s16
	s_mov_b32 s16, exec_lo
	v_add_nc_u32_e32 v52, v52, v55
	v_and_b32_e32 v52, 0x1fffff, v52
	v_add_nc_u32_e32 v52, v52, v55
                                        ; implicit-def: $vgpr55
	v_cmpx_ne_u32_e64 v48, v49
	s_xor_b32 s16, exec_lo, s16
; %bb.5722:                             ;   in Loop: Header=BB6_5227 Depth=3
	v_cmp_lt_u32_e32 vcc_lo, 0xffffff, v52
	v_sub_nc_u32_e32 v48, v48, v49
	v_cndmask_b32_e64 v49, 0, 1, vcc_lo
	v_add_co_ci_u32_e64 v55, null, 0, v48, vcc_lo
	v_lshrrev_b32_e32 v52, v49, v52
; %bb.5723:                             ;   in Loop: Header=BB6_5227 Depth=3
	s_andn2_saveexec_b32 s16, s16
; %bb.5724:                             ;   in Loop: Header=BB6_5227 Depth=3
	v_bfe_u32 v55, v52, 23, 1
; %bb.5725:                             ;   in Loop: Header=BB6_5227 Depth=3
	s_or_b32 exec_lo, exec_lo, s16
	v_lshrrev_b32_e32 v48, 21, v52
	v_cmp_gt_i32_e32 vcc_lo, 32, v55
	v_min_i32_e32 v49, 31, v55
	v_and_b32_sdwa v18, v18, v60 dst_sel:DWORD dst_unused:UNUSED_PAD src0_sel:BYTE_3 src1_sel:DWORD
	v_cndmask_b32_e32 v48, 3, v48, vcc_lo
	v_lshlrev_b32_e32 v49, 2, v49
	v_or_b32_e32 v52, v55, v48
	v_and_b32_e32 v48, 3, v48
	v_cmp_ne_u32_e32 vcc_lo, 0, v52
	v_or3_b32 v18, v49, v18, v48
	v_cndmask_b32_e32 v48, 0, v18, vcc_lo
.LBB6_5726:                             ;   in Loop: Header=BB6_5227 Depth=3
	s_or_b32 exec_lo, exec_lo, s23
.LBB6_5727:                             ;   in Loop: Header=BB6_5227 Depth=3
	s_or_b32 exec_lo, exec_lo, s19
	v_cmp_gt_i16_sdwa s19, v37, v59 src0_sel:BYTE_0 src1_sel:DWORD
	s_mov_b32 s16, 0
	s_and_saveexec_b32 s23, s19
	s_xor_b32 s19, exec_lo, s23
	s_cbranch_execz .LBB6_5965
; %bb.5728:                             ;   in Loop: Header=BB6_5227 Depth=3
	v_cmp_eq_u16_sdwa s72, v37, v60 src0_sel:BYTE_0 src1_sel:DWORD
	s_mov_b32 s16, -1
	s_and_saveexec_b32 s23, s72
; %bb.5729:                             ;   in Loop: Header=BB6_5227 Depth=3
	s_xor_b32 s16, exec_lo, -1
; %bb.5730:                             ;   in Loop: Header=BB6_5227 Depth=3
	s_or_b32 exec_lo, exec_lo, s23
	s_and_b32 s16, s16, exec_lo
	s_or_saveexec_b32 s19, s19
	v_mov_b32_e32 v18, 0x7f800001
	s_xor_b32 exec_lo, exec_lo, s19
	s_cbranch_execnz .LBB6_5966
.LBB6_5731:                             ;   in Loop: Header=BB6_5227 Depth=3
	s_or_b32 exec_lo, exec_lo, s19
	s_and_saveexec_b32 s19, s16
	s_cbranch_execz .LBB6_5733
.LBB6_5732:                             ;   in Loop: Header=BB6_5227 Depth=3
	v_and_b32_e32 v18, 3, v37
	v_lshrrev_b16 v52, 2, v37
	v_ffbh_u32_e32 v49, v18
	v_and_b32_e32 v52, 31, v52
	v_min_u32_e32 v49, 32, v49
	v_cmp_eq_u32_e32 vcc_lo, 0, v52
	v_subrev_nc_u32_e32 v55, 29, v49
	v_sub_nc_u32_e32 v49, 30, v49
	v_lshlrev_b32_e32 v55, v55, v37
	v_lshlrev_b32_e32 v37, 24, v37
	v_cndmask_b32_e32 v49, v52, v49, vcc_lo
	v_and_b32_e32 v55, 3, v55
	v_and_b32_e32 v37, 0x80000000, v37
	v_lshl_add_u32 v49, v49, 23, 0x37800000
	v_cndmask_b32_e32 v18, v18, v55, vcc_lo
	v_lshlrev_b32_e32 v18, 21, v18
	v_or3_b32 v18, v37, v49, v18
.LBB6_5733:                             ;   in Loop: Header=BB6_5227 Depth=3
	s_or_b32 exec_lo, exec_lo, s19
	s_waitcnt vmcnt(6) lgkmcnt(6)
	v_cmp_gt_i16_sdwa s19, v38, v59 src0_sel:BYTE_0 src1_sel:DWORD
	s_mov_b32 s16, 0
	s_and_saveexec_b32 s23, s19
	s_xor_b32 s19, exec_lo, s23
	s_cbranch_execz .LBB6_5967
; %bb.5734:                             ;   in Loop: Header=BB6_5227 Depth=3
	v_cmp_eq_u16_sdwa s72, v38, v60 src0_sel:BYTE_0 src1_sel:DWORD
	s_mov_b32 s16, -1
	s_and_saveexec_b32 s23, s72
; %bb.5735:                             ;   in Loop: Header=BB6_5227 Depth=3
	s_xor_b32 s16, exec_lo, -1
; %bb.5736:                             ;   in Loop: Header=BB6_5227 Depth=3
	s_or_b32 exec_lo, exec_lo, s23
	s_and_b32 s16, s16, exec_lo
	s_or_saveexec_b32 s19, s19
	v_mov_b32_e32 v37, 0x7f800001
	s_xor_b32 exec_lo, exec_lo, s19
	s_cbranch_execnz .LBB6_5968
.LBB6_5737:                             ;   in Loop: Header=BB6_5227 Depth=3
	s_or_b32 exec_lo, exec_lo, s19
	s_and_saveexec_b32 s19, s16
	s_cbranch_execz .LBB6_5739
.LBB6_5738:                             ;   in Loop: Header=BB6_5227 Depth=3
	v_and_b32_e32 v37, 3, v38
	v_lshrrev_b16 v52, 2, v38
	v_ffbh_u32_e32 v49, v37
	v_and_b32_e32 v52, 31, v52
	v_min_u32_e32 v49, 32, v49
	v_cmp_eq_u32_e32 vcc_lo, 0, v52
	v_subrev_nc_u32_e32 v55, 29, v49
	v_sub_nc_u32_e32 v49, 30, v49
	v_lshlrev_b32_e32 v55, v55, v38
	v_lshlrev_b32_e32 v38, 24, v38
	v_cndmask_b32_e32 v49, v52, v49, vcc_lo
	v_and_b32_e32 v55, 3, v55
	v_and_b32_e32 v38, 0x80000000, v38
	v_lshl_add_u32 v49, v49, 23, 0x37800000
	v_cndmask_b32_e32 v37, v37, v55, vcc_lo
	v_lshlrev_b32_e32 v37, 21, v37
	v_or3_b32 v37, v38, v49, v37
.LBB6_5739:                             ;   in Loop: Header=BB6_5227 Depth=3
	s_or_b32 exec_lo, exec_lo, s19
	v_mul_f32_e32 v18, v18, v37
	v_and_b32_e32 v37, 0x7f800000, v18
	v_cmp_ne_u32_e32 vcc_lo, 0x7f800000, v37
	v_mov_b32_e32 v37, 0x80
	s_and_saveexec_b32 s19, vcc_lo
	s_cbranch_execz .LBB6_5747
; %bb.5740:                             ;   in Loop: Header=BB6_5227 Depth=3
	v_mov_b32_e32 v37, 0
	s_mov_b32 s23, exec_lo
	v_cmpx_ne_u32_e32 0, v18
	s_cbranch_execz .LBB6_5746
; %bb.5741:                             ;   in Loop: Header=BB6_5227 Depth=3
	v_bfe_u32 v38, v18, 23, 8
	v_and_b32_e32 v37, 0x7fffff, v18
	v_cmp_gt_u32_e64 s16, 0x71, v38
	v_sub_nc_u32_e32 v49, 0x70, v38
	v_cmp_eq_u32_e32 vcc_lo, 0, v38
	v_or_b32_e32 v52, 0x800000, v37
	v_cndmask_b32_e64 v49, 0, v49, s16
	v_cndmask_b32_e32 v37, v52, v37, vcc_lo
	v_cndmask_b32_e64 v49, v49, 0x6f, vcc_lo
	v_lshl_add_u32 v52, 0x200000, v49, -1
	v_lshlrev_b32_e64 v55, v49, 0x100000
	v_and_b32_e32 v52, v52, v37
	v_cmp_eq_u32_e64 s16, v52, v55
	v_lshrrev_b32_e32 v52, v49, v37
	v_add_nc_u32_e32 v37, 0xffffff91, v38
	v_lshrrev_b32_e32 v38, 23, v52
	v_cndmask_b32_e64 v37, v37, 0xffffff92, vcc_lo
	v_xor_b32_e32 v38, 1, v38
	v_add_nc_u32_e32 v37, v49, v37
	v_bfe_u32 v49, v52, 21, 1
	v_add_nc_u32_e32 v49, -1, v49
	v_cndmask_b32_e64 v49, 0, v49, s16
	s_mov_b32 s16, exec_lo
	v_add_nc_u32_e32 v49, v49, v52
	v_and_b32_e32 v49, 0x1fffff, v49
	v_add_nc_u32_e32 v49, v49, v52
                                        ; implicit-def: $vgpr52
	v_cmpx_ne_u32_e64 v37, v38
	s_xor_b32 s16, exec_lo, s16
; %bb.5742:                             ;   in Loop: Header=BB6_5227 Depth=3
	v_cmp_lt_u32_e32 vcc_lo, 0xffffff, v49
	v_sub_nc_u32_e32 v37, v37, v38
	v_cndmask_b32_e64 v38, 0, 1, vcc_lo
	v_add_co_ci_u32_e64 v52, null, 0, v37, vcc_lo
	v_lshrrev_b32_e32 v49, v38, v49
; %bb.5743:                             ;   in Loop: Header=BB6_5227 Depth=3
	s_andn2_saveexec_b32 s16, s16
; %bb.5744:                             ;   in Loop: Header=BB6_5227 Depth=3
	v_bfe_u32 v52, v49, 23, 1
; %bb.5745:                             ;   in Loop: Header=BB6_5227 Depth=3
	s_or_b32 exec_lo, exec_lo, s16
	v_lshrrev_b32_e32 v37, 21, v49
	v_cmp_gt_i32_e32 vcc_lo, 32, v52
	v_min_i32_e32 v38, 31, v52
	v_and_b32_sdwa v18, v18, v60 dst_sel:DWORD dst_unused:UNUSED_PAD src0_sel:BYTE_3 src1_sel:DWORD
	v_cndmask_b32_e32 v37, 3, v37, vcc_lo
	v_lshlrev_b32_e32 v38, 2, v38
	v_or_b32_e32 v49, v52, v37
	v_and_b32_e32 v37, 3, v37
	v_cmp_ne_u32_e32 vcc_lo, 0, v49
	v_or3_b32 v18, v38, v18, v37
	v_cndmask_b32_e32 v37, 0, v18, vcc_lo
.LBB6_5746:                             ;   in Loop: Header=BB6_5227 Depth=3
	s_or_b32 exec_lo, exec_lo, s23
.LBB6_5747:                             ;   in Loop: Header=BB6_5227 Depth=3
	s_or_b32 exec_lo, exec_lo, s19
	v_cmp_gt_i16_sdwa s19, v34, v59 src0_sel:BYTE_0 src1_sel:DWORD
	s_mov_b32 s16, 0
	s_and_saveexec_b32 s23, s19
	s_xor_b32 s19, exec_lo, s23
	s_cbranch_execz .LBB6_5969
; %bb.5748:                             ;   in Loop: Header=BB6_5227 Depth=3
	v_cmp_eq_u16_sdwa s72, v34, v60 src0_sel:BYTE_0 src1_sel:DWORD
	s_mov_b32 s16, -1
	s_and_saveexec_b32 s23, s72
; %bb.5749:                             ;   in Loop: Header=BB6_5227 Depth=3
	s_xor_b32 s16, exec_lo, -1
; %bb.5750:                             ;   in Loop: Header=BB6_5227 Depth=3
	s_or_b32 exec_lo, exec_lo, s23
	s_and_b32 s16, s16, exec_lo
	s_or_saveexec_b32 s19, s19
	v_mov_b32_e32 v18, 0x7f800001
	s_xor_b32 exec_lo, exec_lo, s19
	s_cbranch_execnz .LBB6_5970
.LBB6_5751:                             ;   in Loop: Header=BB6_5227 Depth=3
	s_or_b32 exec_lo, exec_lo, s19
	s_and_saveexec_b32 s19, s16
	s_cbranch_execz .LBB6_5753
.LBB6_5752:                             ;   in Loop: Header=BB6_5227 Depth=3
	v_and_b32_e32 v18, 3, v34
	v_lshrrev_b16 v49, 2, v34
	v_ffbh_u32_e32 v38, v18
	v_and_b32_e32 v49, 31, v49
	v_min_u32_e32 v38, 32, v38
	v_cmp_eq_u32_e32 vcc_lo, 0, v49
	v_subrev_nc_u32_e32 v52, 29, v38
	v_sub_nc_u32_e32 v38, 30, v38
	v_lshlrev_b32_e32 v52, v52, v34
	v_lshlrev_b32_e32 v34, 24, v34
	v_cndmask_b32_e32 v38, v49, v38, vcc_lo
	v_and_b32_e32 v52, 3, v52
	v_and_b32_e32 v34, 0x80000000, v34
	v_lshl_add_u32 v38, v38, 23, 0x37800000
	v_cndmask_b32_e32 v18, v18, v52, vcc_lo
	v_lshlrev_b32_e32 v18, 21, v18
	v_or3_b32 v18, v34, v38, v18
.LBB6_5753:                             ;   in Loop: Header=BB6_5227 Depth=3
	s_or_b32 exec_lo, exec_lo, s19
	s_waitcnt vmcnt(5) lgkmcnt(5)
	v_cmp_gt_i16_sdwa s19, v35, v59 src0_sel:BYTE_0 src1_sel:DWORD
	s_mov_b32 s16, 0
	s_and_saveexec_b32 s23, s19
	s_xor_b32 s19, exec_lo, s23
	s_cbranch_execz .LBB6_5971
; %bb.5754:                             ;   in Loop: Header=BB6_5227 Depth=3
	v_cmp_eq_u16_sdwa s72, v35, v60 src0_sel:BYTE_0 src1_sel:DWORD
	s_mov_b32 s16, -1
	s_and_saveexec_b32 s23, s72
; %bb.5755:                             ;   in Loop: Header=BB6_5227 Depth=3
	s_xor_b32 s16, exec_lo, -1
; %bb.5756:                             ;   in Loop: Header=BB6_5227 Depth=3
	s_or_b32 exec_lo, exec_lo, s23
	s_and_b32 s16, s16, exec_lo
	s_or_saveexec_b32 s19, s19
	v_mov_b32_e32 v34, 0x7f800001
	s_xor_b32 exec_lo, exec_lo, s19
	s_cbranch_execnz .LBB6_5972
.LBB6_5757:                             ;   in Loop: Header=BB6_5227 Depth=3
	s_or_b32 exec_lo, exec_lo, s19
	s_and_saveexec_b32 s19, s16
	s_cbranch_execz .LBB6_5759
.LBB6_5758:                             ;   in Loop: Header=BB6_5227 Depth=3
	v_and_b32_e32 v34, 3, v35
	v_lshrrev_b16 v49, 2, v35
	v_ffbh_u32_e32 v38, v34
	v_and_b32_e32 v49, 31, v49
	v_min_u32_e32 v38, 32, v38
	v_cmp_eq_u32_e32 vcc_lo, 0, v49
	v_subrev_nc_u32_e32 v52, 29, v38
	v_sub_nc_u32_e32 v38, 30, v38
	v_lshlrev_b32_e32 v52, v52, v35
	v_lshlrev_b32_e32 v35, 24, v35
	v_cndmask_b32_e32 v38, v49, v38, vcc_lo
	v_and_b32_e32 v52, 3, v52
	v_and_b32_e32 v35, 0x80000000, v35
	v_lshl_add_u32 v38, v38, 23, 0x37800000
	v_cndmask_b32_e32 v34, v34, v52, vcc_lo
	v_lshlrev_b32_e32 v34, 21, v34
	v_or3_b32 v34, v35, v38, v34
.LBB6_5759:                             ;   in Loop: Header=BB6_5227 Depth=3
	s_or_b32 exec_lo, exec_lo, s19
	v_mul_f32_e32 v18, v18, v34
	v_and_b32_e32 v34, 0x7f800000, v18
	v_cmp_ne_u32_e32 vcc_lo, 0x7f800000, v34
	v_mov_b32_e32 v34, 0x80
	s_and_saveexec_b32 s19, vcc_lo
	s_cbranch_execz .LBB6_5767
; %bb.5760:                             ;   in Loop: Header=BB6_5227 Depth=3
	v_mov_b32_e32 v34, 0
	s_mov_b32 s23, exec_lo
	v_cmpx_ne_u32_e32 0, v18
	s_cbranch_execz .LBB6_5766
; %bb.5761:                             ;   in Loop: Header=BB6_5227 Depth=3
	v_bfe_u32 v35, v18, 23, 8
	v_and_b32_e32 v34, 0x7fffff, v18
	v_cmp_gt_u32_e64 s16, 0x71, v35
	v_sub_nc_u32_e32 v38, 0x70, v35
	v_cmp_eq_u32_e32 vcc_lo, 0, v35
	v_or_b32_e32 v49, 0x800000, v34
	v_cndmask_b32_e64 v38, 0, v38, s16
	v_cndmask_b32_e32 v34, v49, v34, vcc_lo
	v_cndmask_b32_e64 v38, v38, 0x6f, vcc_lo
	v_lshl_add_u32 v49, 0x200000, v38, -1
	v_lshlrev_b32_e64 v52, v38, 0x100000
	v_and_b32_e32 v49, v49, v34
	v_cmp_eq_u32_e64 s16, v49, v52
	v_lshrrev_b32_e32 v49, v38, v34
	v_add_nc_u32_e32 v34, 0xffffff91, v35
	v_lshrrev_b32_e32 v35, 23, v49
	v_cndmask_b32_e64 v34, v34, 0xffffff92, vcc_lo
	v_xor_b32_e32 v35, 1, v35
	v_add_nc_u32_e32 v34, v38, v34
	v_bfe_u32 v38, v49, 21, 1
	v_add_nc_u32_e32 v38, -1, v38
	v_cndmask_b32_e64 v38, 0, v38, s16
	s_mov_b32 s16, exec_lo
	v_add_nc_u32_e32 v38, v38, v49
	v_and_b32_e32 v38, 0x1fffff, v38
	v_add_nc_u32_e32 v38, v38, v49
                                        ; implicit-def: $vgpr49
	v_cmpx_ne_u32_e64 v34, v35
	s_xor_b32 s16, exec_lo, s16
; %bb.5762:                             ;   in Loop: Header=BB6_5227 Depth=3
	v_cmp_lt_u32_e32 vcc_lo, 0xffffff, v38
	v_sub_nc_u32_e32 v34, v34, v35
	v_cndmask_b32_e64 v35, 0, 1, vcc_lo
	v_add_co_ci_u32_e64 v49, null, 0, v34, vcc_lo
	v_lshrrev_b32_e32 v38, v35, v38
; %bb.5763:                             ;   in Loop: Header=BB6_5227 Depth=3
	s_andn2_saveexec_b32 s16, s16
; %bb.5764:                             ;   in Loop: Header=BB6_5227 Depth=3
	v_bfe_u32 v49, v38, 23, 1
; %bb.5765:                             ;   in Loop: Header=BB6_5227 Depth=3
	s_or_b32 exec_lo, exec_lo, s16
	v_lshrrev_b32_e32 v34, 21, v38
	v_cmp_gt_i32_e32 vcc_lo, 32, v49
	v_min_i32_e32 v35, 31, v49
	v_and_b32_sdwa v18, v18, v60 dst_sel:DWORD dst_unused:UNUSED_PAD src0_sel:BYTE_3 src1_sel:DWORD
	v_cndmask_b32_e32 v34, 3, v34, vcc_lo
	v_lshlrev_b32_e32 v35, 2, v35
	v_or_b32_e32 v38, v49, v34
	v_and_b32_e32 v34, 3, v34
	v_cmp_ne_u32_e32 vcc_lo, 0, v38
	v_or3_b32 v18, v35, v18, v34
	v_cndmask_b32_e32 v34, 0, v18, vcc_lo
.LBB6_5766:                             ;   in Loop: Header=BB6_5227 Depth=3
	s_or_b32 exec_lo, exec_lo, s23
.LBB6_5767:                             ;   in Loop: Header=BB6_5227 Depth=3
	s_or_b32 exec_lo, exec_lo, s19
	v_cmp_gt_i16_sdwa s19, v31, v59 src0_sel:BYTE_0 src1_sel:DWORD
	s_mov_b32 s16, 0
	s_and_saveexec_b32 s23, s19
	s_xor_b32 s19, exec_lo, s23
	s_cbranch_execz .LBB6_5973
; %bb.5768:                             ;   in Loop: Header=BB6_5227 Depth=3
	v_cmp_eq_u16_sdwa s72, v31, v60 src0_sel:BYTE_0 src1_sel:DWORD
	s_mov_b32 s16, -1
	s_and_saveexec_b32 s23, s72
; %bb.5769:                             ;   in Loop: Header=BB6_5227 Depth=3
	s_xor_b32 s16, exec_lo, -1
; %bb.5770:                             ;   in Loop: Header=BB6_5227 Depth=3
	s_or_b32 exec_lo, exec_lo, s23
	s_and_b32 s16, s16, exec_lo
	s_or_saveexec_b32 s19, s19
	v_mov_b32_e32 v18, 0x7f800001
	s_xor_b32 exec_lo, exec_lo, s19
	s_cbranch_execnz .LBB6_5974
.LBB6_5771:                             ;   in Loop: Header=BB6_5227 Depth=3
	s_or_b32 exec_lo, exec_lo, s19
	s_and_saveexec_b32 s19, s16
	s_cbranch_execz .LBB6_5773
.LBB6_5772:                             ;   in Loop: Header=BB6_5227 Depth=3
	v_and_b32_e32 v18, 3, v31
	v_lshrrev_b16 v38, 2, v31
	v_ffbh_u32_e32 v35, v18
	v_and_b32_e32 v38, 31, v38
	v_min_u32_e32 v35, 32, v35
	v_cmp_eq_u32_e32 vcc_lo, 0, v38
	v_subrev_nc_u32_e32 v49, 29, v35
	v_sub_nc_u32_e32 v35, 30, v35
	v_lshlrev_b32_e32 v49, v49, v31
	v_lshlrev_b32_e32 v31, 24, v31
	v_cndmask_b32_e32 v35, v38, v35, vcc_lo
	v_and_b32_e32 v49, 3, v49
	v_and_b32_e32 v31, 0x80000000, v31
	v_lshl_add_u32 v35, v35, 23, 0x37800000
	v_cndmask_b32_e32 v18, v18, v49, vcc_lo
	v_lshlrev_b32_e32 v18, 21, v18
	v_or3_b32 v18, v31, v35, v18
.LBB6_5773:                             ;   in Loop: Header=BB6_5227 Depth=3
	s_or_b32 exec_lo, exec_lo, s19
	s_waitcnt vmcnt(4) lgkmcnt(4)
	v_cmp_gt_i16_sdwa s19, v32, v59 src0_sel:BYTE_0 src1_sel:DWORD
	s_mov_b32 s16, 0
	s_and_saveexec_b32 s23, s19
	s_xor_b32 s19, exec_lo, s23
	s_cbranch_execz .LBB6_5975
; %bb.5774:                             ;   in Loop: Header=BB6_5227 Depth=3
	v_cmp_eq_u16_sdwa s72, v32, v60 src0_sel:BYTE_0 src1_sel:DWORD
	s_mov_b32 s16, -1
	s_and_saveexec_b32 s23, s72
; %bb.5775:                             ;   in Loop: Header=BB6_5227 Depth=3
	s_xor_b32 s16, exec_lo, -1
; %bb.5776:                             ;   in Loop: Header=BB6_5227 Depth=3
	s_or_b32 exec_lo, exec_lo, s23
	s_and_b32 s16, s16, exec_lo
	s_or_saveexec_b32 s19, s19
	v_mov_b32_e32 v31, 0x7f800001
	s_xor_b32 exec_lo, exec_lo, s19
	s_cbranch_execnz .LBB6_5976
.LBB6_5777:                             ;   in Loop: Header=BB6_5227 Depth=3
	s_or_b32 exec_lo, exec_lo, s19
	s_and_saveexec_b32 s19, s16
	s_cbranch_execz .LBB6_5779
.LBB6_5778:                             ;   in Loop: Header=BB6_5227 Depth=3
	v_and_b32_e32 v31, 3, v32
	v_lshrrev_b16 v38, 2, v32
	v_ffbh_u32_e32 v35, v31
	v_and_b32_e32 v38, 31, v38
	v_min_u32_e32 v35, 32, v35
	v_cmp_eq_u32_e32 vcc_lo, 0, v38
	v_subrev_nc_u32_e32 v49, 29, v35
	v_sub_nc_u32_e32 v35, 30, v35
	v_lshlrev_b32_e32 v49, v49, v32
	v_lshlrev_b32_e32 v32, 24, v32
	v_cndmask_b32_e32 v35, v38, v35, vcc_lo
	v_and_b32_e32 v49, 3, v49
	v_and_b32_e32 v32, 0x80000000, v32
	v_lshl_add_u32 v35, v35, 23, 0x37800000
	v_cndmask_b32_e32 v31, v31, v49, vcc_lo
	v_lshlrev_b32_e32 v31, 21, v31
	v_or3_b32 v31, v32, v35, v31
.LBB6_5779:                             ;   in Loop: Header=BB6_5227 Depth=3
	s_or_b32 exec_lo, exec_lo, s19
	v_mul_f32_e32 v18, v18, v31
	v_and_b32_e32 v31, 0x7f800000, v18
	v_cmp_ne_u32_e32 vcc_lo, 0x7f800000, v31
	v_mov_b32_e32 v31, 0x80
	s_and_saveexec_b32 s19, vcc_lo
	s_cbranch_execz .LBB6_5787
; %bb.5780:                             ;   in Loop: Header=BB6_5227 Depth=3
	v_mov_b32_e32 v31, 0
	s_mov_b32 s23, exec_lo
	v_cmpx_ne_u32_e32 0, v18
	s_cbranch_execz .LBB6_5786
; %bb.5781:                             ;   in Loop: Header=BB6_5227 Depth=3
	v_bfe_u32 v32, v18, 23, 8
	v_and_b32_e32 v31, 0x7fffff, v18
	v_cmp_gt_u32_e64 s16, 0x71, v32
	v_sub_nc_u32_e32 v35, 0x70, v32
	v_cmp_eq_u32_e32 vcc_lo, 0, v32
	v_or_b32_e32 v38, 0x800000, v31
	v_cndmask_b32_e64 v35, 0, v35, s16
	v_cndmask_b32_e32 v31, v38, v31, vcc_lo
	v_cndmask_b32_e64 v35, v35, 0x6f, vcc_lo
	v_lshl_add_u32 v38, 0x200000, v35, -1
	v_lshlrev_b32_e64 v49, v35, 0x100000
	v_and_b32_e32 v38, v38, v31
	v_cmp_eq_u32_e64 s16, v38, v49
	v_lshrrev_b32_e32 v38, v35, v31
	v_add_nc_u32_e32 v31, 0xffffff91, v32
	v_lshrrev_b32_e32 v32, 23, v38
	v_cndmask_b32_e64 v31, v31, 0xffffff92, vcc_lo
	v_xor_b32_e32 v32, 1, v32
	v_add_nc_u32_e32 v31, v35, v31
	v_bfe_u32 v35, v38, 21, 1
	v_add_nc_u32_e32 v35, -1, v35
	v_cndmask_b32_e64 v35, 0, v35, s16
	s_mov_b32 s16, exec_lo
	v_add_nc_u32_e32 v35, v35, v38
	v_and_b32_e32 v35, 0x1fffff, v35
	v_add_nc_u32_e32 v35, v35, v38
                                        ; implicit-def: $vgpr38
	v_cmpx_ne_u32_e64 v31, v32
	s_xor_b32 s16, exec_lo, s16
; %bb.5782:                             ;   in Loop: Header=BB6_5227 Depth=3
	v_cmp_lt_u32_e32 vcc_lo, 0xffffff, v35
	v_sub_nc_u32_e32 v31, v31, v32
	v_cndmask_b32_e64 v32, 0, 1, vcc_lo
	v_add_co_ci_u32_e64 v38, null, 0, v31, vcc_lo
	v_lshrrev_b32_e32 v35, v32, v35
; %bb.5783:                             ;   in Loop: Header=BB6_5227 Depth=3
	s_andn2_saveexec_b32 s16, s16
; %bb.5784:                             ;   in Loop: Header=BB6_5227 Depth=3
	v_bfe_u32 v38, v35, 23, 1
; %bb.5785:                             ;   in Loop: Header=BB6_5227 Depth=3
	s_or_b32 exec_lo, exec_lo, s16
	v_lshrrev_b32_e32 v31, 21, v35
	v_cmp_gt_i32_e32 vcc_lo, 32, v38
	v_min_i32_e32 v32, 31, v38
	v_and_b32_sdwa v18, v18, v60 dst_sel:DWORD dst_unused:UNUSED_PAD src0_sel:BYTE_3 src1_sel:DWORD
	v_cndmask_b32_e32 v31, 3, v31, vcc_lo
	v_lshlrev_b32_e32 v32, 2, v32
	v_or_b32_e32 v35, v38, v31
	v_and_b32_e32 v31, 3, v31
	v_cmp_ne_u32_e32 vcc_lo, 0, v35
	v_or3_b32 v18, v32, v18, v31
	v_cndmask_b32_e32 v31, 0, v18, vcc_lo
.LBB6_5786:                             ;   in Loop: Header=BB6_5227 Depth=3
	s_or_b32 exec_lo, exec_lo, s23
.LBB6_5787:                             ;   in Loop: Header=BB6_5227 Depth=3
	s_or_b32 exec_lo, exec_lo, s19
	v_cmp_gt_i16_sdwa s19, v28, v59 src0_sel:BYTE_0 src1_sel:DWORD
	s_mov_b32 s16, 0
	s_and_saveexec_b32 s23, s19
	s_xor_b32 s19, exec_lo, s23
	s_cbranch_execz .LBB6_5977
; %bb.5788:                             ;   in Loop: Header=BB6_5227 Depth=3
	v_cmp_eq_u16_sdwa s72, v28, v60 src0_sel:BYTE_0 src1_sel:DWORD
	s_mov_b32 s16, -1
	s_and_saveexec_b32 s23, s72
; %bb.5789:                             ;   in Loop: Header=BB6_5227 Depth=3
	s_xor_b32 s16, exec_lo, -1
; %bb.5790:                             ;   in Loop: Header=BB6_5227 Depth=3
	s_or_b32 exec_lo, exec_lo, s23
	s_and_b32 s16, s16, exec_lo
	s_or_saveexec_b32 s19, s19
	v_mov_b32_e32 v18, 0x7f800001
	s_xor_b32 exec_lo, exec_lo, s19
	s_cbranch_execnz .LBB6_5978
.LBB6_5791:                             ;   in Loop: Header=BB6_5227 Depth=3
	s_or_b32 exec_lo, exec_lo, s19
	s_and_saveexec_b32 s19, s16
	s_cbranch_execz .LBB6_5793
.LBB6_5792:                             ;   in Loop: Header=BB6_5227 Depth=3
	v_and_b32_e32 v18, 3, v28
	v_lshrrev_b16 v35, 2, v28
	v_ffbh_u32_e32 v32, v18
	v_and_b32_e32 v35, 31, v35
	v_min_u32_e32 v32, 32, v32
	v_cmp_eq_u32_e32 vcc_lo, 0, v35
	v_subrev_nc_u32_e32 v38, 29, v32
	v_sub_nc_u32_e32 v32, 30, v32
	v_lshlrev_b32_e32 v38, v38, v28
	v_lshlrev_b32_e32 v28, 24, v28
	v_cndmask_b32_e32 v32, v35, v32, vcc_lo
	v_and_b32_e32 v38, 3, v38
	v_and_b32_e32 v28, 0x80000000, v28
	v_lshl_add_u32 v32, v32, 23, 0x37800000
	v_cndmask_b32_e32 v18, v18, v38, vcc_lo
	v_lshlrev_b32_e32 v18, 21, v18
	v_or3_b32 v18, v28, v32, v18
.LBB6_5793:                             ;   in Loop: Header=BB6_5227 Depth=3
	s_or_b32 exec_lo, exec_lo, s19
	s_waitcnt vmcnt(3) lgkmcnt(3)
	v_cmp_gt_i16_sdwa s19, v29, v59 src0_sel:BYTE_0 src1_sel:DWORD
	s_mov_b32 s16, 0
	s_and_saveexec_b32 s23, s19
	s_xor_b32 s19, exec_lo, s23
	s_cbranch_execz .LBB6_5979
; %bb.5794:                             ;   in Loop: Header=BB6_5227 Depth=3
	v_cmp_eq_u16_sdwa s72, v29, v60 src0_sel:BYTE_0 src1_sel:DWORD
	s_mov_b32 s16, -1
	s_and_saveexec_b32 s23, s72
; %bb.5795:                             ;   in Loop: Header=BB6_5227 Depth=3
	s_xor_b32 s16, exec_lo, -1
; %bb.5796:                             ;   in Loop: Header=BB6_5227 Depth=3
	s_or_b32 exec_lo, exec_lo, s23
	s_and_b32 s16, s16, exec_lo
	s_or_saveexec_b32 s19, s19
	v_mov_b32_e32 v28, 0x7f800001
	s_xor_b32 exec_lo, exec_lo, s19
	s_cbranch_execnz .LBB6_5980
.LBB6_5797:                             ;   in Loop: Header=BB6_5227 Depth=3
	s_or_b32 exec_lo, exec_lo, s19
	s_and_saveexec_b32 s19, s16
	s_cbranch_execz .LBB6_5799
.LBB6_5798:                             ;   in Loop: Header=BB6_5227 Depth=3
	v_and_b32_e32 v28, 3, v29
	v_lshrrev_b16 v35, 2, v29
	v_ffbh_u32_e32 v32, v28
	v_and_b32_e32 v35, 31, v35
	v_min_u32_e32 v32, 32, v32
	v_cmp_eq_u32_e32 vcc_lo, 0, v35
	v_subrev_nc_u32_e32 v38, 29, v32
	v_sub_nc_u32_e32 v32, 30, v32
	v_lshlrev_b32_e32 v38, v38, v29
	v_lshlrev_b32_e32 v29, 24, v29
	v_cndmask_b32_e32 v32, v35, v32, vcc_lo
	v_and_b32_e32 v38, 3, v38
	v_and_b32_e32 v29, 0x80000000, v29
	v_lshl_add_u32 v32, v32, 23, 0x37800000
	v_cndmask_b32_e32 v28, v28, v38, vcc_lo
	v_lshlrev_b32_e32 v28, 21, v28
	v_or3_b32 v28, v29, v32, v28
.LBB6_5799:                             ;   in Loop: Header=BB6_5227 Depth=3
	s_or_b32 exec_lo, exec_lo, s19
	v_mul_f32_e32 v28, v18, v28
	v_and_b32_e32 v18, 0x7f800000, v28
	v_cmp_ne_u32_e32 vcc_lo, 0x7f800000, v18
	v_mov_b32_e32 v18, 0x80
	s_and_saveexec_b32 s19, vcc_lo
	s_cbranch_execz .LBB6_5807
; %bb.5800:                             ;   in Loop: Header=BB6_5227 Depth=3
	v_mov_b32_e32 v18, 0
	s_mov_b32 s23, exec_lo
	v_cmpx_ne_u32_e32 0, v28
	s_cbranch_execz .LBB6_5806
; %bb.5801:                             ;   in Loop: Header=BB6_5227 Depth=3
	v_bfe_u32 v29, v28, 23, 8
	v_and_b32_e32 v18, 0x7fffff, v28
	v_cmp_gt_u32_e64 s16, 0x71, v29
	v_sub_nc_u32_e32 v32, 0x70, v29
	v_cmp_eq_u32_e32 vcc_lo, 0, v29
	v_or_b32_e32 v35, 0x800000, v18
	v_cndmask_b32_e64 v32, 0, v32, s16
	v_cndmask_b32_e32 v18, v35, v18, vcc_lo
	v_cndmask_b32_e64 v32, v32, 0x6f, vcc_lo
	v_lshl_add_u32 v35, 0x200000, v32, -1
	v_lshlrev_b32_e64 v38, v32, 0x100000
	v_and_b32_e32 v35, v35, v18
	v_cmp_eq_u32_e64 s16, v35, v38
	v_lshrrev_b32_e32 v35, v32, v18
	v_add_nc_u32_e32 v18, 0xffffff91, v29
	v_lshrrev_b32_e32 v29, 23, v35
	v_cndmask_b32_e64 v18, v18, 0xffffff92, vcc_lo
	v_xor_b32_e32 v29, 1, v29
	v_add_nc_u32_e32 v18, v32, v18
	v_bfe_u32 v32, v35, 21, 1
	v_add_nc_u32_e32 v32, -1, v32
	v_cndmask_b32_e64 v32, 0, v32, s16
	s_mov_b32 s16, exec_lo
	v_add_nc_u32_e32 v32, v32, v35
	v_and_b32_e32 v32, 0x1fffff, v32
	v_add_nc_u32_e32 v32, v32, v35
                                        ; implicit-def: $vgpr35
	v_cmpx_ne_u32_e64 v18, v29
	s_xor_b32 s16, exec_lo, s16
; %bb.5802:                             ;   in Loop: Header=BB6_5227 Depth=3
	v_cmp_lt_u32_e32 vcc_lo, 0xffffff, v32
	v_sub_nc_u32_e32 v18, v18, v29
	v_cndmask_b32_e64 v29, 0, 1, vcc_lo
	v_add_co_ci_u32_e64 v35, null, 0, v18, vcc_lo
	v_lshrrev_b32_e32 v32, v29, v32
; %bb.5803:                             ;   in Loop: Header=BB6_5227 Depth=3
	s_andn2_saveexec_b32 s16, s16
; %bb.5804:                             ;   in Loop: Header=BB6_5227 Depth=3
	v_bfe_u32 v35, v32, 23, 1
; %bb.5805:                             ;   in Loop: Header=BB6_5227 Depth=3
	s_or_b32 exec_lo, exec_lo, s16
	v_and_b32_sdwa v18, v28, v60 dst_sel:DWORD dst_unused:UNUSED_PAD src0_sel:BYTE_3 src1_sel:DWORD
	v_lshrrev_b32_e32 v28, 21, v32
	v_cmp_gt_i32_e32 vcc_lo, 32, v35
	v_min_i32_e32 v29, 31, v35
	v_cndmask_b32_e32 v28, 3, v28, vcc_lo
	v_lshlrev_b32_e32 v29, 2, v29
	v_or_b32_e32 v32, v35, v28
	v_and_b32_e32 v28, 3, v28
	v_cmp_ne_u32_e32 vcc_lo, 0, v32
	v_or3_b32 v18, v29, v18, v28
	v_cndmask_b32_e32 v18, 0, v18, vcc_lo
.LBB6_5806:                             ;   in Loop: Header=BB6_5227 Depth=3
	s_or_b32 exec_lo, exec_lo, s23
.LBB6_5807:                             ;   in Loop: Header=BB6_5227 Depth=3
	s_or_b32 exec_lo, exec_lo, s19
	v_cmp_gt_i16_sdwa s19, v25, v59 src0_sel:BYTE_0 src1_sel:DWORD
	s_mov_b32 s16, 0
	s_and_saveexec_b32 s23, s19
	s_xor_b32 s19, exec_lo, s23
	s_cbranch_execz .LBB6_5981
; %bb.5808:                             ;   in Loop: Header=BB6_5227 Depth=3
	v_cmp_eq_u16_sdwa s72, v25, v60 src0_sel:BYTE_0 src1_sel:DWORD
	s_mov_b32 s16, -1
	s_and_saveexec_b32 s23, s72
; %bb.5809:                             ;   in Loop: Header=BB6_5227 Depth=3
	s_xor_b32 s16, exec_lo, -1
; %bb.5810:                             ;   in Loop: Header=BB6_5227 Depth=3
	s_or_b32 exec_lo, exec_lo, s23
	s_and_b32 s16, s16, exec_lo
	s_or_saveexec_b32 s19, s19
	v_mov_b32_e32 v28, 0x7f800001
	s_xor_b32 exec_lo, exec_lo, s19
	s_cbranch_execnz .LBB6_5982
.LBB6_5811:                             ;   in Loop: Header=BB6_5227 Depth=3
	s_or_b32 exec_lo, exec_lo, s19
	s_and_saveexec_b32 s19, s16
	s_cbranch_execz .LBB6_5813
.LBB6_5812:                             ;   in Loop: Header=BB6_5227 Depth=3
	v_and_b32_e32 v28, 3, v25
	v_lshrrev_b16 v32, 2, v25
	v_ffbh_u32_e32 v29, v28
	v_and_b32_e32 v32, 31, v32
	v_min_u32_e32 v29, 32, v29
	v_cmp_eq_u32_e32 vcc_lo, 0, v32
	v_subrev_nc_u32_e32 v35, 29, v29
	v_sub_nc_u32_e32 v29, 30, v29
	v_lshlrev_b32_e32 v35, v35, v25
	v_lshlrev_b32_e32 v25, 24, v25
	v_cndmask_b32_e32 v29, v32, v29, vcc_lo
	v_and_b32_e32 v35, 3, v35
	v_and_b32_e32 v25, 0x80000000, v25
	v_lshl_add_u32 v29, v29, 23, 0x37800000
	v_cndmask_b32_e32 v28, v28, v35, vcc_lo
	v_lshlrev_b32_e32 v28, 21, v28
	v_or3_b32 v28, v25, v29, v28
.LBB6_5813:                             ;   in Loop: Header=BB6_5227 Depth=3
	s_or_b32 exec_lo, exec_lo, s19
	s_waitcnt vmcnt(2) lgkmcnt(2)
	v_cmp_gt_i16_sdwa s19, v26, v59 src0_sel:BYTE_0 src1_sel:DWORD
	s_mov_b32 s16, 0
	s_and_saveexec_b32 s23, s19
	s_xor_b32 s19, exec_lo, s23
	s_cbranch_execz .LBB6_5983
; %bb.5814:                             ;   in Loop: Header=BB6_5227 Depth=3
	v_cmp_eq_u16_sdwa s72, v26, v60 src0_sel:BYTE_0 src1_sel:DWORD
	s_mov_b32 s16, -1
	s_and_saveexec_b32 s23, s72
; %bb.5815:                             ;   in Loop: Header=BB6_5227 Depth=3
	s_xor_b32 s16, exec_lo, -1
; %bb.5816:                             ;   in Loop: Header=BB6_5227 Depth=3
	s_or_b32 exec_lo, exec_lo, s23
	s_and_b32 s16, s16, exec_lo
	s_or_saveexec_b32 s19, s19
	v_mov_b32_e32 v25, 0x7f800001
	s_xor_b32 exec_lo, exec_lo, s19
	s_cbranch_execnz .LBB6_5984
.LBB6_5817:                             ;   in Loop: Header=BB6_5227 Depth=3
	s_or_b32 exec_lo, exec_lo, s19
	s_and_saveexec_b32 s19, s16
	s_cbranch_execz .LBB6_5819
.LBB6_5818:                             ;   in Loop: Header=BB6_5227 Depth=3
	v_and_b32_e32 v25, 3, v26
	v_lshrrev_b16 v32, 2, v26
	v_ffbh_u32_e32 v29, v25
	v_and_b32_e32 v32, 31, v32
	v_min_u32_e32 v29, 32, v29
	v_cmp_eq_u32_e32 vcc_lo, 0, v32
	v_subrev_nc_u32_e32 v35, 29, v29
	v_sub_nc_u32_e32 v29, 30, v29
	v_lshlrev_b32_e32 v35, v35, v26
	v_lshlrev_b32_e32 v26, 24, v26
	v_cndmask_b32_e32 v29, v32, v29, vcc_lo
	v_and_b32_e32 v35, 3, v35
	v_and_b32_e32 v26, 0x80000000, v26
	v_lshl_add_u32 v29, v29, 23, 0x37800000
	v_cndmask_b32_e32 v25, v25, v35, vcc_lo
	v_lshlrev_b32_e32 v25, 21, v25
	v_or3_b32 v25, v26, v29, v25
.LBB6_5819:                             ;   in Loop: Header=BB6_5227 Depth=3
	s_or_b32 exec_lo, exec_lo, s19
	v_mul_f32_e32 v26, v28, v25
	v_and_b32_e32 v25, 0x7f800000, v26
	v_cmp_ne_u32_e32 vcc_lo, 0x7f800000, v25
	v_mov_b32_e32 v25, 0x80
	s_and_saveexec_b32 s19, vcc_lo
	s_cbranch_execz .LBB6_5827
; %bb.5820:                             ;   in Loop: Header=BB6_5227 Depth=3
	v_mov_b32_e32 v25, 0
	s_mov_b32 s23, exec_lo
	v_cmpx_ne_u32_e32 0, v26
	s_cbranch_execz .LBB6_5826
; %bb.5821:                             ;   in Loop: Header=BB6_5227 Depth=3
	v_bfe_u32 v28, v26, 23, 8
	v_and_b32_e32 v25, 0x7fffff, v26
	v_cmp_gt_u32_e64 s16, 0x71, v28
	v_sub_nc_u32_e32 v29, 0x70, v28
	v_cmp_eq_u32_e32 vcc_lo, 0, v28
	v_or_b32_e32 v32, 0x800000, v25
	v_cndmask_b32_e64 v29, 0, v29, s16
	v_cndmask_b32_e32 v25, v32, v25, vcc_lo
	v_cndmask_b32_e64 v29, v29, 0x6f, vcc_lo
	v_lshl_add_u32 v32, 0x200000, v29, -1
	v_lshlrev_b32_e64 v35, v29, 0x100000
	v_and_b32_e32 v32, v32, v25
	v_cmp_eq_u32_e64 s16, v32, v35
	v_lshrrev_b32_e32 v32, v29, v25
	v_add_nc_u32_e32 v25, 0xffffff91, v28
	v_lshrrev_b32_e32 v28, 23, v32
	v_cndmask_b32_e64 v25, v25, 0xffffff92, vcc_lo
	v_xor_b32_e32 v28, 1, v28
	v_add_nc_u32_e32 v25, v29, v25
	v_bfe_u32 v29, v32, 21, 1
	v_add_nc_u32_e32 v29, -1, v29
	v_cndmask_b32_e64 v29, 0, v29, s16
	s_mov_b32 s16, exec_lo
	v_add_nc_u32_e32 v29, v29, v32
	v_and_b32_e32 v29, 0x1fffff, v29
	v_add_nc_u32_e32 v29, v29, v32
                                        ; implicit-def: $vgpr32
	v_cmpx_ne_u32_e64 v25, v28
	s_xor_b32 s16, exec_lo, s16
; %bb.5822:                             ;   in Loop: Header=BB6_5227 Depth=3
	v_cmp_lt_u32_e32 vcc_lo, 0xffffff, v29
	v_sub_nc_u32_e32 v25, v25, v28
	v_cndmask_b32_e64 v28, 0, 1, vcc_lo
	v_add_co_ci_u32_e64 v32, null, 0, v25, vcc_lo
	v_lshrrev_b32_e32 v29, v28, v29
; %bb.5823:                             ;   in Loop: Header=BB6_5227 Depth=3
	s_andn2_saveexec_b32 s16, s16
; %bb.5824:                             ;   in Loop: Header=BB6_5227 Depth=3
	v_bfe_u32 v32, v29, 23, 1
; %bb.5825:                             ;   in Loop: Header=BB6_5227 Depth=3
	s_or_b32 exec_lo, exec_lo, s16
	v_and_b32_sdwa v25, v26, v60 dst_sel:DWORD dst_unused:UNUSED_PAD src0_sel:BYTE_3 src1_sel:DWORD
	v_lshrrev_b32_e32 v26, 21, v29
	v_cmp_gt_i32_e32 vcc_lo, 32, v32
	v_min_i32_e32 v28, 31, v32
	v_cndmask_b32_e32 v26, 3, v26, vcc_lo
	v_lshlrev_b32_e32 v28, 2, v28
	v_or_b32_e32 v29, v32, v26
	v_and_b32_e32 v26, 3, v26
	v_cmp_ne_u32_e32 vcc_lo, 0, v29
	v_or3_b32 v25, v28, v25, v26
	v_cndmask_b32_e32 v25, 0, v25, vcc_lo
.LBB6_5826:                             ;   in Loop: Header=BB6_5227 Depth=3
	s_or_b32 exec_lo, exec_lo, s23
.LBB6_5827:                             ;   in Loop: Header=BB6_5227 Depth=3
	s_or_b32 exec_lo, exec_lo, s19
	v_cmp_gt_i16_sdwa s19, v1, v59 src0_sel:BYTE_0 src1_sel:DWORD
	s_mov_b32 s16, 0
	s_and_saveexec_b32 s23, s19
	s_xor_b32 s19, exec_lo, s23
	s_cbranch_execz .LBB6_5985
; %bb.5828:                             ;   in Loop: Header=BB6_5227 Depth=3
	v_cmp_eq_u16_sdwa s72, v1, v60 src0_sel:BYTE_0 src1_sel:DWORD
	s_mov_b32 s16, -1
	s_and_saveexec_b32 s23, s72
; %bb.5829:                             ;   in Loop: Header=BB6_5227 Depth=3
	s_xor_b32 s16, exec_lo, -1
; %bb.5830:                             ;   in Loop: Header=BB6_5227 Depth=3
	s_or_b32 exec_lo, exec_lo, s23
	s_and_b32 s16, s16, exec_lo
	s_or_saveexec_b32 s19, s19
	v_mov_b32_e32 v26, 0x7f800001
	s_xor_b32 exec_lo, exec_lo, s19
	s_cbranch_execnz .LBB6_5986
.LBB6_5831:                             ;   in Loop: Header=BB6_5227 Depth=3
	s_or_b32 exec_lo, exec_lo, s19
	s_and_saveexec_b32 s19, s16
	s_cbranch_execz .LBB6_5833
.LBB6_5832:                             ;   in Loop: Header=BB6_5227 Depth=3
	v_and_b32_e32 v26, 3, v1
	v_lshrrev_b16 v29, 2, v1
	v_ffbh_u32_e32 v28, v26
	v_and_b32_e32 v29, 31, v29
	v_min_u32_e32 v28, 32, v28
	v_cmp_eq_u32_e32 vcc_lo, 0, v29
	v_subrev_nc_u32_e32 v32, 29, v28
	v_sub_nc_u32_e32 v28, 30, v28
	v_lshlrev_b32_e32 v32, v32, v1
	v_lshlrev_b32_e32 v1, 24, v1
	v_cndmask_b32_e32 v28, v29, v28, vcc_lo
	v_and_b32_e32 v32, 3, v32
	v_and_b32_e32 v1, 0x80000000, v1
	v_lshl_add_u32 v28, v28, 23, 0x37800000
	v_cndmask_b32_e32 v26, v26, v32, vcc_lo
	v_lshlrev_b32_e32 v26, 21, v26
	v_or3_b32 v26, v1, v28, v26
.LBB6_5833:                             ;   in Loop: Header=BB6_5227 Depth=3
	s_or_b32 exec_lo, exec_lo, s19
	s_waitcnt vmcnt(1) lgkmcnt(1)
	v_cmp_gt_i16_sdwa s19, v23, v59 src0_sel:BYTE_0 src1_sel:DWORD
	s_mov_b32 s16, 0
	s_and_saveexec_b32 s23, s19
	s_xor_b32 s19, exec_lo, s23
	s_cbranch_execz .LBB6_5987
; %bb.5834:                             ;   in Loop: Header=BB6_5227 Depth=3
	v_cmp_eq_u16_sdwa s72, v23, v60 src0_sel:BYTE_0 src1_sel:DWORD
	s_mov_b32 s16, -1
	s_and_saveexec_b32 s23, s72
; %bb.5835:                             ;   in Loop: Header=BB6_5227 Depth=3
	s_xor_b32 s16, exec_lo, -1
; %bb.5836:                             ;   in Loop: Header=BB6_5227 Depth=3
	s_or_b32 exec_lo, exec_lo, s23
	s_and_b32 s16, s16, exec_lo
	s_or_saveexec_b32 s19, s19
	v_mov_b32_e32 v1, 0x7f800001
	s_xor_b32 exec_lo, exec_lo, s19
	s_cbranch_execnz .LBB6_5988
.LBB6_5837:                             ;   in Loop: Header=BB6_5227 Depth=3
	s_or_b32 exec_lo, exec_lo, s19
	s_and_saveexec_b32 s19, s16
	s_cbranch_execz .LBB6_5839
.LBB6_5838:                             ;   in Loop: Header=BB6_5227 Depth=3
	v_and_b32_e32 v1, 3, v23
	v_lshrrev_b16 v29, 2, v23
	v_ffbh_u32_e32 v28, v1
	v_and_b32_e32 v29, 31, v29
	v_min_u32_e32 v28, 32, v28
	v_cmp_eq_u32_e32 vcc_lo, 0, v29
	v_subrev_nc_u32_e32 v32, 29, v28
	v_sub_nc_u32_e32 v28, 30, v28
	v_lshlrev_b32_e32 v32, v32, v23
	v_lshlrev_b32_e32 v23, 24, v23
	v_cndmask_b32_e32 v28, v29, v28, vcc_lo
	v_and_b32_e32 v32, 3, v32
	v_and_b32_e32 v23, 0x80000000, v23
	v_lshl_add_u32 v28, v28, 23, 0x37800000
	v_cndmask_b32_e32 v1, v1, v32, vcc_lo
	v_lshlrev_b32_e32 v1, 21, v1
	v_or3_b32 v1, v23, v28, v1
.LBB6_5839:                             ;   in Loop: Header=BB6_5227 Depth=3
	s_or_b32 exec_lo, exec_lo, s19
	v_mul_f32_e32 v23, v26, v1
	v_and_b32_e32 v1, 0x7f800000, v23
	v_cmp_ne_u32_e32 vcc_lo, 0x7f800000, v1
	v_mov_b32_e32 v1, 0x80
	s_and_saveexec_b32 s19, vcc_lo
	s_cbranch_execz .LBB6_5847
; %bb.5840:                             ;   in Loop: Header=BB6_5227 Depth=3
	v_mov_b32_e32 v1, 0
	s_mov_b32 s23, exec_lo
	v_cmpx_ne_u32_e32 0, v23
	s_cbranch_execz .LBB6_5846
; %bb.5841:                             ;   in Loop: Header=BB6_5227 Depth=3
	v_bfe_u32 v26, v23, 23, 8
	v_and_b32_e32 v1, 0x7fffff, v23
	v_cmp_gt_u32_e64 s16, 0x71, v26
	v_sub_nc_u32_e32 v28, 0x70, v26
	v_cmp_eq_u32_e32 vcc_lo, 0, v26
	v_or_b32_e32 v29, 0x800000, v1
	v_cndmask_b32_e64 v28, 0, v28, s16
	v_cndmask_b32_e32 v1, v29, v1, vcc_lo
	v_cndmask_b32_e64 v28, v28, 0x6f, vcc_lo
	v_lshl_add_u32 v29, 0x200000, v28, -1
	v_lshlrev_b32_e64 v32, v28, 0x100000
	v_and_b32_e32 v29, v29, v1
	v_cmp_eq_u32_e64 s16, v29, v32
	v_lshrrev_b32_e32 v29, v28, v1
	v_add_nc_u32_e32 v1, 0xffffff91, v26
	v_lshrrev_b32_e32 v26, 23, v29
	v_cndmask_b32_e64 v1, v1, 0xffffff92, vcc_lo
	v_xor_b32_e32 v26, 1, v26
	v_add_nc_u32_e32 v1, v28, v1
	v_bfe_u32 v28, v29, 21, 1
	v_add_nc_u32_e32 v28, -1, v28
	v_cndmask_b32_e64 v28, 0, v28, s16
	s_mov_b32 s16, exec_lo
	v_add_nc_u32_e32 v28, v28, v29
	v_and_b32_e32 v28, 0x1fffff, v28
	v_add_nc_u32_e32 v28, v28, v29
                                        ; implicit-def: $vgpr29
	v_cmpx_ne_u32_e64 v1, v26
	s_xor_b32 s16, exec_lo, s16
; %bb.5842:                             ;   in Loop: Header=BB6_5227 Depth=3
	v_cmp_lt_u32_e32 vcc_lo, 0xffffff, v28
	v_sub_nc_u32_e32 v1, v1, v26
	v_cndmask_b32_e64 v26, 0, 1, vcc_lo
	v_add_co_ci_u32_e64 v29, null, 0, v1, vcc_lo
	v_lshrrev_b32_e32 v28, v26, v28
; %bb.5843:                             ;   in Loop: Header=BB6_5227 Depth=3
	s_andn2_saveexec_b32 s16, s16
; %bb.5844:                             ;   in Loop: Header=BB6_5227 Depth=3
	v_bfe_u32 v29, v28, 23, 1
; %bb.5845:                             ;   in Loop: Header=BB6_5227 Depth=3
	s_or_b32 exec_lo, exec_lo, s16
	v_and_b32_sdwa v1, v23, v60 dst_sel:DWORD dst_unused:UNUSED_PAD src0_sel:BYTE_3 src1_sel:DWORD
	v_lshrrev_b32_e32 v23, 21, v28
	v_cmp_gt_i32_e32 vcc_lo, 32, v29
	v_min_i32_e32 v26, 31, v29
	v_cndmask_b32_e32 v23, 3, v23, vcc_lo
	v_lshlrev_b32_e32 v26, 2, v26
	v_or_b32_e32 v28, v29, v23
	v_and_b32_e32 v23, 3, v23
	v_cmp_ne_u32_e32 vcc_lo, 0, v28
	v_or3_b32 v1, v26, v1, v23
	v_cndmask_b32_e32 v1, 0, v1, vcc_lo
.LBB6_5846:                             ;   in Loop: Header=BB6_5227 Depth=3
	s_or_b32 exec_lo, exec_lo, s23
.LBB6_5847:                             ;   in Loop: Header=BB6_5227 Depth=3
	s_or_b32 exec_lo, exec_lo, s19
	v_cmp_gt_i16_sdwa s19, v20, v59 src0_sel:BYTE_0 src1_sel:DWORD
	s_mov_b32 s16, 0
	s_and_saveexec_b32 s23, s19
	s_xor_b32 s19, exec_lo, s23
	s_cbranch_execz .LBB6_5989
; %bb.5848:                             ;   in Loop: Header=BB6_5227 Depth=3
	v_cmp_eq_u16_sdwa s72, v20, v60 src0_sel:BYTE_0 src1_sel:DWORD
	s_mov_b32 s16, -1
	s_and_saveexec_b32 s23, s72
; %bb.5849:                             ;   in Loop: Header=BB6_5227 Depth=3
	s_xor_b32 s16, exec_lo, -1
; %bb.5850:                             ;   in Loop: Header=BB6_5227 Depth=3
	s_or_b32 exec_lo, exec_lo, s23
	s_and_b32 s16, s16, exec_lo
	s_or_saveexec_b32 s19, s19
	v_mov_b32_e32 v23, 0x7f800001
	s_xor_b32 exec_lo, exec_lo, s19
	s_cbranch_execnz .LBB6_5990
.LBB6_5851:                             ;   in Loop: Header=BB6_5227 Depth=3
	s_or_b32 exec_lo, exec_lo, s19
	s_and_saveexec_b32 s19, s16
	s_cbranch_execz .LBB6_5853
.LBB6_5852:                             ;   in Loop: Header=BB6_5227 Depth=3
	v_and_b32_e32 v23, 3, v20
	v_lshrrev_b16 v28, 2, v20
	v_ffbh_u32_e32 v26, v23
	v_and_b32_e32 v28, 31, v28
	v_min_u32_e32 v26, 32, v26
	v_cmp_eq_u32_e32 vcc_lo, 0, v28
	v_subrev_nc_u32_e32 v29, 29, v26
	v_sub_nc_u32_e32 v26, 30, v26
	v_lshlrev_b32_e32 v29, v29, v20
	v_lshlrev_b32_e32 v20, 24, v20
	v_cndmask_b32_e32 v26, v28, v26, vcc_lo
	v_and_b32_e32 v29, 3, v29
	v_and_b32_e32 v20, 0x80000000, v20
	v_lshl_add_u32 v26, v26, 23, 0x37800000
	v_cndmask_b32_e32 v23, v23, v29, vcc_lo
	v_lshlrev_b32_e32 v23, 21, v23
	v_or3_b32 v23, v20, v26, v23
.LBB6_5853:                             ;   in Loop: Header=BB6_5227 Depth=3
	s_or_b32 exec_lo, exec_lo, s19
	s_waitcnt vmcnt(0) lgkmcnt(0)
	v_cmp_gt_i16_sdwa s19, v21, v59 src0_sel:BYTE_0 src1_sel:DWORD
	s_mov_b32 s16, 0
	s_and_saveexec_b32 s23, s19
	s_xor_b32 s19, exec_lo, s23
	s_cbranch_execz .LBB6_5991
; %bb.5854:                             ;   in Loop: Header=BB6_5227 Depth=3
	v_cmp_eq_u16_sdwa s72, v21, v60 src0_sel:BYTE_0 src1_sel:DWORD
	s_mov_b32 s16, -1
	s_and_saveexec_b32 s23, s72
; %bb.5855:                             ;   in Loop: Header=BB6_5227 Depth=3
	s_xor_b32 s16, exec_lo, -1
; %bb.5856:                             ;   in Loop: Header=BB6_5227 Depth=3
	s_or_b32 exec_lo, exec_lo, s23
	s_and_b32 s16, s16, exec_lo
	s_or_saveexec_b32 s19, s19
	v_mov_b32_e32 v20, 0x7f800001
	s_xor_b32 exec_lo, exec_lo, s19
	s_cbranch_execnz .LBB6_5992
.LBB6_5857:                             ;   in Loop: Header=BB6_5227 Depth=3
	s_or_b32 exec_lo, exec_lo, s19
	s_and_saveexec_b32 s19, s16
	s_cbranch_execz .LBB6_5859
.LBB6_5858:                             ;   in Loop: Header=BB6_5227 Depth=3
	v_and_b32_e32 v20, 3, v21
	v_lshrrev_b16 v28, 2, v21
	v_ffbh_u32_e32 v26, v20
	v_and_b32_e32 v28, 31, v28
	v_min_u32_e32 v26, 32, v26
	v_cmp_eq_u32_e32 vcc_lo, 0, v28
	v_subrev_nc_u32_e32 v29, 29, v26
	v_sub_nc_u32_e32 v26, 30, v26
	v_lshlrev_b32_e32 v29, v29, v21
	v_lshlrev_b32_e32 v21, 24, v21
	v_cndmask_b32_e32 v26, v28, v26, vcc_lo
	v_and_b32_e32 v29, 3, v29
	v_and_b32_e32 v21, 0x80000000, v21
	v_lshl_add_u32 v26, v26, 23, 0x37800000
	v_cndmask_b32_e32 v20, v20, v29, vcc_lo
	v_lshlrev_b32_e32 v20, 21, v20
	v_or3_b32 v20, v21, v26, v20
.LBB6_5859:                             ;   in Loop: Header=BB6_5227 Depth=3
	s_or_b32 exec_lo, exec_lo, s19
	v_mul_f32_e32 v20, v23, v20
	v_and_b32_e32 v21, 0x7f800000, v20
	v_cmp_ne_u32_e32 vcc_lo, 0x7f800000, v21
	v_mov_b32_e32 v21, 0x80
	s_and_saveexec_b32 s19, vcc_lo
	s_cbranch_execz .LBB6_5226
; %bb.5860:                             ;   in Loop: Header=BB6_5227 Depth=3
	v_mov_b32_e32 v21, 0
	s_mov_b32 s23, exec_lo
	v_cmpx_ne_u32_e32 0, v20
	s_cbranch_execz .LBB6_5225
; %bb.5861:                             ;   in Loop: Header=BB6_5227 Depth=3
	v_bfe_u32 v23, v20, 23, 8
	v_and_b32_e32 v21, 0x7fffff, v20
	v_cmp_gt_u32_e64 s16, 0x71, v23
	v_sub_nc_u32_e32 v26, 0x70, v23
	v_cmp_eq_u32_e32 vcc_lo, 0, v23
	v_or_b32_e32 v28, 0x800000, v21
	v_cndmask_b32_e64 v26, 0, v26, s16
	v_cndmask_b32_e32 v21, v28, v21, vcc_lo
	v_cndmask_b32_e64 v26, v26, 0x6f, vcc_lo
	v_lshl_add_u32 v28, 0x200000, v26, -1
	v_lshlrev_b32_e64 v29, v26, 0x100000
	v_and_b32_e32 v28, v28, v21
	v_cmp_eq_u32_e64 s16, v28, v29
	v_lshrrev_b32_e32 v28, v26, v21
	v_add_nc_u32_e32 v21, 0xffffff91, v23
	v_lshrrev_b32_e32 v23, 23, v28
	v_cndmask_b32_e64 v21, v21, 0xffffff92, vcc_lo
	v_xor_b32_e32 v23, 1, v23
	v_add_nc_u32_e32 v21, v26, v21
	v_bfe_u32 v26, v28, 21, 1
	v_add_nc_u32_e32 v26, -1, v26
	v_cndmask_b32_e64 v26, 0, v26, s16
	s_mov_b32 s16, exec_lo
	v_add_nc_u32_e32 v26, v26, v28
	v_and_b32_e32 v26, 0x1fffff, v26
	v_add_nc_u32_e32 v26, v26, v28
                                        ; implicit-def: $vgpr28
	v_cmpx_ne_u32_e64 v21, v23
	s_xor_b32 s16, exec_lo, s16
; %bb.5862:                             ;   in Loop: Header=BB6_5227 Depth=3
	v_cmp_lt_u32_e32 vcc_lo, 0xffffff, v26
	v_sub_nc_u32_e32 v21, v21, v23
	v_cndmask_b32_e64 v23, 0, 1, vcc_lo
	v_add_co_ci_u32_e64 v28, null, 0, v21, vcc_lo
	v_lshrrev_b32_e32 v26, v23, v26
; %bb.5863:                             ;   in Loop: Header=BB6_5227 Depth=3
	s_andn2_saveexec_b32 s16, s16
	s_cbranch_execz .LBB6_5224
; %bb.5864:                             ;   in Loop: Header=BB6_5227 Depth=3
	v_bfe_u32 v28, v26, 23, 1
	s_branch .LBB6_5224
.LBB6_5865:                             ;   in Loop: Header=BB6_5227 Depth=3
	s_or_saveexec_b32 s19, s19
	v_mov_b32_e32 v86, 0x7f800001
	s_xor_b32 exec_lo, exec_lo, s19
	s_cbranch_execz .LBB6_5231
.LBB6_5866:                             ;   in Loop: Header=BB6_5227 Depth=3
	v_cmp_ne_u16_e32 vcc_lo, 0, v108
	v_mov_b32_e32 v86, 0
	s_andn2_b32 s16, s16, exec_lo
	s_and_b32 s23, vcc_lo, exec_lo
	s_or_b32 s16, s16, s23
	s_or_b32 exec_lo, exec_lo, s19
	s_and_saveexec_b32 s19, s16
	s_cbranch_execnz .LBB6_5232
	s_branch .LBB6_5233
.LBB6_5867:                             ;   in Loop: Header=BB6_5227 Depth=3
	s_or_saveexec_b32 s16, s16
	v_mov_b32_e32 v87, 0x7f800001
	s_xor_b32 exec_lo, exec_lo, s16
	s_cbranch_execz .LBB6_5237
.LBB6_5868:                             ;   in Loop: Header=BB6_5227 Depth=3
	v_cmp_ne_u16_sdwa s23, v22, v2 src0_sel:BYTE_0 src1_sel:DWORD
	v_mov_b32_e32 v87, 0
	s_andn2_b32 s19, s19, exec_lo
	s_and_b32 s23, s23, exec_lo
	s_or_b32 s19, s19, s23
	s_or_b32 exec_lo, exec_lo, s16
	s_and_saveexec_b32 s16, s19
	s_cbranch_execnz .LBB6_5238
	s_branch .LBB6_5239
.LBB6_5869:                             ;   in Loop: Header=BB6_5227 Depth=3
	s_or_saveexec_b32 s19, s19
	v_mov_b32_e32 v86, 0x7f800001
	s_xor_b32 exec_lo, exec_lo, s19
	s_cbranch_execz .LBB6_5251
.LBB6_5870:                             ;   in Loop: Header=BB6_5227 Depth=3
	v_cmp_ne_u16_sdwa s23, v113, v2 src0_sel:BYTE_0 src1_sel:DWORD
	v_mov_b32_e32 v86, 0
	s_andn2_b32 s16, s16, exec_lo
	s_and_b32 s23, s23, exec_lo
	s_or_b32 s16, s16, s23
	s_or_b32 exec_lo, exec_lo, s19
	s_and_saveexec_b32 s19, s16
	s_cbranch_execnz .LBB6_5252
	s_branch .LBB6_5253
.LBB6_5871:                             ;   in Loop: Header=BB6_5227 Depth=3
	s_or_saveexec_b32 s19, s19
	v_mov_b32_e32 v87, 0x7f800001
	s_xor_b32 exec_lo, exec_lo, s19
	s_cbranch_execz .LBB6_5257
.LBB6_5872:                             ;   in Loop: Header=BB6_5227 Depth=3
	v_cmp_ne_u16_sdwa s23, v24, v2 src0_sel:BYTE_0 src1_sel:DWORD
	v_mov_b32_e32 v87, 0
	s_andn2_b32 s16, s16, exec_lo
	s_and_b32 s23, s23, exec_lo
	s_or_b32 s16, s16, s23
	s_or_b32 exec_lo, exec_lo, s19
	s_and_saveexec_b32 s19, s16
	s_cbranch_execnz .LBB6_5258
	s_branch .LBB6_5259
.LBB6_5873:                             ;   in Loop: Header=BB6_5227 Depth=3
	s_or_saveexec_b32 s19, s19
	v_mov_b32_e32 v86, 0x7f800001
	s_xor_b32 exec_lo, exec_lo, s19
	s_cbranch_execz .LBB6_5271
.LBB6_5874:                             ;   in Loop: Header=BB6_5227 Depth=3
	v_cmp_ne_u16_sdwa s23, v112, v2 src0_sel:BYTE_0 src1_sel:DWORD
	v_mov_b32_e32 v86, 0
	s_andn2_b32 s16, s16, exec_lo
	s_and_b32 s23, s23, exec_lo
	s_or_b32 s16, s16, s23
	s_or_b32 exec_lo, exec_lo, s19
	s_and_saveexec_b32 s19, s16
	s_cbranch_execnz .LBB6_5272
	s_branch .LBB6_5273
.LBB6_5875:                             ;   in Loop: Header=BB6_5227 Depth=3
	s_or_saveexec_b32 s19, s19
	v_mov_b32_e32 v87, 0x7f800001
	s_xor_b32 exec_lo, exec_lo, s19
	s_cbranch_execz .LBB6_5277
.LBB6_5876:                             ;   in Loop: Header=BB6_5227 Depth=3
	v_cmp_ne_u16_sdwa s23, v27, v2 src0_sel:BYTE_0 src1_sel:DWORD
	v_mov_b32_e32 v87, 0
	s_andn2_b32 s16, s16, exec_lo
	s_and_b32 s23, s23, exec_lo
	s_or_b32 s16, s16, s23
	s_or_b32 exec_lo, exec_lo, s19
	s_and_saveexec_b32 s19, s16
	s_cbranch_execnz .LBB6_5278
	s_branch .LBB6_5279
.LBB6_5877:                             ;   in Loop: Header=BB6_5227 Depth=3
	s_or_saveexec_b32 s19, s19
	v_mov_b32_e32 v86, 0x7f800001
	s_xor_b32 exec_lo, exec_lo, s19
	s_cbranch_execz .LBB6_5291
.LBB6_5878:                             ;   in Loop: Header=BB6_5227 Depth=3
	v_cmp_ne_u16_sdwa s23, v18, v2 src0_sel:BYTE_0 src1_sel:DWORD
	v_mov_b32_e32 v86, 0
	s_andn2_b32 s16, s16, exec_lo
	s_and_b32 s23, s23, exec_lo
	s_or_b32 s16, s16, s23
	s_or_b32 exec_lo, exec_lo, s19
	s_and_saveexec_b32 s19, s16
	s_cbranch_execnz .LBB6_5292
	s_branch .LBB6_5293
.LBB6_5879:                             ;   in Loop: Header=BB6_5227 Depth=3
	s_or_saveexec_b32 s19, s19
	v_mov_b32_e32 v18, 0x7f800001
	s_xor_b32 exec_lo, exec_lo, s19
	s_cbranch_execz .LBB6_5297
.LBB6_5880:                             ;   in Loop: Header=BB6_5227 Depth=3
	v_cmp_ne_u16_sdwa s23, v30, v2 src0_sel:BYTE_0 src1_sel:DWORD
	v_mov_b32_e32 v18, 0
	s_andn2_b32 s16, s16, exec_lo
	s_and_b32 s23, s23, exec_lo
	s_or_b32 s16, s16, s23
	s_or_b32 exec_lo, exec_lo, s19
	s_and_saveexec_b32 s19, s16
	s_cbranch_execnz .LBB6_5298
	s_branch .LBB6_5299
.LBB6_5881:                             ;   in Loop: Header=BB6_5227 Depth=3
	s_or_saveexec_b32 s19, s19
	v_mov_b32_e32 v18, 0x7f800001
	s_xor_b32 exec_lo, exec_lo, s19
	s_cbranch_execz .LBB6_5311
.LBB6_5882:                             ;   in Loop: Header=BB6_5227 Depth=3
	v_cmp_ne_u16_sdwa s23, v58, v2 src0_sel:BYTE_0 src1_sel:DWORD
	v_mov_b32_e32 v18, 0
	s_andn2_b32 s16, s16, exec_lo
	s_and_b32 s23, s23, exec_lo
	s_or_b32 s16, s16, s23
	s_or_b32 exec_lo, exec_lo, s19
	s_and_saveexec_b32 s19, s16
	s_cbranch_execnz .LBB6_5312
	s_branch .LBB6_5313
.LBB6_5883:                             ;   in Loop: Header=BB6_5227 Depth=3
	s_or_saveexec_b32 s19, s19
	v_mov_b32_e32 v86, 0x7f800001
	s_xor_b32 exec_lo, exec_lo, s19
	s_cbranch_execz .LBB6_5317
.LBB6_5884:                             ;   in Loop: Header=BB6_5227 Depth=3
	v_cmp_ne_u16_sdwa s23, v33, v2 src0_sel:BYTE_0 src1_sel:DWORD
	v_mov_b32_e32 v86, 0
	s_andn2_b32 s16, s16, exec_lo
	s_and_b32 s23, s23, exec_lo
	s_or_b32 s16, s16, s23
	s_or_b32 exec_lo, exec_lo, s19
	s_and_saveexec_b32 s19, s16
	s_cbranch_execnz .LBB6_5318
	s_branch .LBB6_5319
.LBB6_5885:                             ;   in Loop: Header=BB6_5227 Depth=3
	s_or_saveexec_b32 s19, s19
	v_mov_b32_e32 v18, 0x7f800001
	s_xor_b32 exec_lo, exec_lo, s19
	s_cbranch_execz .LBB6_5331
.LBB6_5886:                             ;   in Loop: Header=BB6_5227 Depth=3
	v_cmp_ne_u16_sdwa s23, v126, v2 src0_sel:BYTE_0 src1_sel:DWORD
	v_mov_b32_e32 v18, 0
	s_andn2_b32 s16, s16, exec_lo
	s_and_b32 s23, s23, exec_lo
	s_or_b32 s16, s16, s23
	s_or_b32 exec_lo, exec_lo, s19
	s_and_saveexec_b32 s19, s16
	s_cbranch_execnz .LBB6_5332
	s_branch .LBB6_5333
.LBB6_5887:                             ;   in Loop: Header=BB6_5227 Depth=3
	s_or_saveexec_b32 s19, s19
	v_mov_b32_e32 v86, 0x7f800001
	s_xor_b32 exec_lo, exec_lo, s19
	s_cbranch_execz .LBB6_5337
.LBB6_5888:                             ;   in Loop: Header=BB6_5227 Depth=3
	v_cmp_ne_u16_sdwa s23, v36, v2 src0_sel:BYTE_0 src1_sel:DWORD
	v_mov_b32_e32 v86, 0
	s_andn2_b32 s16, s16, exec_lo
	s_and_b32 s23, s23, exec_lo
	s_or_b32 s16, s16, s23
	s_or_b32 exec_lo, exec_lo, s19
	s_and_saveexec_b32 s19, s16
	s_cbranch_execnz .LBB6_5338
	s_branch .LBB6_5339
.LBB6_5889:                             ;   in Loop: Header=BB6_5227 Depth=3
	s_or_saveexec_b32 s19, s19
	v_mov_b32_e32 v18, 0x7f800001
	s_xor_b32 exec_lo, exec_lo, s19
	s_cbranch_execz .LBB6_5351
.LBB6_5890:                             ;   in Loop: Header=BB6_5227 Depth=3
	v_cmp_ne_u16_sdwa s23, v46, v2 src0_sel:BYTE_0 src1_sel:DWORD
	v_mov_b32_e32 v18, 0
	s_andn2_b32 s16, s16, exec_lo
	s_and_b32 s23, s23, exec_lo
	s_or_b32 s16, s16, s23
	s_or_b32 exec_lo, exec_lo, s19
	s_and_saveexec_b32 s19, s16
	s_cbranch_execnz .LBB6_5352
	s_branch .LBB6_5353
.LBB6_5891:                             ;   in Loop: Header=BB6_5227 Depth=3
	s_or_saveexec_b32 s19, s19
	v_mov_b32_e32 v86, 0x7f800001
	s_xor_b32 exec_lo, exec_lo, s19
	s_cbranch_execz .LBB6_5357
.LBB6_5892:                             ;   in Loop: Header=BB6_5227 Depth=3
	v_cmp_ne_u16_sdwa s23, v39, v2 src0_sel:BYTE_0 src1_sel:DWORD
	v_mov_b32_e32 v86, 0
	s_andn2_b32 s16, s16, exec_lo
	s_and_b32 s23, s23, exec_lo
	s_or_b32 s16, s16, s23
	s_or_b32 exec_lo, exec_lo, s19
	s_and_saveexec_b32 s19, s16
	s_cbranch_execnz .LBB6_5358
	s_branch .LBB6_5359
.LBB6_5893:                             ;   in Loop: Header=BB6_5227 Depth=3
	s_or_saveexec_b32 s19, s19
	v_mov_b32_e32 v18, 0x7f800001
	s_xor_b32 exec_lo, exec_lo, s19
	s_cbranch_execz .LBB6_5371
.LBB6_5894:                             ;   in Loop: Header=BB6_5227 Depth=3
	v_cmp_ne_u16_sdwa s23, v125, v2 src0_sel:BYTE_0 src1_sel:DWORD
	v_mov_b32_e32 v18, 0
	s_andn2_b32 s16, s16, exec_lo
	s_and_b32 s23, s23, exec_lo
	s_or_b32 s16, s16, s23
	s_or_b32 exec_lo, exec_lo, s19
	s_and_saveexec_b32 s19, s16
	s_cbranch_execnz .LBB6_5372
	s_branch .LBB6_5373
.LBB6_5895:                             ;   in Loop: Header=BB6_5227 Depth=3
	s_or_saveexec_b32 s19, s19
	v_mov_b32_e32 v86, 0x7f800001
	s_xor_b32 exec_lo, exec_lo, s19
	s_cbranch_execz .LBB6_5377
.LBB6_5896:                             ;   in Loop: Header=BB6_5227 Depth=3
	v_cmp_ne_u16_sdwa s23, v50, v2 src0_sel:BYTE_0 src1_sel:DWORD
	v_mov_b32_e32 v86, 0
	s_andn2_b32 s16, s16, exec_lo
	s_and_b32 s23, s23, exec_lo
	s_or_b32 s16, s16, s23
	s_or_b32 exec_lo, exec_lo, s19
	s_and_saveexec_b32 s19, s16
	s_cbranch_execnz .LBB6_5378
	s_branch .LBB6_5379
.LBB6_5897:                             ;   in Loop: Header=BB6_5227 Depth=3
	s_or_saveexec_b32 s19, s19
	v_mov_b32_e32 v18, 0x7f800001
	s_xor_b32 exec_lo, exec_lo, s19
	s_cbranch_execz .LBB6_5391
.LBB6_5898:                             ;   in Loop: Header=BB6_5227 Depth=3
	v_cmp_ne_u16_sdwa s23, v53, v2 src0_sel:BYTE_0 src1_sel:DWORD
	v_mov_b32_e32 v18, 0
	s_andn2_b32 s16, s16, exec_lo
	s_and_b32 s23, s23, exec_lo
	s_or_b32 s16, s16, s23
	s_or_b32 exec_lo, exec_lo, s19
	s_and_saveexec_b32 s19, s16
	s_cbranch_execnz .LBB6_5392
	s_branch .LBB6_5393
.LBB6_5899:                             ;   in Loop: Header=BB6_5227 Depth=3
	s_or_saveexec_b32 s19, s19
	v_mov_b32_e32 v53, 0x7f800001
	s_xor_b32 exec_lo, exec_lo, s19
	s_cbranch_execz .LBB6_5397
.LBB6_5900:                             ;   in Loop: Header=BB6_5227 Depth=3
	v_cmp_ne_u16_sdwa s23, v124, v2 src0_sel:BYTE_0 src1_sel:DWORD
	v_mov_b32_e32 v53, 0
	s_andn2_b32 s16, s16, exec_lo
	s_and_b32 s23, s23, exec_lo
	s_or_b32 s16, s16, s23
	s_or_b32 exec_lo, exec_lo, s19
	s_and_saveexec_b32 s19, s16
	s_cbranch_execnz .LBB6_5398
	s_branch .LBB6_5399
.LBB6_5901:                             ;   in Loop: Header=BB6_5227 Depth=3
	s_or_saveexec_b32 s19, s19
	v_mov_b32_e32 v18, 0x7f800001
	s_xor_b32 exec_lo, exec_lo, s19
	s_cbranch_execz .LBB6_5411
.LBB6_5902:                             ;   in Loop: Header=BB6_5227 Depth=3
	v_cmp_ne_u16_sdwa s23, v82, v2 src0_sel:BYTE_0 src1_sel:DWORD
	v_mov_b32_e32 v18, 0
	s_andn2_b32 s16, s16, exec_lo
	s_and_b32 s23, s23, exec_lo
	s_or_b32 s16, s16, s23
	s_or_b32 exec_lo, exec_lo, s19
	s_and_saveexec_b32 s19, s16
	s_cbranch_execnz .LBB6_5412
	s_branch .LBB6_5413
.LBB6_5903:                             ;   in Loop: Header=BB6_5227 Depth=3
	s_or_saveexec_b32 s19, s19
	v_mov_b32_e32 v82, 0x7f800001
	s_xor_b32 exec_lo, exec_lo, s19
	s_cbranch_execz .LBB6_5417
.LBB6_5904:                             ;   in Loop: Header=BB6_5227 Depth=3
	v_cmp_ne_u16_sdwa s23, v73, v2 src0_sel:BYTE_0 src1_sel:DWORD
	v_mov_b32_e32 v82, 0
	s_andn2_b32 s16, s16, exec_lo
	s_and_b32 s23, s23, exec_lo
	s_or_b32 s16, s16, s23
	s_or_b32 exec_lo, exec_lo, s19
	s_and_saveexec_b32 s19, s16
	s_cbranch_execnz .LBB6_5418
	s_branch .LBB6_5419
.LBB6_5905:                             ;   in Loop: Header=BB6_5227 Depth=3
	s_or_saveexec_b32 s19, s19
	v_mov_b32_e32 v18, 0x7f800001
	s_xor_b32 exec_lo, exec_lo, s19
	s_cbranch_execz .LBB6_5431
.LBB6_5906:                             ;   in Loop: Header=BB6_5227 Depth=3
	v_cmp_ne_u16_sdwa s23, v85, v2 src0_sel:BYTE_0 src1_sel:DWORD
	v_mov_b32_e32 v18, 0
	s_andn2_b32 s16, s16, exec_lo
	s_and_b32 s23, s23, exec_lo
	s_or_b32 s16, s16, s23
	s_or_b32 exec_lo, exec_lo, s19
	s_and_saveexec_b32 s19, s16
	s_cbranch_execnz .LBB6_5432
	s_branch .LBB6_5433
.LBB6_5907:                             ;   in Loop: Header=BB6_5227 Depth=3
	s_or_saveexec_b32 s19, s19
	v_mov_b32_e32 v85, 0x7f800001
	s_xor_b32 exec_lo, exec_lo, s19
	s_cbranch_execz .LBB6_5437
.LBB6_5908:                             ;   in Loop: Header=BB6_5227 Depth=3
	v_cmp_ne_u16_sdwa s23, v105, v2 src0_sel:BYTE_0 src1_sel:DWORD
	v_mov_b32_e32 v85, 0
	s_andn2_b32 s16, s16, exec_lo
	s_and_b32 s23, s23, exec_lo
	s_or_b32 s16, s16, s23
	s_or_b32 exec_lo, exec_lo, s19
	s_and_saveexec_b32 s19, s16
	s_cbranch_execnz .LBB6_5438
	s_branch .LBB6_5439
.LBB6_5909:                             ;   in Loop: Header=BB6_5227 Depth=3
	s_or_saveexec_b32 s19, s19
	v_mov_b32_e32 v18, 0x7f800001
	s_xor_b32 exec_lo, exec_lo, s19
	s_cbranch_execz .LBB6_5451
.LBB6_5910:                             ;   in Loop: Header=BB6_5227 Depth=3
	v_cmp_ne_u16_sdwa s23, v116, v2 src0_sel:BYTE_0 src1_sel:DWORD
	v_mov_b32_e32 v18, 0
	s_andn2_b32 s16, s16, exec_lo
	s_and_b32 s23, s23, exec_lo
	s_or_b32 s16, s16, s23
	s_or_b32 exec_lo, exec_lo, s19
	s_and_saveexec_b32 s19, s16
	s_cbranch_execnz .LBB6_5452
	s_branch .LBB6_5453
.LBB6_5911:                             ;   in Loop: Header=BB6_5227 Depth=3
	s_or_saveexec_b32 s19, s19
	v_mov_b32_e32 v86, 0x7f800001
	s_xor_b32 exec_lo, exec_lo, s19
	s_cbranch_execz .LBB6_5457
.LBB6_5912:                             ;   in Loop: Header=BB6_5227 Depth=3
	v_cmp_ne_u16_sdwa s23, v123, v2 src0_sel:BYTE_0 src1_sel:DWORD
	v_mov_b32_e32 v86, 0
	s_andn2_b32 s16, s16, exec_lo
	s_and_b32 s23, s23, exec_lo
	s_or_b32 s16, s16, s23
	s_or_b32 exec_lo, exec_lo, s19
	s_and_saveexec_b32 s19, s16
	s_cbranch_execnz .LBB6_5458
	s_branch .LBB6_5459
.LBB6_5913:                             ;   in Loop: Header=BB6_5227 Depth=3
	s_or_saveexec_b32 s19, s19
	v_mov_b32_e32 v18, 0x7f800001
	s_xor_b32 exec_lo, exec_lo, s19
	s_cbranch_execz .LBB6_5471
.LBB6_5914:                             ;   in Loop: Header=BB6_5227 Depth=3
	v_cmp_ne_u16_sdwa s23, v119, v2 src0_sel:BYTE_0 src1_sel:DWORD
	v_mov_b32_e32 v18, 0
	s_andn2_b32 s16, s16, exec_lo
	s_and_b32 s23, s23, exec_lo
	s_or_b32 s16, s16, s23
	s_or_b32 exec_lo, exec_lo, s19
	s_and_saveexec_b32 s19, s16
	s_cbranch_execnz .LBB6_5472
	s_branch .LBB6_5473
.LBB6_5915:                             ;   in Loop: Header=BB6_5227 Depth=3
	s_or_saveexec_b32 s19, s19
	v_mov_b32_e32 v86, 0x7f800001
	s_xor_b32 exec_lo, exec_lo, s19
	s_cbranch_execz .LBB6_5477
.LBB6_5916:                             ;   in Loop: Header=BB6_5227 Depth=3
	v_cmp_ne_u16_sdwa s23, v122, v2 src0_sel:BYTE_0 src1_sel:DWORD
	v_mov_b32_e32 v86, 0
	s_andn2_b32 s16, s16, exec_lo
	s_and_b32 s23, s23, exec_lo
	s_or_b32 s16, s16, s23
	s_or_b32 exec_lo, exec_lo, s19
	s_and_saveexec_b32 s19, s16
	s_cbranch_execnz .LBB6_5478
	s_branch .LBB6_5479
.LBB6_5917:                             ;   in Loop: Header=BB6_5227 Depth=3
	s_or_saveexec_b32 s19, s19
	v_mov_b32_e32 v18, 0x7f800001
	s_xor_b32 exec_lo, exec_lo, s19
	s_cbranch_execz .LBB6_5491
.LBB6_5918:                             ;   in Loop: Header=BB6_5227 Depth=3
	v_cmp_ne_u16_sdwa s23, v42, v2 src0_sel:BYTE_0 src1_sel:DWORD
	v_mov_b32_e32 v18, 0
	s_andn2_b32 s16, s16, exec_lo
	s_and_b32 s23, s23, exec_lo
	s_or_b32 s16, s16, s23
	s_or_b32 exec_lo, exec_lo, s19
	s_and_saveexec_b32 s19, s16
	s_cbranch_execnz .LBB6_5492
	s_branch .LBB6_5493
.LBB6_5919:                             ;   in Loop: Header=BB6_5227 Depth=3
	s_or_saveexec_b32 s19, s19
	v_mov_b32_e32 v86, 0x7f800001
	s_xor_b32 exec_lo, exec_lo, s19
	s_cbranch_execz .LBB6_5497
.LBB6_5920:                             ;   in Loop: Header=BB6_5227 Depth=3
	v_cmp_ne_u16_sdwa s23, v107, v2 src0_sel:BYTE_0 src1_sel:DWORD
	v_mov_b32_e32 v86, 0
	s_andn2_b32 s16, s16, exec_lo
	s_and_b32 s23, s23, exec_lo
	s_or_b32 s16, s16, s23
	s_or_b32 exec_lo, exec_lo, s19
	s_and_saveexec_b32 s19, s16
	s_cbranch_execnz .LBB6_5498
	s_branch .LBB6_5499
.LBB6_5921:                             ;   in Loop: Header=BB6_5227 Depth=3
	s_or_saveexec_b32 s19, s19
	v_mov_b32_e32 v18, 0x7f800001
	s_xor_b32 exec_lo, exec_lo, s19
	s_cbranch_execz .LBB6_5511
.LBB6_5922:                             ;   in Loop: Header=BB6_5227 Depth=3
	v_cmp_ne_u16_sdwa s23, v98, v2 src0_sel:BYTE_0 src1_sel:DWORD
	v_mov_b32_e32 v18, 0
	s_andn2_b32 s16, s16, exec_lo
	s_and_b32 s23, s23, exec_lo
	s_or_b32 s16, s16, s23
	s_or_b32 exec_lo, exec_lo, s19
	s_and_saveexec_b32 s19, s16
	s_cbranch_execnz .LBB6_5512
	s_branch .LBB6_5513
.LBB6_5923:                             ;   in Loop: Header=BB6_5227 Depth=3
	s_or_saveexec_b32 s19, s19
	v_mov_b32_e32 v86, 0x7f800001
	s_xor_b32 exec_lo, exec_lo, s19
	s_cbranch_execz .LBB6_5517
.LBB6_5924:                             ;   in Loop: Header=BB6_5227 Depth=3
	v_cmp_ne_u16_sdwa s23, v99, v2 src0_sel:BYTE_0 src1_sel:DWORD
	v_mov_b32_e32 v86, 0
	s_andn2_b32 s16, s16, exec_lo
	s_and_b32 s23, s23, exec_lo
	s_or_b32 s16, s16, s23
	s_or_b32 exec_lo, exec_lo, s19
	s_and_saveexec_b32 s19, s16
	s_cbranch_execnz .LBB6_5518
	s_branch .LBB6_5519
.LBB6_5925:                             ;   in Loop: Header=BB6_5227 Depth=3
	s_or_saveexec_b32 s19, s19
	v_mov_b32_e32 v18, 0x7f800001
	s_xor_b32 exec_lo, exec_lo, s19
	s_cbranch_execz .LBB6_5531
.LBB6_5926:                             ;   in Loop: Header=BB6_5227 Depth=3
	v_cmp_ne_u16_sdwa s23, v120, v2 src0_sel:BYTE_0 src1_sel:DWORD
	v_mov_b32_e32 v18, 0
	s_andn2_b32 s16, s16, exec_lo
	s_and_b32 s23, s23, exec_lo
	s_or_b32 s16, s16, s23
	s_or_b32 exec_lo, exec_lo, s19
	s_and_saveexec_b32 s19, s16
	s_cbranch_execnz .LBB6_5532
	s_branch .LBB6_5533
.LBB6_5927:                             ;   in Loop: Header=BB6_5227 Depth=3
	s_or_saveexec_b32 s19, s19
	v_mov_b32_e32 v86, 0x7f800001
	s_xor_b32 exec_lo, exec_lo, s19
	s_cbranch_execz .LBB6_5537
.LBB6_5928:                             ;   in Loop: Header=BB6_5227 Depth=3
	v_cmp_ne_u16_sdwa s23, v121, v2 src0_sel:BYTE_0 src1_sel:DWORD
	v_mov_b32_e32 v86, 0
	s_andn2_b32 s16, s16, exec_lo
	s_and_b32 s23, s23, exec_lo
	s_or_b32 s16, s16, s23
	s_or_b32 exec_lo, exec_lo, s19
	s_and_saveexec_b32 s19, s16
	s_cbranch_execnz .LBB6_5538
	s_branch .LBB6_5539
.LBB6_5929:                             ;   in Loop: Header=BB6_5227 Depth=3
	s_or_saveexec_b32 s19, s19
	v_mov_b32_e32 v18, 0x7f800001
	s_xor_b32 exec_lo, exec_lo, s19
	s_cbranch_execz .LBB6_5551
.LBB6_5930:                             ;   in Loop: Header=BB6_5227 Depth=3
	v_cmp_ne_u16_sdwa s23, v110, v2 src0_sel:BYTE_0 src1_sel:DWORD
	v_mov_b32_e32 v18, 0
	s_andn2_b32 s16, s16, exec_lo
	s_and_b32 s23, s23, exec_lo
	s_or_b32 s16, s16, s23
	s_or_b32 exec_lo, exec_lo, s19
	s_and_saveexec_b32 s19, s16
	s_cbranch_execnz .LBB6_5552
	s_branch .LBB6_5553
.LBB6_5931:                             ;   in Loop: Header=BB6_5227 Depth=3
	s_or_saveexec_b32 s19, s19
	v_mov_b32_e32 v86, 0x7f800001
	s_xor_b32 exec_lo, exec_lo, s19
	s_cbranch_execz .LBB6_5557
.LBB6_5932:                             ;   in Loop: Header=BB6_5227 Depth=3
	v_cmp_ne_u16_sdwa s23, v111, v2 src0_sel:BYTE_0 src1_sel:DWORD
	v_mov_b32_e32 v86, 0
	s_andn2_b32 s16, s16, exec_lo
	s_and_b32 s23, s23, exec_lo
	s_or_b32 s16, s16, s23
	s_or_b32 exec_lo, exec_lo, s19
	s_and_saveexec_b32 s19, s16
	s_cbranch_execnz .LBB6_5558
	s_branch .LBB6_5559
.LBB6_5933:                             ;   in Loop: Header=BB6_5227 Depth=3
	s_or_saveexec_b32 s19, s19
	v_mov_b32_e32 v18, 0x7f800001
	s_xor_b32 exec_lo, exec_lo, s19
	s_cbranch_execz .LBB6_5571
.LBB6_5934:                             ;   in Loop: Header=BB6_5227 Depth=3
	v_cmp_ne_u16_sdwa s23, v43, v2 src0_sel:BYTE_0 src1_sel:DWORD
	v_mov_b32_e32 v18, 0
	s_andn2_b32 s16, s16, exec_lo
	s_and_b32 s23, s23, exec_lo
	s_or_b32 s16, s16, s23
	s_or_b32 exec_lo, exec_lo, s19
	s_and_saveexec_b32 s19, s16
	s_cbranch_execnz .LBB6_5572
	s_branch .LBB6_5573
.LBB6_5935:                             ;   in Loop: Header=BB6_5227 Depth=3
	s_or_saveexec_b32 s19, s19
	v_mov_b32_e32 v86, 0x7f800001
	s_xor_b32 exec_lo, exec_lo, s19
	s_cbranch_execz .LBB6_5577
.LBB6_5936:                             ;   in Loop: Header=BB6_5227 Depth=3
	v_cmp_ne_u16_sdwa s23, v91, v2 src0_sel:BYTE_0 src1_sel:DWORD
	v_mov_b32_e32 v86, 0
	s_andn2_b32 s16, s16, exec_lo
	s_and_b32 s23, s23, exec_lo
	s_or_b32 s16, s16, s23
	s_or_b32 exec_lo, exec_lo, s19
	s_and_saveexec_b32 s19, s16
	s_cbranch_execnz .LBB6_5578
	s_branch .LBB6_5579
.LBB6_5937:                             ;   in Loop: Header=BB6_5227 Depth=3
	s_or_saveexec_b32 s19, s19
	v_mov_b32_e32 v18, 0x7f800001
	s_xor_b32 exec_lo, exec_lo, s19
	s_cbranch_execz .LBB6_5591
.LBB6_5938:                             ;   in Loop: Header=BB6_5227 Depth=3
	v_cmp_ne_u16_sdwa s23, v40, v2 src0_sel:BYTE_0 src1_sel:DWORD
	v_mov_b32_e32 v18, 0
	s_andn2_b32 s16, s16, exec_lo
	s_and_b32 s23, s23, exec_lo
	s_or_b32 s16, s16, s23
	s_or_b32 exec_lo, exec_lo, s19
	s_and_saveexec_b32 s19, s16
	s_cbranch_execnz .LBB6_5592
	s_branch .LBB6_5593
.LBB6_5939:                             ;   in Loop: Header=BB6_5227 Depth=3
	s_or_saveexec_b32 s19, s19
	v_mov_b32_e32 v86, 0x7f800001
	s_xor_b32 exec_lo, exec_lo, s19
	s_cbranch_execz .LBB6_5597
.LBB6_5940:                             ;   in Loop: Header=BB6_5227 Depth=3
	v_cmp_ne_u16_sdwa s23, v41, v2 src0_sel:BYTE_0 src1_sel:DWORD
	v_mov_b32_e32 v86, 0
	s_andn2_b32 s16, s16, exec_lo
	s_and_b32 s23, s23, exec_lo
	s_or_b32 s16, s16, s23
	s_or_b32 exec_lo, exec_lo, s19
	s_and_saveexec_b32 s19, s16
	s_cbranch_execnz .LBB6_5598
	s_branch .LBB6_5599
.LBB6_5941:                             ;   in Loop: Header=BB6_5227 Depth=3
	s_or_saveexec_b32 s19, s19
	v_mov_b32_e32 v18, 0x7f800001
	s_xor_b32 exec_lo, exec_lo, s19
	s_cbranch_execz .LBB6_5611
.LBB6_5942:                             ;   in Loop: Header=BB6_5227 Depth=3
	v_cmp_ne_u16_sdwa s23, v117, v2 src0_sel:BYTE_0 src1_sel:DWORD
	v_mov_b32_e32 v18, 0
	s_andn2_b32 s16, s16, exec_lo
	s_and_b32 s23, s23, exec_lo
	s_or_b32 s16, s16, s23
	s_or_b32 exec_lo, exec_lo, s19
	s_and_saveexec_b32 s19, s16
	s_cbranch_execnz .LBB6_5612
	s_branch .LBB6_5613
.LBB6_5943:                             ;   in Loop: Header=BB6_5227 Depth=3
	s_or_saveexec_b32 s19, s19
	v_mov_b32_e32 v86, 0x7f800001
	s_xor_b32 exec_lo, exec_lo, s19
	s_cbranch_execz .LBB6_5617
.LBB6_5944:                             ;   in Loop: Header=BB6_5227 Depth=3
	v_cmp_ne_u16_sdwa s23, v118, v2 src0_sel:BYTE_0 src1_sel:DWORD
	v_mov_b32_e32 v86, 0
	s_andn2_b32 s16, s16, exec_lo
	s_and_b32 s23, s23, exec_lo
	s_or_b32 s16, s16, s23
	s_or_b32 exec_lo, exec_lo, s19
	s_and_saveexec_b32 s19, s16
	s_cbranch_execnz .LBB6_5618
	s_branch .LBB6_5619
.LBB6_5945:                             ;   in Loop: Header=BB6_5227 Depth=3
	s_or_saveexec_b32 s19, s19
	v_mov_b32_e32 v18, 0x7f800001
	s_xor_b32 exec_lo, exec_lo, s19
	s_cbranch_execz .LBB6_5631
.LBB6_5946:                             ;   in Loop: Header=BB6_5227 Depth=3
	v_cmp_ne_u16_sdwa s23, v114, v2 src0_sel:BYTE_0 src1_sel:DWORD
	v_mov_b32_e32 v18, 0
	s_andn2_b32 s16, s16, exec_lo
	s_and_b32 s23, s23, exec_lo
	s_or_b32 s16, s16, s23
	s_or_b32 exec_lo, exec_lo, s19
	s_and_saveexec_b32 s19, s16
	s_cbranch_execnz .LBB6_5632
	s_branch .LBB6_5633
.LBB6_5947:                             ;   in Loop: Header=BB6_5227 Depth=3
	s_or_saveexec_b32 s19, s19
	v_mov_b32_e32 v86, 0x7f800001
	s_xor_b32 exec_lo, exec_lo, s19
	s_cbranch_execz .LBB6_5637
.LBB6_5948:                             ;   in Loop: Header=BB6_5227 Depth=3
	v_cmp_ne_u16_sdwa s23, v115, v2 src0_sel:BYTE_0 src1_sel:DWORD
	v_mov_b32_e32 v86, 0
	s_andn2_b32 s16, s16, exec_lo
	s_and_b32 s23, s23, exec_lo
	s_or_b32 s16, s16, s23
	s_or_b32 exec_lo, exec_lo, s19
	s_and_saveexec_b32 s19, s16
	s_cbranch_execnz .LBB6_5638
	s_branch .LBB6_5639
.LBB6_5949:                             ;   in Loop: Header=BB6_5227 Depth=3
	s_or_saveexec_b32 s19, s19
	v_mov_b32_e32 v18, 0x7f800001
	s_xor_b32 exec_lo, exec_lo, s19
	s_cbranch_execz .LBB6_5651
.LBB6_5950:                             ;   in Loop: Header=BB6_5227 Depth=3
	v_cmp_ne_u16_sdwa s23, v83, v2 src0_sel:BYTE_0 src1_sel:DWORD
	v_mov_b32_e32 v18, 0
	s_andn2_b32 s16, s16, exec_lo
	s_and_b32 s23, s23, exec_lo
	s_or_b32 s16, s16, s23
	s_or_b32 exec_lo, exec_lo, s19
	s_and_saveexec_b32 s19, s16
	s_cbranch_execnz .LBB6_5652
	s_branch .LBB6_5653
.LBB6_5951:                             ;   in Loop: Header=BB6_5227 Depth=3
	s_or_saveexec_b32 s19, s19
	v_mov_b32_e32 v83, 0x7f800001
	s_xor_b32 exec_lo, exec_lo, s19
	s_cbranch_execz .LBB6_5657
.LBB6_5952:                             ;   in Loop: Header=BB6_5227 Depth=3
	v_cmp_ne_u16_sdwa s23, v84, v2 src0_sel:BYTE_0 src1_sel:DWORD
	v_mov_b32_e32 v83, 0
	s_andn2_b32 s16, s16, exec_lo
	s_and_b32 s23, s23, exec_lo
	s_or_b32 s16, s16, s23
	s_or_b32 exec_lo, exec_lo, s19
	s_and_saveexec_b32 s19, s16
	s_cbranch_execnz .LBB6_5658
	s_branch .LBB6_5659
.LBB6_5953:                             ;   in Loop: Header=BB6_5227 Depth=3
	s_or_saveexec_b32 s19, s19
	v_mov_b32_e32 v18, 0x7f800001
	s_xor_b32 exec_lo, exec_lo, s19
	s_cbranch_execz .LBB6_5671
.LBB6_5954:                             ;   in Loop: Header=BB6_5227 Depth=3
	v_cmp_ne_u16_sdwa s23, v54, v2 src0_sel:BYTE_0 src1_sel:DWORD
	v_mov_b32_e32 v18, 0
	s_andn2_b32 s16, s16, exec_lo
	s_and_b32 s23, s23, exec_lo
	s_or_b32 s16, s16, s23
	s_or_b32 exec_lo, exec_lo, s19
	s_and_saveexec_b32 s19, s16
	s_cbranch_execnz .LBB6_5672
	s_branch .LBB6_5673
.LBB6_5955:                             ;   in Loop: Header=BB6_5227 Depth=3
	s_or_saveexec_b32 s19, s19
	v_mov_b32_e32 v54, 0x7f800001
	s_xor_b32 exec_lo, exec_lo, s19
	s_cbranch_execz .LBB6_5677
.LBB6_5956:                             ;   in Loop: Header=BB6_5227 Depth=3
	v_cmp_ne_u16_sdwa s23, v55, v2 src0_sel:BYTE_0 src1_sel:DWORD
	v_mov_b32_e32 v54, 0
	s_andn2_b32 s16, s16, exec_lo
	s_and_b32 s23, s23, exec_lo
	s_or_b32 s16, s16, s23
	s_or_b32 exec_lo, exec_lo, s19
	s_and_saveexec_b32 s19, s16
	s_cbranch_execnz .LBB6_5678
	s_branch .LBB6_5679
.LBB6_5957:                             ;   in Loop: Header=BB6_5227 Depth=3
	s_or_saveexec_b32 s19, s19
	v_mov_b32_e32 v18, 0x7f800001
	s_xor_b32 exec_lo, exec_lo, s19
	s_cbranch_execz .LBB6_5691
.LBB6_5958:                             ;   in Loop: Header=BB6_5227 Depth=3
	v_cmp_ne_u16_sdwa s23, v51, v2 src0_sel:BYTE_0 src1_sel:DWORD
	v_mov_b32_e32 v18, 0
	s_andn2_b32 s16, s16, exec_lo
	s_and_b32 s23, s23, exec_lo
	s_or_b32 s16, s16, s23
	s_or_b32 exec_lo, exec_lo, s19
	s_and_saveexec_b32 s19, s16
	s_cbranch_execnz .LBB6_5692
	s_branch .LBB6_5693
.LBB6_5959:                             ;   in Loop: Header=BB6_5227 Depth=3
	s_or_saveexec_b32 s19, s19
	v_mov_b32_e32 v51, 0x7f800001
	s_xor_b32 exec_lo, exec_lo, s19
	s_cbranch_execz .LBB6_5697
.LBB6_5960:                             ;   in Loop: Header=BB6_5227 Depth=3
	v_cmp_ne_u16_sdwa s23, v52, v2 src0_sel:BYTE_0 src1_sel:DWORD
	v_mov_b32_e32 v51, 0
	s_andn2_b32 s16, s16, exec_lo
	s_and_b32 s23, s23, exec_lo
	s_or_b32 s16, s16, s23
	s_or_b32 exec_lo, exec_lo, s19
	s_and_saveexec_b32 s19, s16
	s_cbranch_execnz .LBB6_5698
	s_branch .LBB6_5699
.LBB6_5961:                             ;   in Loop: Header=BB6_5227 Depth=3
	s_or_saveexec_b32 s19, s19
	v_mov_b32_e32 v18, 0x7f800001
	s_xor_b32 exec_lo, exec_lo, s19
	s_cbranch_execz .LBB6_5711
.LBB6_5962:                             ;   in Loop: Header=BB6_5227 Depth=3
	v_cmp_ne_u16_sdwa s23, v48, v2 src0_sel:BYTE_0 src1_sel:DWORD
	v_mov_b32_e32 v18, 0
	s_andn2_b32 s16, s16, exec_lo
	s_and_b32 s23, s23, exec_lo
	s_or_b32 s16, s16, s23
	s_or_b32 exec_lo, exec_lo, s19
	s_and_saveexec_b32 s19, s16
	s_cbranch_execnz .LBB6_5712
	s_branch .LBB6_5713
.LBB6_5963:                             ;   in Loop: Header=BB6_5227 Depth=3
	s_or_saveexec_b32 s19, s19
	v_mov_b32_e32 v48, 0x7f800001
	s_xor_b32 exec_lo, exec_lo, s19
	s_cbranch_execz .LBB6_5717
.LBB6_5964:                             ;   in Loop: Header=BB6_5227 Depth=3
	v_cmp_ne_u16_sdwa s23, v49, v2 src0_sel:BYTE_0 src1_sel:DWORD
	v_mov_b32_e32 v48, 0
	s_andn2_b32 s16, s16, exec_lo
	s_and_b32 s23, s23, exec_lo
	s_or_b32 s16, s16, s23
	s_or_b32 exec_lo, exec_lo, s19
	s_and_saveexec_b32 s19, s16
	s_cbranch_execnz .LBB6_5718
	s_branch .LBB6_5719
.LBB6_5965:                             ;   in Loop: Header=BB6_5227 Depth=3
	s_or_saveexec_b32 s19, s19
	v_mov_b32_e32 v18, 0x7f800001
	s_xor_b32 exec_lo, exec_lo, s19
	s_cbranch_execz .LBB6_5731
.LBB6_5966:                             ;   in Loop: Header=BB6_5227 Depth=3
	v_cmp_ne_u16_sdwa s23, v37, v2 src0_sel:BYTE_0 src1_sel:DWORD
	v_mov_b32_e32 v18, 0
	s_andn2_b32 s16, s16, exec_lo
	s_and_b32 s23, s23, exec_lo
	s_or_b32 s16, s16, s23
	s_or_b32 exec_lo, exec_lo, s19
	s_and_saveexec_b32 s19, s16
	s_cbranch_execnz .LBB6_5732
	s_branch .LBB6_5733
.LBB6_5967:                             ;   in Loop: Header=BB6_5227 Depth=3
	s_or_saveexec_b32 s19, s19
	v_mov_b32_e32 v37, 0x7f800001
	s_xor_b32 exec_lo, exec_lo, s19
	s_cbranch_execz .LBB6_5737
.LBB6_5968:                             ;   in Loop: Header=BB6_5227 Depth=3
	v_cmp_ne_u16_sdwa s23, v38, v2 src0_sel:BYTE_0 src1_sel:DWORD
	v_mov_b32_e32 v37, 0
	s_andn2_b32 s16, s16, exec_lo
	s_and_b32 s23, s23, exec_lo
	s_or_b32 s16, s16, s23
	s_or_b32 exec_lo, exec_lo, s19
	s_and_saveexec_b32 s19, s16
	s_cbranch_execnz .LBB6_5738
	s_branch .LBB6_5739
.LBB6_5969:                             ;   in Loop: Header=BB6_5227 Depth=3
	s_or_saveexec_b32 s19, s19
	v_mov_b32_e32 v18, 0x7f800001
	s_xor_b32 exec_lo, exec_lo, s19
	s_cbranch_execz .LBB6_5751
.LBB6_5970:                             ;   in Loop: Header=BB6_5227 Depth=3
	v_cmp_ne_u16_sdwa s23, v34, v2 src0_sel:BYTE_0 src1_sel:DWORD
	v_mov_b32_e32 v18, 0
	s_andn2_b32 s16, s16, exec_lo
	s_and_b32 s23, s23, exec_lo
	s_or_b32 s16, s16, s23
	s_or_b32 exec_lo, exec_lo, s19
	s_and_saveexec_b32 s19, s16
	s_cbranch_execnz .LBB6_5752
	s_branch .LBB6_5753
.LBB6_5971:                             ;   in Loop: Header=BB6_5227 Depth=3
	s_or_saveexec_b32 s19, s19
	v_mov_b32_e32 v34, 0x7f800001
	s_xor_b32 exec_lo, exec_lo, s19
	s_cbranch_execz .LBB6_5757
.LBB6_5972:                             ;   in Loop: Header=BB6_5227 Depth=3
	v_cmp_ne_u16_sdwa s23, v35, v2 src0_sel:BYTE_0 src1_sel:DWORD
	v_mov_b32_e32 v34, 0
	s_andn2_b32 s16, s16, exec_lo
	s_and_b32 s23, s23, exec_lo
	s_or_b32 s16, s16, s23
	s_or_b32 exec_lo, exec_lo, s19
	s_and_saveexec_b32 s19, s16
	s_cbranch_execnz .LBB6_5758
	s_branch .LBB6_5759
.LBB6_5973:                             ;   in Loop: Header=BB6_5227 Depth=3
	s_or_saveexec_b32 s19, s19
	v_mov_b32_e32 v18, 0x7f800001
	s_xor_b32 exec_lo, exec_lo, s19
	s_cbranch_execz .LBB6_5771
.LBB6_5974:                             ;   in Loop: Header=BB6_5227 Depth=3
	v_cmp_ne_u16_sdwa s23, v31, v2 src0_sel:BYTE_0 src1_sel:DWORD
	v_mov_b32_e32 v18, 0
	s_andn2_b32 s16, s16, exec_lo
	s_and_b32 s23, s23, exec_lo
	s_or_b32 s16, s16, s23
	s_or_b32 exec_lo, exec_lo, s19
	s_and_saveexec_b32 s19, s16
	s_cbranch_execnz .LBB6_5772
	s_branch .LBB6_5773
.LBB6_5975:                             ;   in Loop: Header=BB6_5227 Depth=3
	s_or_saveexec_b32 s19, s19
	v_mov_b32_e32 v31, 0x7f800001
	s_xor_b32 exec_lo, exec_lo, s19
	s_cbranch_execz .LBB6_5777
.LBB6_5976:                             ;   in Loop: Header=BB6_5227 Depth=3
	v_cmp_ne_u16_sdwa s23, v32, v2 src0_sel:BYTE_0 src1_sel:DWORD
	v_mov_b32_e32 v31, 0
	s_andn2_b32 s16, s16, exec_lo
	s_and_b32 s23, s23, exec_lo
	s_or_b32 s16, s16, s23
	s_or_b32 exec_lo, exec_lo, s19
	s_and_saveexec_b32 s19, s16
	s_cbranch_execnz .LBB6_5778
	s_branch .LBB6_5779
.LBB6_5977:                             ;   in Loop: Header=BB6_5227 Depth=3
	s_or_saveexec_b32 s19, s19
	v_mov_b32_e32 v18, 0x7f800001
	s_xor_b32 exec_lo, exec_lo, s19
	s_cbranch_execz .LBB6_5791
.LBB6_5978:                             ;   in Loop: Header=BB6_5227 Depth=3
	v_cmp_ne_u16_sdwa s23, v28, v2 src0_sel:BYTE_0 src1_sel:DWORD
	v_mov_b32_e32 v18, 0
	s_andn2_b32 s16, s16, exec_lo
	s_and_b32 s23, s23, exec_lo
	s_or_b32 s16, s16, s23
	s_or_b32 exec_lo, exec_lo, s19
	s_and_saveexec_b32 s19, s16
	s_cbranch_execnz .LBB6_5792
	s_branch .LBB6_5793
.LBB6_5979:                             ;   in Loop: Header=BB6_5227 Depth=3
	s_or_saveexec_b32 s19, s19
	v_mov_b32_e32 v28, 0x7f800001
	s_xor_b32 exec_lo, exec_lo, s19
	s_cbranch_execz .LBB6_5797
.LBB6_5980:                             ;   in Loop: Header=BB6_5227 Depth=3
	v_cmp_ne_u16_sdwa s23, v29, v2 src0_sel:BYTE_0 src1_sel:DWORD
	v_mov_b32_e32 v28, 0
	s_andn2_b32 s16, s16, exec_lo
	s_and_b32 s23, s23, exec_lo
	s_or_b32 s16, s16, s23
	s_or_b32 exec_lo, exec_lo, s19
	s_and_saveexec_b32 s19, s16
	s_cbranch_execnz .LBB6_5798
	s_branch .LBB6_5799
.LBB6_5981:                             ;   in Loop: Header=BB6_5227 Depth=3
	s_or_saveexec_b32 s19, s19
	v_mov_b32_e32 v28, 0x7f800001
	s_xor_b32 exec_lo, exec_lo, s19
	s_cbranch_execz .LBB6_5811
.LBB6_5982:                             ;   in Loop: Header=BB6_5227 Depth=3
	v_cmp_ne_u16_sdwa s23, v25, v2 src0_sel:BYTE_0 src1_sel:DWORD
	v_mov_b32_e32 v28, 0
	s_andn2_b32 s16, s16, exec_lo
	s_and_b32 s23, s23, exec_lo
	s_or_b32 s16, s16, s23
	s_or_b32 exec_lo, exec_lo, s19
	s_and_saveexec_b32 s19, s16
	s_cbranch_execnz .LBB6_5812
	s_branch .LBB6_5813
.LBB6_5983:                             ;   in Loop: Header=BB6_5227 Depth=3
	s_or_saveexec_b32 s19, s19
	v_mov_b32_e32 v25, 0x7f800001
	s_xor_b32 exec_lo, exec_lo, s19
	s_cbranch_execz .LBB6_5817
.LBB6_5984:                             ;   in Loop: Header=BB6_5227 Depth=3
	v_cmp_ne_u16_sdwa s23, v26, v2 src0_sel:BYTE_0 src1_sel:DWORD
	v_mov_b32_e32 v25, 0
	s_andn2_b32 s16, s16, exec_lo
	s_and_b32 s23, s23, exec_lo
	s_or_b32 s16, s16, s23
	s_or_b32 exec_lo, exec_lo, s19
	s_and_saveexec_b32 s19, s16
	s_cbranch_execnz .LBB6_5818
	s_branch .LBB6_5819
.LBB6_5985:                             ;   in Loop: Header=BB6_5227 Depth=3
	s_or_saveexec_b32 s19, s19
	v_mov_b32_e32 v26, 0x7f800001
	s_xor_b32 exec_lo, exec_lo, s19
	s_cbranch_execz .LBB6_5831
.LBB6_5986:                             ;   in Loop: Header=BB6_5227 Depth=3
	v_cmp_ne_u16_sdwa s23, v1, v2 src0_sel:BYTE_0 src1_sel:DWORD
	v_mov_b32_e32 v26, 0
	s_andn2_b32 s16, s16, exec_lo
	s_and_b32 s23, s23, exec_lo
	s_or_b32 s16, s16, s23
	s_or_b32 exec_lo, exec_lo, s19
	s_and_saveexec_b32 s19, s16
	s_cbranch_execnz .LBB6_5832
	s_branch .LBB6_5833
.LBB6_5987:                             ;   in Loop: Header=BB6_5227 Depth=3
	s_or_saveexec_b32 s19, s19
	v_mov_b32_e32 v1, 0x7f800001
	s_xor_b32 exec_lo, exec_lo, s19
	s_cbranch_execz .LBB6_5837
.LBB6_5988:                             ;   in Loop: Header=BB6_5227 Depth=3
	v_cmp_ne_u16_sdwa s23, v23, v2 src0_sel:BYTE_0 src1_sel:DWORD
	v_mov_b32_e32 v1, 0
	s_andn2_b32 s16, s16, exec_lo
	s_and_b32 s23, s23, exec_lo
	s_or_b32 s16, s16, s23
	s_or_b32 exec_lo, exec_lo, s19
	s_and_saveexec_b32 s19, s16
	s_cbranch_execnz .LBB6_5838
	s_branch .LBB6_5839
.LBB6_5989:                             ;   in Loop: Header=BB6_5227 Depth=3
	s_or_saveexec_b32 s19, s19
	v_mov_b32_e32 v23, 0x7f800001
	s_xor_b32 exec_lo, exec_lo, s19
	s_cbranch_execz .LBB6_5851
.LBB6_5990:                             ;   in Loop: Header=BB6_5227 Depth=3
	v_cmp_ne_u16_sdwa s23, v20, v2 src0_sel:BYTE_0 src1_sel:DWORD
	v_mov_b32_e32 v23, 0
	s_andn2_b32 s16, s16, exec_lo
	s_and_b32 s23, s23, exec_lo
	s_or_b32 s16, s16, s23
	s_or_b32 exec_lo, exec_lo, s19
	s_and_saveexec_b32 s19, s16
	s_cbranch_execnz .LBB6_5852
	s_branch .LBB6_5853
.LBB6_5991:                             ;   in Loop: Header=BB6_5227 Depth=3
	s_or_saveexec_b32 s19, s19
	v_mov_b32_e32 v20, 0x7f800001
	s_xor_b32 exec_lo, exec_lo, s19
	s_cbranch_execz .LBB6_5857
.LBB6_5992:                             ;   in Loop: Header=BB6_5227 Depth=3
	v_cmp_ne_u16_sdwa s23, v21, v2 src0_sel:BYTE_0 src1_sel:DWORD
	v_mov_b32_e32 v20, 0
	s_andn2_b32 s16, s16, exec_lo
	s_and_b32 s23, s23, exec_lo
	s_or_b32 s16, s16, s23
	s_or_b32 exec_lo, exec_lo, s19
	s_and_saveexec_b32 s19, s16
	s_cbranch_execnz .LBB6_5858
	s_branch .LBB6_5859
.LBB6_5993:                             ;   in Loop: Header=BB6_3207 Depth=2
	s_or_b32 exec_lo, exec_lo, s18
	buffer_load_dword v9, off, s[0:3], s33 offset:256 ; 4-byte Folded Reload
.LBB6_5994:                             ;   in Loop: Header=BB6_3207 Depth=2
	s_or_b32 exec_lo, exec_lo, s17
	v_lshlrev_b32_e32 v1, 10, v19
	v_cmp_ne_u32_e32 vcc_lo, v5, v1
	s_and_b32 exec_lo, exec_lo, vcc_lo
	s_cbranch_execz .LBB6_6024
; %bb.5995:                             ;   in Loop: Header=BB6_3207 Depth=2
	s_waitcnt vmcnt(0)
	v_add_nc_u32_e32 v8, v16, v9
	v_lshlrev_b32_e32 v9, 5, v17
	v_and_b32_e32 v8, 0xffffffe0, v8
	v_sub_nc_u32_e32 v8, v16, v8
	v_sub_nc_u32_e32 v8, v8, v9
	v_add_nc_u32_e32 v8, v1, v8
	v_sub_nc_u32_e32 v1, v5, v8
	v_cmp_lt_i32_e32 vcc_lo, 0, v1
	s_and_b32 exec_lo, exec_lo, vcc_lo
	s_cbranch_execz .LBB6_6024
; %bb.5996:                             ;   in Loop: Header=BB6_3207 Depth=2
	s_trap 2
	ds_read_b128 v[9:12], v0
	v_add_nc_u32_e32 v4, v8, v4
	s_mov_b32 s23, 0
	v_ashrrev_i32_e32 v5, 31, v4
	s_waitcnt lgkmcnt(0)
	v_add_co_u32 v8, vcc_lo, v9, v4
	v_add_co_ci_u32_e64 v9, null, v10, v5, vcc_lo
	v_add_co_u32 v10, vcc_lo, v11, v4
	v_add_co_ci_u32_e64 v11, null, v12, v5, vcc_lo
	v_mov_b32_e32 v13, v9
	v_mov_b32_e32 v12, v8
	;; [unrolled: 1-line block ×4, first 2 shown]
.LBB6_5997:                             ;   Parent Loop BB6_47 Depth=1
                                        ;     Parent Loop BB6_3207 Depth=2
                                        ; =>    This Loop Header: Depth=3
                                        ;         Child Loop BB6_6018 Depth 4
	flat_load_ubyte v16, v[12:13] slc
	flat_load_ubyte v4, v[14:15] slc
	s_mov_b32 s16, 0
	s_mov_b32 s17, exec_lo
	s_waitcnt vmcnt(1) lgkmcnt(1)
	v_cmpx_lt_i16_e32 0x7f, v16
	s_xor_b32 s17, exec_lo, s17
	s_cbranch_execz .LBB6_6020
; %bb.5998:                             ;   in Loop: Header=BB6_5997 Depth=3
	s_mov_b32 s16, -1
	s_mov_b32 s18, exec_lo
	v_cmpx_eq_u16_e32 0x80, v16
; %bb.5999:                             ;   in Loop: Header=BB6_5997 Depth=3
	s_xor_b32 s16, exec_lo, -1
; %bb.6000:                             ;   in Loop: Header=BB6_5997 Depth=3
	s_or_b32 exec_lo, exec_lo, s18
	s_and_b32 s16, s16, exec_lo
	s_or_saveexec_b32 s17, s17
	v_mov_b32_e32 v5, 0x7f800001
	s_xor_b32 exec_lo, exec_lo, s17
	s_cbranch_execnz .LBB6_6021
.LBB6_6001:                             ;   in Loop: Header=BB6_5997 Depth=3
	s_or_b32 exec_lo, exec_lo, s17
	s_and_saveexec_b32 s17, s16
	s_cbranch_execz .LBB6_6003
.LBB6_6002:                             ;   in Loop: Header=BB6_5997 Depth=3
	v_and_b32_e32 v5, 0xffff, v16
	v_lshlrev_b32_e32 v16, 24, v16
	v_and_b32_e32 v17, 3, v5
	v_bfe_u32 v20, v5, 2, 5
	v_and_b32_e32 v16, 0x80000000, v16
	v_ffbh_u32_e32 v18, v17
	v_cmp_eq_u32_e32 vcc_lo, 0, v20
	v_min_u32_e32 v18, 32, v18
	v_subrev_nc_u32_e32 v19, 29, v18
	v_sub_nc_u32_e32 v18, 30, v18
	v_lshlrev_b32_e32 v5, v19, v5
	v_cndmask_b32_e32 v18, v20, v18, vcc_lo
	v_and_b32_e32 v5, 3, v5
	v_cndmask_b32_e32 v5, v17, v5, vcc_lo
	v_lshl_add_u32 v17, v18, 23, 0x37800000
	v_lshlrev_b32_e32 v5, 21, v5
	v_or3_b32 v5, v16, v17, v5
.LBB6_6003:                             ;   in Loop: Header=BB6_5997 Depth=3
	s_or_b32 exec_lo, exec_lo, s17
	s_waitcnt vmcnt(0) lgkmcnt(0)
	v_cmp_gt_i16_sdwa s17, v4, v59 src0_sel:BYTE_0 src1_sel:DWORD
	s_mov_b32 s16, 0
	s_and_saveexec_b32 s18, s17
	s_xor_b32 s17, exec_lo, s18
	s_cbranch_execz .LBB6_6022
; %bb.6004:                             ;   in Loop: Header=BB6_5997 Depth=3
	v_cmp_eq_u16_sdwa s19, v4, v60 src0_sel:BYTE_0 src1_sel:DWORD
	s_mov_b32 s16, -1
	s_and_saveexec_b32 s18, s19
; %bb.6005:                             ;   in Loop: Header=BB6_5997 Depth=3
	s_xor_b32 s16, exec_lo, -1
; %bb.6006:                             ;   in Loop: Header=BB6_5997 Depth=3
	s_or_b32 exec_lo, exec_lo, s18
	s_and_b32 s16, s16, exec_lo
	s_or_saveexec_b32 s17, s17
	v_mov_b32_e32 v16, 0x7f800001
	s_xor_b32 exec_lo, exec_lo, s17
	s_cbranch_execnz .LBB6_6023
.LBB6_6007:                             ;   in Loop: Header=BB6_5997 Depth=3
	s_or_b32 exec_lo, exec_lo, s17
	s_and_saveexec_b32 s17, s16
	s_cbranch_execz .LBB6_6009
.LBB6_6008:                             ;   in Loop: Header=BB6_5997 Depth=3
	v_and_b32_e32 v16, 3, v4
	v_lshrrev_b16 v18, 2, v4
	v_ffbh_u32_e32 v17, v16
	v_and_b32_e32 v18, 31, v18
	v_min_u32_e32 v17, 32, v17
	v_cmp_eq_u32_e32 vcc_lo, 0, v18
	v_subrev_nc_u32_e32 v19, 29, v17
	v_sub_nc_u32_e32 v17, 30, v17
	v_lshlrev_b32_e32 v19, v19, v4
	v_lshlrev_b32_e32 v4, 24, v4
	v_cndmask_b32_e32 v17, v18, v17, vcc_lo
	v_and_b32_e32 v19, 3, v19
	v_and_b32_e32 v4, 0x80000000, v4
	v_lshl_add_u32 v17, v17, 23, 0x37800000
	v_cndmask_b32_e32 v16, v16, v19, vcc_lo
	v_lshlrev_b32_e32 v16, 21, v16
	v_or3_b32 v16, v4, v17, v16
.LBB6_6009:                             ;   in Loop: Header=BB6_5997 Depth=3
	s_or_b32 exec_lo, exec_lo, s17
	v_mul_f32_e32 v4, v5, v16
	v_and_b32_e32 v5, 0x7f800000, v4
	v_cmp_ne_u32_e32 vcc_lo, 0x7f800000, v5
	v_mov_b32_e32 v5, 0x80
	s_and_saveexec_b32 s17, vcc_lo
	s_cbranch_execz .LBB6_6017
; %bb.6010:                             ;   in Loop: Header=BB6_5997 Depth=3
	v_mov_b32_e32 v5, 0
	s_mov_b32 s18, exec_lo
	v_cmpx_ne_u32_e32 0, v4
	s_cbranch_execz .LBB6_6016
; %bb.6011:                             ;   in Loop: Header=BB6_5997 Depth=3
	v_bfe_u32 v5, v4, 23, 8
	v_and_b32_e32 v16, 0x7fffff, v4
	v_sub_nc_u32_e32 v17, 0x70, v5
	v_cmp_gt_u32_e32 vcc_lo, 0x71, v5
	v_or_b32_e32 v18, 0x800000, v16
	v_cndmask_b32_e32 v17, 0, v17, vcc_lo
	v_cmp_eq_u32_e32 vcc_lo, 0, v5
	v_add_nc_u32_e32 v5, 0xffffff91, v5
	v_cndmask_b32_e64 v17, v17, 0x6f, vcc_lo
	v_cndmask_b32_e32 v16, v18, v16, vcc_lo
	v_cndmask_b32_e64 v5, v5, 0xffffff92, vcc_lo
	v_lshl_add_u32 v18, 0x200000, v17, -1
	v_lshrrev_b32_e32 v19, v17, v16
	v_lshlrev_b32_e64 v21, v17, 0x100000
	v_add_nc_u32_e32 v17, v17, v5
	v_and_b32_e32 v16, v18, v16
	v_bfe_u32 v20, v19, 21, 1
	v_cmp_eq_u32_e64 s16, v16, v21
	v_add_nc_u32_e32 v18, -1, v20
	v_cndmask_b32_e64 v16, 0, v18, s16
	v_lshrrev_b32_e32 v18, 23, v19
	s_mov_b32 s16, exec_lo
	v_add_nc_u32_e32 v16, v16, v19
	v_xor_b32_e32 v18, 1, v18
	v_and_b32_e32 v5, 0x1fffff, v16
	v_add_nc_u32_e32 v16, v5, v19
                                        ; implicit-def: $vgpr5
	v_cmpx_ne_u32_e64 v17, v18
	s_xor_b32 s16, exec_lo, s16
; %bb.6012:                             ;   in Loop: Header=BB6_5997 Depth=3
	v_cmp_lt_u32_e32 vcc_lo, 0xffffff, v16
	v_sub_nc_u32_e32 v5, v17, v18
	v_cndmask_b32_e64 v17, 0, 1, vcc_lo
	v_add_co_ci_u32_e64 v5, null, 0, v5, vcc_lo
	v_lshrrev_b32_e32 v16, v17, v16
; %bb.6013:                             ;   in Loop: Header=BB6_5997 Depth=3
	s_andn2_saveexec_b32 s16, s16
; %bb.6014:                             ;   in Loop: Header=BB6_5997 Depth=3
	v_bfe_u32 v5, v16, 23, 1
; %bb.6015:                             ;   in Loop: Header=BB6_5997 Depth=3
	s_or_b32 exec_lo, exec_lo, s16
	v_lshrrev_b32_e32 v16, 21, v16
	v_cmp_gt_i32_e32 vcc_lo, 32, v5
	v_min_i32_e32 v17, 31, v5
	v_and_b32_sdwa v4, v4, v60 dst_sel:DWORD dst_unused:UNUSED_PAD src0_sel:BYTE_3 src1_sel:DWORD
	v_cndmask_b32_e32 v16, 3, v16, vcc_lo
	v_lshlrev_b32_e32 v17, 2, v17
	v_and_b32_e32 v18, 3, v16
	v_or_b32_e32 v5, v5, v16
	v_or3_b32 v4, v17, v4, v18
	v_cmp_ne_u32_e32 vcc_lo, 0, v5
	v_cndmask_b32_e32 v5, 0, v4, vcc_lo
.LBB6_6016:                             ;   in Loop: Header=BB6_5997 Depth=3
	s_or_b32 exec_lo, exec_lo, s18
.LBB6_6017:                             ;   in Loop: Header=BB6_5997 Depth=3
	s_or_b32 exec_lo, exec_lo, s17
	s_mov_b64 s[18:19], 0
	s_mov_b32 s72, -1
	.p2align	6
.LBB6_6018:                             ;   Parent Loop BB6_47 Depth=1
                                        ;     Parent Loop BB6_3207 Depth=2
                                        ;       Parent Loop BB6_5997 Depth=3
                                        ; =>      This Inner Loop Header: Depth=4
	s_cmp_eq_u32 s18, 1
	s_cselect_b32 vcc_lo, -1, 0
	s_cmp_eq_u32 s18, 0
	v_cndmask_b32_e32 v16, v8, v10, vcc_lo
	v_cndmask_b32_e32 v17, v9, v11, vcc_lo
	s_mov_b64 s[18:19], 1
	v_add_co_u32 v4, s16, v16, 32
	v_add_co_ci_u32_e64 v18, null, 0, v17, s16
	s_cselect_b32 s16, -1, 0
	v_cndmask_b32_e32 v10, v10, v4, vcc_lo
	v_cndmask_b32_e64 v8, v8, v4, s16
	v_cndmask_b32_e32 v11, v11, v18, vcc_lo
	v_cndmask_b32_e64 v9, v9, v18, s16
	s_and_b32 s17, exec_lo, s72
	s_mov_b32 s72, 0
	s_mov_b32 vcc_lo, s17
	flat_store_byte v[16:17], v5 glc slc
	s_cbranch_vccnz .LBB6_6018
; %bb.6019:                             ;   in Loop: Header=BB6_5997 Depth=3
	v_add_co_u32 v12, vcc_lo, v12, v92
	v_sub_nc_u32_e32 v1, v1, v56
	v_add_co_ci_u32_e64 v13, null, v13, v93, vcc_lo
	v_add_co_u32 v14, vcc_lo, v14, v92
	v_add_co_ci_u32_e64 v15, null, v15, v93, vcc_lo
	v_add_co_u32 v8, vcc_lo, v8, v78
	v_add_co_ci_u32_e64 v9, null, v9, v88, vcc_lo
	v_cmp_gt_i32_e32 vcc_lo, 1, v1
	v_add_co_u32 v10, s16, v10, v78
	v_add_co_ci_u32_e64 v11, null, v11, v88, s16
	s_or_b32 s23, vcc_lo, s23
	s_andn2_b32 exec_lo, exec_lo, s23
	s_cbranch_execnz .LBB6_5997
	s_branch .LBB6_6024
.LBB6_6020:                             ;   in Loop: Header=BB6_5997 Depth=3
	s_or_saveexec_b32 s17, s17
	v_mov_b32_e32 v5, 0x7f800001
	s_xor_b32 exec_lo, exec_lo, s17
	s_cbranch_execz .LBB6_6001
.LBB6_6021:                             ;   in Loop: Header=BB6_5997 Depth=3
	v_cmp_ne_u16_e32 vcc_lo, 0, v16
	v_mov_b32_e32 v5, 0
	s_andn2_b32 s16, s16, exec_lo
	s_and_b32 s18, vcc_lo, exec_lo
	s_or_b32 s16, s16, s18
	s_or_b32 exec_lo, exec_lo, s17
	s_and_saveexec_b32 s17, s16
	s_cbranch_execnz .LBB6_6002
	s_branch .LBB6_6003
.LBB6_6022:                             ;   in Loop: Header=BB6_5997 Depth=3
	s_or_saveexec_b32 s17, s17
	v_mov_b32_e32 v16, 0x7f800001
	s_xor_b32 exec_lo, exec_lo, s17
	s_cbranch_execz .LBB6_6007
.LBB6_6023:                             ;   in Loop: Header=BB6_5997 Depth=3
	v_cmp_ne_u16_sdwa s18, v4, v2 src0_sel:BYTE_0 src1_sel:DWORD
	v_mov_b32_e32 v16, 0
	s_andn2_b32 s16, s16, exec_lo
	s_and_b32 s18, s18, exec_lo
	s_or_b32 s16, s16, s18
	s_or_b32 exec_lo, exec_lo, s17
	s_and_saveexec_b32 s17, s16
	s_cbranch_execnz .LBB6_6008
	s_branch .LBB6_6009
.LBB6_6024:                             ;   in Loop: Header=BB6_3207 Depth=2
	s_or_b32 exec_lo, exec_lo, s22
	s_mov_b32 s16, 0
.LBB6_6025:                             ;   in Loop: Header=BB6_3207 Depth=2
	s_and_b32 vcc_lo, exec_lo, s16
	s_cbranch_vccz .LBB6_8766
; %bb.6026:                             ;   in Loop: Header=BB6_3207 Depth=2
	s_mov_b32 s16, -1
	s_and_saveexec_b32 s17, s15
	s_cbranch_execz .LBB6_6028
; %bb.6027:                             ;   in Loop: Header=BB6_3207 Depth=2
	ds_read_b32 v1, v0 offset:720
	s_waitcnt lgkmcnt(0)
	v_and_b32_e32 v1, 15, v1
	v_cmp_eq_u32_e32 vcc_lo, 0, v1
	s_orn2_b32 s16, vcc_lo, exec_lo
.LBB6_6028:                             ;   in Loop: Header=BB6_3207 Depth=2
	s_or_b32 exec_lo, exec_lo, s17
	s_and_saveexec_b32 s17, s12
	s_cbranch_execz .LBB6_6030
; %bb.6029:                             ;   in Loop: Header=BB6_3207 Depth=2
	ds_read_b32 v1, v0 offset:784
	s_waitcnt lgkmcnt(0)
	v_and_b32_e32 v1, 15, v1
	v_cmp_eq_u32_e32 vcc_lo, 0, v1
	s_and_b32 s18, s16, vcc_lo
	s_andn2_b32 s16, s16, exec_lo
	s_and_b32 s18, s18, exec_lo
	s_or_b32 s16, s16, s18
.LBB6_6030:                             ;   in Loop: Header=BB6_3207 Depth=2
	s_or_b32 exec_lo, exec_lo, s17
	s_xor_b32 s16, s16, -1
	v_mov_b32_e32 v4, 0
	v_cndmask_b32_e64 v1, 0, 1, s16
	v_mov_b32_e32 v5, v95
	v_mov_b32_e32 v14, v0
	v_mov_b32_e32 v8, v89
	s_mov_b32 s16, -1
	v_cmp_ne_u32_e32 vcc_lo, 0, v1
	s_cbranch_vccz .LBB6_6032
; %bb.6031:                             ;   in Loop: Header=BB6_3207 Depth=2
	s_and_saveexec_b32 s17, s16
	s_cbranch_execnz .LBB6_7965
	s_branch .LBB6_8765
.LBB6_6032:                             ;   in Loop: Header=BB6_3207 Depth=2
	v_mov_b32_e32 v4, v95
	s_mov_b32 s17, exec_lo
	v_ashrrev_i32_e32 v1, 31, v4
	v_lshrrev_b32_e32 v1, 21, v1
	v_add_nc_u32_e32 v1, v4, v1
	v_ashrrev_i32_e32 v41, 11, v1
	v_sub_nc_u32_e32 v40, v41, v89
	v_cmpx_lt_i32_e32 0, v40
	s_cbranch_execz .LBB6_7572
; %bb.6033:                             ;   in Loop: Header=BB6_3207 Depth=2
	s_trap 2
	s_clause 0x1
	buffer_load_dword v1, off, s[0:3], s33 offset:224
	buffer_load_dword v8, off, s[0:3], s33 offset:228
	ds_read_b64 v[4:5], v0
	s_mov_b32 s18, 0
	s_waitcnt vmcnt(1)
	v_add_co_u32 v114, vcc_lo, v101, v1
	s_waitcnt vmcnt(0)
	v_add_co_ci_u32_e64 v115, null, v102, v8, vcc_lo
	s_waitcnt lgkmcnt(0)
	v_add_co_u32 v116, vcc_lo, v4, v1
	v_add_co_ci_u32_e64 v117, null, v5, v8, vcc_lo
	s_clause 0x1
	buffer_load_dword v4, off, s[0:3], s33 offset:232
	buffer_load_dword v5, off, s[0:3], s33 offset:236
	s_waitcnt vmcnt(1)
	v_add_co_u32 v118, vcc_lo, v4, v1
	s_waitcnt vmcnt(0)
	v_add_co_ci_u32_e64 v119, null, v5, v8, vcc_lo
	s_branch .LBB6_6037
.LBB6_6034:                             ;   in Loop: Header=BB6_6037 Depth=3
	s_or_b32 exec_lo, exec_lo, s16
	v_lshrrev_b32_e32 v15, 21, v87
	v_min_i32_e32 v86, 31, v58
	v_cmp_gt_i32_e32 vcc_lo, 32, v58
	v_and_b32_sdwa v11, v11, v60 dst_sel:DWORD dst_unused:UNUSED_PAD src0_sel:BYTE_3 src1_sel:DWORD
	v_lshlrev_b32_e32 v86, 2, v86
	v_cndmask_b32_e32 v15, 3, v15, vcc_lo
	v_and_b32_e32 v86, 0xfc, v86
	v_or_b32_e32 v87, v58, v15
	v_and_b32_e32 v15, 3, v15
	v_cmp_ne_u32_e32 vcc_lo, 0, v87
	v_or3_b32 v11, v11, v86, v15
	v_lshlrev_b32_e32 v11, 8, v11
	v_cndmask_b32_e32 v15, 0, v11, vcc_lo
.LBB6_6035:                             ;   in Loop: Header=BB6_6037 Depth=3
	s_or_b32 exec_lo, exec_lo, s22
.LBB6_6036:                             ;   in Loop: Header=BB6_6037 Depth=3
	s_or_b32 exec_lo, exec_lo, s19
	v_or_b32_sdwa v11, v37, v52 dst_sel:WORD_1 dst_unused:UNUSED_PAD src0_sel:DWORD src1_sel:DWORD
	v_or_b32_sdwa v1, v1, v31 dst_sel:WORD_1 dst_unused:UNUSED_PAD src0_sel:DWORD src1_sel:DWORD
	;; [unrolled: 1-line block ×3, first 2 shown]
	v_sub_nc_u32_e32 v40, v40, v47
	v_add_co_u32 v114, vcc_lo, v114, v77
	v_or3_b32 v37, v122, v48, v11
	v_or_b32_sdwa v11, v38, v30 dst_sel:WORD_1 dst_unused:UNUSED_PAD src0_sel:DWORD src1_sel:DWORD
	v_or3_b32 v36, v43, v42, v36
	v_add_co_ci_u32_e64 v115, null, 0, v115, vcc_lo
	v_add_co_u32 v116, vcc_lo, v116, v77
	v_or3_b32 v38, v53, v49, v11
	v_or_b32_sdwa v11, v39, v55 dst_sel:WORD_1 dst_unused:UNUSED_PAD src0_sel:DWORD src1_sel:DWORD
	v_add_co_ci_u32_e64 v117, null, 0, v117, vcc_lo
	v_cmp_gt_i32_e32 vcc_lo, 1, v40
	v_or3_b32 v39, v54, v50, v11
	v_or_b32_sdwa v11, v17, v124 dst_sel:WORD_1 dst_unused:UNUSED_PAD src0_sel:DWORD src1_sel:DWORD
	s_or_b32 s18, vcc_lo, s18
	global_store_dwordx4 v[118:119], v[36:39], off glc slc
	v_or3_b32 v17, v20, v16, v11
	v_or3_b32 v16, v83, v35, v1
	v_or_b32_sdwa v1, v18, v111 dst_sel:WORD_1 dst_unused:UNUSED_PAD src0_sel:DWORD src1_sel:DWORD
	v_or_b32_sdwa v11, v24, v28 dst_sel:WORD_1 dst_unused:UNUSED_PAD src0_sel:DWORD src1_sel:DWORD
	v_or3_b32 v18, v110, v21, v1
	v_or_b32_sdwa v1, v19, v107 dst_sel:WORD_1 dst_unused:UNUSED_PAD src0_sel:DWORD src1_sel:DWORD
	v_or3_b32 v28, v123, v51, v11
	v_or3_b32 v19, v91, v22, v1
	v_or_b32_sdwa v1, v25, v84 dst_sel:WORD_1 dst_unused:UNUSED_PAD src0_sel:DWORD src1_sel:DWORD
	v_or3_b32 v29, v32, v29, v1
	v_or_b32_sdwa v1, v5, v4 dst_sel:WORD_1 dst_unused:UNUSED_PAD src0_sel:DWORD src1_sel:DWORD
	v_or_b32_sdwa v4, v8, v98 dst_sel:WORD_1 dst_unused:UNUSED_PAD src0_sel:DWORD src1_sel:DWORD
	v_or3_b32 v30, v85, v33, v1
	v_or_b32_sdwa v1, v27, v82 dst_sel:WORD_1 dst_unused:UNUSED_PAD src0_sel:DWORD src1_sel:DWORD
	v_or3_b32 v8, v120, v23, v4
	v_or3_b32 v31, v34, v26, v1
	v_or_b32_sdwa v1, v9, v105 dst_sel:WORD_1 dst_unused:UNUSED_PAD src0_sel:DWORD src1_sel:DWORD
	v_or3_b32 v9, v99, v12, v1
	v_or_b32_sdwa v1, v10, v46 dst_sel:WORD_1 dst_unused:UNUSED_PAD src0_sel:DWORD src1_sel:DWORD
	;; [unrolled: 2-line block ×3, first 2 shown]
	v_or3_b32 v11, v112, v14, v1
	global_store_dwordx4 v[118:119], v[28:31], off offset:512 glc slc
	global_store_dwordx4 v[118:119], v[16:19], off offset:1024 glc slc
	;; [unrolled: 1-line block ×3, first 2 shown]
	v_add_co_u32 v118, s16, v118, v77
	v_add_co_ci_u32_e64 v119, null, 0, v119, s16
	s_andn2_b32 exec_lo, exec_lo, s18
	s_cbranch_execz .LBB6_7571
.LBB6_6037:                             ;   Parent Loop BB6_47 Depth=1
                                        ;     Parent Loop BB6_3207 Depth=2
                                        ; =>    This Inner Loop Header: Depth=3
	s_clause 0x3
	global_load_dwordx4 v[48:51], v[114:115], off slc
	global_load_dwordx4 v[32:35], v[114:115], off offset:512 slc
	global_load_dwordx4 v[20:23], v[114:115], off offset:1024 slc
	;; [unrolled: 1-line block ×3, first 2 shown]
	s_clause 0x3
	global_load_dwordx4 v[36:39], v[116:117], off slc
	global_load_dwordx4 v[24:27], v[116:117], off offset:512 slc
	global_load_dwordx4 v[16:19], v[116:117], off offset:1024 slc
	;; [unrolled: 1-line block ×3, first 2 shown]
	s_mov_b32 s16, 0
	s_waitcnt vmcnt(7)
	v_cmp_gt_i16_sdwa s19, v48, v59 src0_sel:BYTE_0 src1_sel:DWORD
	s_and_saveexec_b32 s22, s19
	s_xor_b32 s19, exec_lo, s22
	s_cbranch_execz .LBB6_7315
; %bb.6038:                             ;   in Loop: Header=BB6_6037 Depth=3
	v_cmp_eq_u16_sdwa s23, v48, v60 src0_sel:BYTE_0 src1_sel:DWORD
	s_mov_b32 s16, -1
	s_and_saveexec_b32 s22, s23
; %bb.6039:                             ;   in Loop: Header=BB6_6037 Depth=3
	s_xor_b32 s16, exec_lo, -1
; %bb.6040:                             ;   in Loop: Header=BB6_6037 Depth=3
	s_or_b32 exec_lo, exec_lo, s22
	s_and_b32 s16, s16, exec_lo
	s_or_saveexec_b32 s19, s19
	v_mov_b32_e32 v1, 0x7f800001
	s_xor_b32 exec_lo, exec_lo, s19
	s_cbranch_execnz .LBB6_7316
.LBB6_6041:                             ;   in Loop: Header=BB6_6037 Depth=3
	s_or_b32 exec_lo, exec_lo, s19
	s_and_saveexec_b32 s19, s16
	s_cbranch_execz .LBB6_6043
.LBB6_6042:                             ;   in Loop: Header=BB6_6037 Depth=3
	v_and_b32_e32 v1, 3, v48
	v_bfe_u32 v28, v48, 2, 5
	v_lshlrev_b32_e32 v29, 24, v48
	v_ffbh_u32_e32 v4, v1
	v_cmp_eq_u32_e32 vcc_lo, 0, v28
	v_min_u32_e32 v4, 32, v4
	v_subrev_nc_u32_e32 v5, 29, v4
	v_sub_nc_u32_e32 v4, 30, v4
	v_lshlrev_b32_e32 v5, v5, v48
	v_cndmask_b32_e32 v4, v28, v4, vcc_lo
	v_and_b32_e32 v5, 3, v5
	v_lshl_add_u32 v4, v4, 23, 0x37800000
	v_cndmask_b32_e32 v1, v1, v5, vcc_lo
	v_and_b32_e32 v5, 0x80000000, v29
	v_lshlrev_b32_e32 v1, 21, v1
	v_or3_b32 v1, v5, v4, v1
.LBB6_6043:                             ;   in Loop: Header=BB6_6037 Depth=3
	s_or_b32 exec_lo, exec_lo, s19
	s_waitcnt vmcnt(3)
	v_cmp_gt_i16_sdwa s19, v36, v59 src0_sel:BYTE_0 src1_sel:DWORD
	s_mov_b32 s16, 0
	s_and_saveexec_b32 s22, s19
	s_xor_b32 s19, exec_lo, s22
	s_cbranch_execz .LBB6_7317
; %bb.6044:                             ;   in Loop: Header=BB6_6037 Depth=3
	v_cmp_eq_u16_sdwa s23, v36, v60 src0_sel:BYTE_0 src1_sel:DWORD
	s_mov_b32 s16, -1
	s_and_saveexec_b32 s22, s23
; %bb.6045:                             ;   in Loop: Header=BB6_6037 Depth=3
	s_xor_b32 s16, exec_lo, -1
; %bb.6046:                             ;   in Loop: Header=BB6_6037 Depth=3
	s_or_b32 exec_lo, exec_lo, s22
	s_and_b32 s16, s16, exec_lo
	s_or_saveexec_b32 s19, s19
	v_mov_b32_e32 v4, 0x7f800001
	s_xor_b32 exec_lo, exec_lo, s19
	s_cbranch_execnz .LBB6_7318
.LBB6_6047:                             ;   in Loop: Header=BB6_6037 Depth=3
	s_or_b32 exec_lo, exec_lo, s19
	s_and_saveexec_b32 s19, s16
	s_cbranch_execz .LBB6_6049
.LBB6_6048:                             ;   in Loop: Header=BB6_6037 Depth=3
	v_and_b32_e32 v4, 3, v36
	v_bfe_u32 v29, v36, 2, 5
	v_lshlrev_b32_e32 v30, 24, v36
	v_ffbh_u32_e32 v5, v4
	v_cmp_eq_u32_e32 vcc_lo, 0, v29
	v_min_u32_e32 v5, 32, v5
	v_subrev_nc_u32_e32 v28, 29, v5
	v_sub_nc_u32_e32 v5, 30, v5
	v_lshlrev_b32_e32 v28, v28, v36
	v_cndmask_b32_e32 v5, v29, v5, vcc_lo
	v_and_b32_e32 v28, 3, v28
	v_lshl_add_u32 v5, v5, 23, 0x37800000
	v_cndmask_b32_e32 v4, v4, v28, vcc_lo
	v_and_b32_e32 v28, 0x80000000, v30
	v_lshlrev_b32_e32 v4, 21, v4
	v_or3_b32 v4, v28, v5, v4
.LBB6_6049:                             ;   in Loop: Header=BB6_6037 Depth=3
	s_or_b32 exec_lo, exec_lo, s19
	v_mul_f32_e32 v1, v1, v4
	v_mov_b32_e32 v42, 0x80
	s_mov_b32 s19, exec_lo
	v_and_b32_e32 v4, 0x7f800000, v1
	v_cmpx_ne_u32_e32 0x7f800000, v4
	s_cbranch_execz .LBB6_6057
; %bb.6050:                             ;   in Loop: Header=BB6_6037 Depth=3
	v_mov_b32_e32 v42, 0
	s_mov_b32 s22, exec_lo
	v_cmpx_ne_u32_e32 0, v1
	s_cbranch_execz .LBB6_6056
; %bb.6051:                             ;   in Loop: Header=BB6_6037 Depth=3
	v_bfe_u32 v5, v1, 23, 8
	v_and_b32_e32 v4, 0x7fffff, v1
	v_cmp_gt_u32_e64 s16, 0x71, v5
	v_sub_nc_u32_e32 v28, 0x70, v5
	v_cmp_eq_u32_e32 vcc_lo, 0, v5
	v_or_b32_e32 v29, 0x800000, v4
	v_cndmask_b32_e64 v28, 0, v28, s16
	v_cndmask_b32_e32 v4, v29, v4, vcc_lo
	v_cndmask_b32_e64 v28, v28, 0x6f, vcc_lo
	v_lshl_add_u32 v29, 0x200000, v28, -1
	v_lshlrev_b32_e64 v30, v28, 0x100000
	v_and_b32_e32 v29, v29, v4
	v_cmp_eq_u32_e64 s16, v29, v30
	v_lshrrev_b32_e32 v29, v28, v4
	v_add_nc_u32_e32 v4, 0xffffff91, v5
	v_lshrrev_b32_e32 v5, 23, v29
	v_cndmask_b32_e64 v4, v4, 0xffffff92, vcc_lo
	v_xor_b32_e32 v5, 1, v5
	v_add_nc_u32_e32 v4, v28, v4
	v_bfe_u32 v28, v29, 21, 1
	v_add_nc_u32_e32 v28, -1, v28
	v_cndmask_b32_e64 v28, 0, v28, s16
	s_mov_b32 s16, exec_lo
	v_add_nc_u32_e32 v28, v28, v29
	v_and_b32_e32 v28, 0x1fffff, v28
	v_add_nc_u32_e32 v29, v28, v29
                                        ; implicit-def: $vgpr28
	v_cmpx_ne_u32_e64 v4, v5
	s_xor_b32 s16, exec_lo, s16
; %bb.6052:                             ;   in Loop: Header=BB6_6037 Depth=3
	v_cmp_lt_u32_e32 vcc_lo, 0xffffff, v29
	v_sub_nc_u32_e32 v4, v4, v5
	v_cndmask_b32_e64 v5, 0, 1, vcc_lo
	v_add_co_ci_u32_e64 v28, null, 0, v4, vcc_lo
	v_lshrrev_b32_e32 v29, v5, v29
; %bb.6053:                             ;   in Loop: Header=BB6_6037 Depth=3
	s_andn2_saveexec_b32 s16, s16
; %bb.6054:                             ;   in Loop: Header=BB6_6037 Depth=3
	v_bfe_u32 v28, v29, 23, 1
; %bb.6055:                             ;   in Loop: Header=BB6_6037 Depth=3
	s_or_b32 exec_lo, exec_lo, s16
	v_lshrrev_b32_e32 v4, 21, v29
	v_min_i32_e32 v5, 31, v28
	v_cmp_gt_i32_e32 vcc_lo, 32, v28
	v_and_b32_sdwa v1, v1, v60 dst_sel:DWORD dst_unused:UNUSED_PAD src0_sel:BYTE_3 src1_sel:DWORD
	v_lshlrev_b32_e32 v5, 2, v5
	v_cndmask_b32_e32 v4, 3, v4, vcc_lo
	v_and_b32_e32 v5, 0xfc, v5
	v_and_b32_e32 v29, 3, v4
	v_or_b32_e32 v4, v28, v4
	v_or3_b32 v1, v5, v1, v29
	v_cmp_ne_u32_e32 vcc_lo, 0, v4
	v_cndmask_b32_e32 v42, 0, v1, vcc_lo
.LBB6_6056:                             ;   in Loop: Header=BB6_6037 Depth=3
	s_or_b32 exec_lo, exec_lo, s22
.LBB6_6057:                             ;   in Loop: Header=BB6_6037 Depth=3
	s_or_b32 exec_lo, exec_lo, s19
	v_cmp_gt_i16_sdwa s19, v48, v59 src0_sel:BYTE_1 src1_sel:DWORD
	s_mov_b32 s16, 0
	s_and_saveexec_b32 s22, s19
	s_xor_b32 s19, exec_lo, s22
	s_cbranch_execz .LBB6_7319
; %bb.6058:                             ;   in Loop: Header=BB6_6037 Depth=3
	v_cmp_eq_u16_sdwa s23, v48, v60 src0_sel:BYTE_1 src1_sel:DWORD
	s_mov_b32 s16, -1
	s_and_saveexec_b32 s22, s23
; %bb.6059:                             ;   in Loop: Header=BB6_6037 Depth=3
	s_xor_b32 s16, exec_lo, -1
; %bb.6060:                             ;   in Loop: Header=BB6_6037 Depth=3
	s_or_b32 exec_lo, exec_lo, s22
	s_and_b32 s16, s16, exec_lo
	s_or_saveexec_b32 s19, s19
	v_mov_b32_e32 v1, 0x7f800001
	s_xor_b32 exec_lo, exec_lo, s19
	s_cbranch_execnz .LBB6_7320
.LBB6_6061:                             ;   in Loop: Header=BB6_6037 Depth=3
	s_or_b32 exec_lo, exec_lo, s19
	s_and_saveexec_b32 s19, s16
	s_cbranch_execz .LBB6_6063
.LBB6_6062:                             ;   in Loop: Header=BB6_6037 Depth=3
	v_and_b32_sdwa v1, v61, v48 dst_sel:DWORD dst_unused:UNUSED_PAD src0_sel:DWORD src1_sel:BYTE_1
	v_and_b32_e32 v4, 3, v1
	v_bfe_u32 v29, v1, 2, 5
	v_ffbh_u32_e32 v5, v4
	v_cmp_eq_u32_e32 vcc_lo, 0, v29
	v_min_u32_e32 v5, 32, v5
	v_subrev_nc_u32_e32 v28, 29, v5
	v_sub_nc_u32_e32 v5, 30, v5
	v_lshlrev_b32_e32 v1, v28, v1
	v_lshlrev_b32_sdwa v28, v62, v48 dst_sel:DWORD dst_unused:UNUSED_PAD src0_sel:DWORD src1_sel:BYTE_1
	v_cndmask_b32_e32 v5, v29, v5, vcc_lo
	v_and_b32_e32 v1, 3, v1
	v_lshl_add_u32 v5, v5, 23, 0x37800000
	v_cndmask_b32_e32 v1, v4, v1, vcc_lo
	v_and_b32_e32 v4, 0x80000000, v28
	v_lshlrev_b32_e32 v1, 21, v1
	v_or3_b32 v1, v4, v5, v1
.LBB6_6063:                             ;   in Loop: Header=BB6_6037 Depth=3
	s_or_b32 exec_lo, exec_lo, s19
	v_cmp_gt_i16_sdwa s19, v36, v59 src0_sel:BYTE_1 src1_sel:DWORD
	s_mov_b32 s16, 0
	s_and_saveexec_b32 s22, s19
	s_xor_b32 s19, exec_lo, s22
	s_cbranch_execz .LBB6_7321
; %bb.6064:                             ;   in Loop: Header=BB6_6037 Depth=3
	v_cmp_eq_u16_sdwa s23, v36, v60 src0_sel:BYTE_1 src1_sel:DWORD
	s_mov_b32 s16, -1
	s_and_saveexec_b32 s22, s23
; %bb.6065:                             ;   in Loop: Header=BB6_6037 Depth=3
	s_xor_b32 s16, exec_lo, -1
; %bb.6066:                             ;   in Loop: Header=BB6_6037 Depth=3
	s_or_b32 exec_lo, exec_lo, s22
	s_and_b32 s16, s16, exec_lo
	s_or_saveexec_b32 s19, s19
	v_mov_b32_e32 v4, 0x7f800001
	s_xor_b32 exec_lo, exec_lo, s19
	s_cbranch_execnz .LBB6_7322
.LBB6_6067:                             ;   in Loop: Header=BB6_6037 Depth=3
	s_or_b32 exec_lo, exec_lo, s19
	s_and_saveexec_b32 s19, s16
	s_cbranch_execz .LBB6_6069
.LBB6_6068:                             ;   in Loop: Header=BB6_6037 Depth=3
	v_and_b32_sdwa v4, v61, v36 dst_sel:DWORD dst_unused:UNUSED_PAD src0_sel:DWORD src1_sel:BYTE_1
	v_and_b32_e32 v5, 3, v4
	v_bfe_u32 v30, v4, 2, 5
	v_ffbh_u32_e32 v28, v5
	v_cmp_eq_u32_e32 vcc_lo, 0, v30
	v_min_u32_e32 v28, 32, v28
	v_subrev_nc_u32_e32 v29, 29, v28
	v_sub_nc_u32_e32 v28, 30, v28
	v_lshlrev_b32_e32 v4, v29, v4
	v_lshlrev_b32_sdwa v29, v62, v36 dst_sel:DWORD dst_unused:UNUSED_PAD src0_sel:DWORD src1_sel:BYTE_1
	v_cndmask_b32_e32 v28, v30, v28, vcc_lo
	v_and_b32_e32 v4, 3, v4
	v_lshl_add_u32 v28, v28, 23, 0x37800000
	v_cndmask_b32_e32 v4, v5, v4, vcc_lo
	v_and_b32_e32 v5, 0x80000000, v29
	v_lshlrev_b32_e32 v4, 21, v4
	v_or3_b32 v4, v5, v28, v4
.LBB6_6069:                             ;   in Loop: Header=BB6_6037 Depth=3
	s_or_b32 exec_lo, exec_lo, s19
	v_mul_f32_e32 v1, v1, v4
	v_mov_b32_e32 v43, 0x8000
	s_mov_b32 s19, exec_lo
	v_and_b32_e32 v4, 0x7f800000, v1
	v_cmpx_ne_u32_e32 0x7f800000, v4
	s_cbranch_execz .LBB6_6077
; %bb.6070:                             ;   in Loop: Header=BB6_6037 Depth=3
	v_mov_b32_e32 v43, 0
	s_mov_b32 s22, exec_lo
	v_cmpx_ne_u32_e32 0, v1
	s_cbranch_execz .LBB6_6076
; %bb.6071:                             ;   in Loop: Header=BB6_6037 Depth=3
	v_bfe_u32 v5, v1, 23, 8
	v_and_b32_e32 v4, 0x7fffff, v1
	v_cmp_gt_u32_e64 s16, 0x71, v5
	v_sub_nc_u32_e32 v28, 0x70, v5
	v_cmp_eq_u32_e32 vcc_lo, 0, v5
	v_or_b32_e32 v29, 0x800000, v4
	v_cndmask_b32_e64 v28, 0, v28, s16
	v_cndmask_b32_e32 v4, v29, v4, vcc_lo
	v_cndmask_b32_e64 v28, v28, 0x6f, vcc_lo
	v_lshl_add_u32 v29, 0x200000, v28, -1
	v_lshlrev_b32_e64 v30, v28, 0x100000
	v_and_b32_e32 v29, v29, v4
	v_cmp_eq_u32_e64 s16, v29, v30
	v_lshrrev_b32_e32 v29, v28, v4
	v_add_nc_u32_e32 v4, 0xffffff91, v5
	v_lshrrev_b32_e32 v5, 23, v29
	v_cndmask_b32_e64 v4, v4, 0xffffff92, vcc_lo
	v_xor_b32_e32 v5, 1, v5
	v_add_nc_u32_e32 v4, v28, v4
	v_bfe_u32 v28, v29, 21, 1
	v_add_nc_u32_e32 v28, -1, v28
	v_cndmask_b32_e64 v28, 0, v28, s16
	s_mov_b32 s16, exec_lo
	v_add_nc_u32_e32 v28, v28, v29
	v_and_b32_e32 v28, 0x1fffff, v28
	v_add_nc_u32_e32 v29, v28, v29
                                        ; implicit-def: $vgpr28
	v_cmpx_ne_u32_e64 v4, v5
	s_xor_b32 s16, exec_lo, s16
; %bb.6072:                             ;   in Loop: Header=BB6_6037 Depth=3
	v_cmp_lt_u32_e32 vcc_lo, 0xffffff, v29
	v_sub_nc_u32_e32 v4, v4, v5
	v_cndmask_b32_e64 v5, 0, 1, vcc_lo
	v_add_co_ci_u32_e64 v28, null, 0, v4, vcc_lo
	v_lshrrev_b32_e32 v29, v5, v29
; %bb.6073:                             ;   in Loop: Header=BB6_6037 Depth=3
	s_andn2_saveexec_b32 s16, s16
; %bb.6074:                             ;   in Loop: Header=BB6_6037 Depth=3
	v_bfe_u32 v28, v29, 23, 1
; %bb.6075:                             ;   in Loop: Header=BB6_6037 Depth=3
	s_or_b32 exec_lo, exec_lo, s16
	v_lshrrev_b32_e32 v4, 21, v29
	v_min_i32_e32 v5, 31, v28
	v_cmp_gt_i32_e32 vcc_lo, 32, v28
	v_and_b32_sdwa v1, v1, v60 dst_sel:DWORD dst_unused:UNUSED_PAD src0_sel:BYTE_3 src1_sel:DWORD
	v_lshlrev_b32_e32 v5, 2, v5
	v_cndmask_b32_e32 v4, 3, v4, vcc_lo
	v_and_b32_e32 v5, 0xfc, v5
	v_and_b32_e32 v29, 3, v4
	v_or_b32_e32 v4, v28, v4
	v_or3_b32 v1, v1, v5, v29
	v_cmp_ne_u32_e32 vcc_lo, 0, v4
	v_lshlrev_b32_e32 v1, 8, v1
	v_cndmask_b32_e32 v43, 0, v1, vcc_lo
.LBB6_6076:                             ;   in Loop: Header=BB6_6037 Depth=3
	s_or_b32 exec_lo, exec_lo, s22
.LBB6_6077:                             ;   in Loop: Header=BB6_6037 Depth=3
	s_or_b32 exec_lo, exec_lo, s19
	v_and_b32_sdwa v4, v48, v63 dst_sel:DWORD dst_unused:UNUSED_PAD src0_sel:WORD_1 src1_sel:DWORD
	s_mov_b32 s16, 0
	s_mov_b32 s19, exec_lo
	v_cmpx_lt_i16_e32 0x7f, v4
	s_xor_b32 s19, exec_lo, s19
	s_cbranch_execz .LBB6_7323
; %bb.6078:                             ;   in Loop: Header=BB6_6037 Depth=3
	s_mov_b32 s16, -1
	s_mov_b32 s22, exec_lo
	v_cmpx_eq_u16_e32 0x80, v4
; %bb.6079:                             ;   in Loop: Header=BB6_6037 Depth=3
	s_xor_b32 s16, exec_lo, -1
; %bb.6080:                             ;   in Loop: Header=BB6_6037 Depth=3
	s_or_b32 exec_lo, exec_lo, s22
	s_and_b32 s16, s16, exec_lo
                                        ; implicit-def: $vgpr4
	s_or_saveexec_b32 s19, s19
	v_mov_b32_e32 v1, 0x7f800001
	s_xor_b32 exec_lo, exec_lo, s19
	s_cbranch_execnz .LBB6_7324
.LBB6_6081:                             ;   in Loop: Header=BB6_6037 Depth=3
	s_or_b32 exec_lo, exec_lo, s19
	s_and_saveexec_b32 s19, s16
	s_cbranch_execz .LBB6_6083
.LBB6_6082:                             ;   in Loop: Header=BB6_6037 Depth=3
	v_bfe_u32 v1, v48, 16, 2
	v_bfe_u32 v28, v48, 18, 5
	v_lshlrev_b32_e32 v29, 8, v48
	v_ffbh_u32_e32 v4, v1
	v_cmp_eq_u32_e32 vcc_lo, 0, v28
	v_min_u32_e32 v4, 32, v4
	v_subrev_nc_u32_e32 v5, 29, v4
	v_sub_nc_u32_e32 v4, 30, v4
	v_lshlrev_b32_sdwa v5, v5, v48 dst_sel:DWORD dst_unused:UNUSED_PAD src0_sel:DWORD src1_sel:WORD_1
	v_cndmask_b32_e32 v4, v28, v4, vcc_lo
	v_and_b32_e32 v5, 3, v5
	v_lshl_add_u32 v4, v4, 23, 0x37800000
	v_cndmask_b32_e32 v1, v1, v5, vcc_lo
	v_and_b32_e32 v5, 0x80000000, v29
	v_lshlrev_b32_e32 v1, 21, v1
	v_or3_b32 v1, v5, v4, v1
.LBB6_6083:                             ;   in Loop: Header=BB6_6037 Depth=3
	s_or_b32 exec_lo, exec_lo, s19
	v_and_b32_sdwa v5, v36, v63 dst_sel:DWORD dst_unused:UNUSED_PAD src0_sel:WORD_1 src1_sel:DWORD
	s_mov_b32 s19, 0
	s_mov_b32 s16, exec_lo
	v_cmpx_lt_i16_e32 0x7f, v5
	s_xor_b32 s16, exec_lo, s16
	s_cbranch_execz .LBB6_7325
; %bb.6084:                             ;   in Loop: Header=BB6_6037 Depth=3
	s_mov_b32 s19, -1
	s_mov_b32 s22, exec_lo
	v_cmpx_eq_u16_e32 0x80, v5
; %bb.6085:                             ;   in Loop: Header=BB6_6037 Depth=3
	s_xor_b32 s19, exec_lo, -1
; %bb.6086:                             ;   in Loop: Header=BB6_6037 Depth=3
	s_or_b32 exec_lo, exec_lo, s22
	s_and_b32 s19, s19, exec_lo
                                        ; implicit-def: $vgpr5
	s_or_saveexec_b32 s16, s16
	v_mov_b32_e32 v4, 0x7f800001
	s_xor_b32 exec_lo, exec_lo, s16
	s_cbranch_execnz .LBB6_7326
.LBB6_6087:                             ;   in Loop: Header=BB6_6037 Depth=3
	s_or_b32 exec_lo, exec_lo, s16
	s_and_saveexec_b32 s16, s19
	s_cbranch_execz .LBB6_6089
.LBB6_6088:                             ;   in Loop: Header=BB6_6037 Depth=3
	v_bfe_u32 v4, v36, 16, 2
	v_bfe_u32 v5, v36, 18, 5
	v_ffbh_u32_e32 v28, v4
	v_cmp_eq_u32_e32 vcc_lo, 0, v5
	v_min_u32_e32 v28, 32, v28
	v_subrev_nc_u32_e32 v29, 29, v28
	v_sub_nc_u32_e32 v28, 30, v28
	v_lshlrev_b32_sdwa v29, v29, v36 dst_sel:DWORD dst_unused:UNUSED_PAD src0_sel:DWORD src1_sel:WORD_1
	v_cndmask_b32_e32 v5, v5, v28, vcc_lo
	v_lshlrev_b32_e32 v28, 8, v36
	v_and_b32_e32 v29, 3, v29
	v_lshl_add_u32 v5, v5, 23, 0x37800000
	v_and_b32_e32 v28, 0x80000000, v28
	v_cndmask_b32_e32 v4, v4, v29, vcc_lo
	v_lshlrev_b32_e32 v4, 21, v4
	v_or3_b32 v4, v28, v5, v4
.LBB6_6089:                             ;   in Loop: Header=BB6_6037 Depth=3
	s_or_b32 exec_lo, exec_lo, s16
	v_mul_f32_e32 v1, v1, v4
	v_mov_b32_e32 v121, 0x80
	s_mov_b32 s19, exec_lo
	v_and_b32_e32 v4, 0x7f800000, v1
	v_cmpx_ne_u32_e32 0x7f800000, v4
	s_cbranch_execz .LBB6_6097
; %bb.6090:                             ;   in Loop: Header=BB6_6037 Depth=3
	v_mov_b32_e32 v121, 0
	s_mov_b32 s22, exec_lo
	v_cmpx_ne_u32_e32 0, v1
	s_cbranch_execz .LBB6_6096
; %bb.6091:                             ;   in Loop: Header=BB6_6037 Depth=3
	v_bfe_u32 v5, v1, 23, 8
	v_and_b32_e32 v4, 0x7fffff, v1
	v_cmp_gt_u32_e64 s16, 0x71, v5
	v_sub_nc_u32_e32 v28, 0x70, v5
	v_cmp_eq_u32_e32 vcc_lo, 0, v5
	v_or_b32_e32 v29, 0x800000, v4
	v_cndmask_b32_e64 v28, 0, v28, s16
	v_cndmask_b32_e32 v4, v29, v4, vcc_lo
	v_cndmask_b32_e64 v28, v28, 0x6f, vcc_lo
	v_lshl_add_u32 v29, 0x200000, v28, -1
	v_lshlrev_b32_e64 v30, v28, 0x100000
	v_and_b32_e32 v29, v29, v4
	v_cmp_eq_u32_e64 s16, v29, v30
	v_lshrrev_b32_e32 v29, v28, v4
	v_add_nc_u32_e32 v4, 0xffffff91, v5
	v_lshrrev_b32_e32 v5, 23, v29
	v_cndmask_b32_e64 v4, v4, 0xffffff92, vcc_lo
	v_xor_b32_e32 v5, 1, v5
	v_add_nc_u32_e32 v4, v28, v4
	v_bfe_u32 v28, v29, 21, 1
	v_add_nc_u32_e32 v28, -1, v28
	v_cndmask_b32_e64 v28, 0, v28, s16
	s_mov_b32 s16, exec_lo
	v_add_nc_u32_e32 v28, v28, v29
	v_and_b32_e32 v28, 0x1fffff, v28
	v_add_nc_u32_e32 v29, v28, v29
                                        ; implicit-def: $vgpr28
	v_cmpx_ne_u32_e64 v4, v5
	s_xor_b32 s16, exec_lo, s16
; %bb.6092:                             ;   in Loop: Header=BB6_6037 Depth=3
	v_cmp_lt_u32_e32 vcc_lo, 0xffffff, v29
	v_sub_nc_u32_e32 v4, v4, v5
	v_cndmask_b32_e64 v5, 0, 1, vcc_lo
	v_add_co_ci_u32_e64 v28, null, 0, v4, vcc_lo
	v_lshrrev_b32_e32 v29, v5, v29
; %bb.6093:                             ;   in Loop: Header=BB6_6037 Depth=3
	s_andn2_saveexec_b32 s16, s16
; %bb.6094:                             ;   in Loop: Header=BB6_6037 Depth=3
	v_bfe_u32 v28, v29, 23, 1
; %bb.6095:                             ;   in Loop: Header=BB6_6037 Depth=3
	s_or_b32 exec_lo, exec_lo, s16
	v_lshrrev_b32_e32 v4, 21, v29
	v_min_i32_e32 v5, 31, v28
	v_cmp_gt_i32_e32 vcc_lo, 32, v28
	v_and_b32_sdwa v1, v1, v60 dst_sel:DWORD dst_unused:UNUSED_PAD src0_sel:BYTE_3 src1_sel:DWORD
	v_lshlrev_b32_e32 v5, 2, v5
	v_cndmask_b32_e32 v4, 3, v4, vcc_lo
	v_and_b32_e32 v5, 0xfc, v5
	v_and_b32_e32 v29, 3, v4
	v_or_b32_e32 v4, v28, v4
	v_or3_b32 v1, v5, v1, v29
	v_cmp_ne_u32_e32 vcc_lo, 0, v4
	v_cndmask_b32_e32 v121, 0, v1, vcc_lo
.LBB6_6096:                             ;   in Loop: Header=BB6_6037 Depth=3
	s_or_b32 exec_lo, exec_lo, s22
.LBB6_6097:                             ;   in Loop: Header=BB6_6037 Depth=3
	s_or_b32 exec_lo, exec_lo, s19
	v_cmp_gt_i16_sdwa s19, v48, v59 src0_sel:BYTE_3 src1_sel:DWORD
	s_mov_b32 s16, 0
	s_and_saveexec_b32 s22, s19
	s_xor_b32 s19, exec_lo, s22
	s_cbranch_execz .LBB6_7327
; %bb.6098:                             ;   in Loop: Header=BB6_6037 Depth=3
	v_cmp_eq_u16_sdwa s23, v48, v60 src0_sel:BYTE_3 src1_sel:DWORD
	s_mov_b32 s16, -1
	s_and_saveexec_b32 s22, s23
; %bb.6099:                             ;   in Loop: Header=BB6_6037 Depth=3
	s_xor_b32 s16, exec_lo, -1
; %bb.6100:                             ;   in Loop: Header=BB6_6037 Depth=3
	s_or_b32 exec_lo, exec_lo, s22
	s_and_b32 s16, s16, exec_lo
	s_or_saveexec_b32 s19, s19
	v_mov_b32_e32 v1, 0x7f800001
	s_xor_b32 exec_lo, exec_lo, s19
	s_cbranch_execnz .LBB6_7328
.LBB6_6101:                             ;   in Loop: Header=BB6_6037 Depth=3
	s_or_b32 exec_lo, exec_lo, s19
	s_and_saveexec_b32 s19, s16
	s_cbranch_execz .LBB6_6103
.LBB6_6102:                             ;   in Loop: Header=BB6_6037 Depth=3
	v_bfe_u32 v1, v48, 24, 2
	v_bfe_u32 v28, v48, 26, 5
	v_ffbh_u32_e32 v4, v1
	v_cmp_eq_u32_e32 vcc_lo, 0, v28
	v_min_u32_e32 v4, 32, v4
	v_subrev_nc_u32_e32 v5, 29, v4
	v_sub_nc_u32_e32 v4, 30, v4
	v_lshlrev_b32_sdwa v5, v5, v48 dst_sel:DWORD dst_unused:UNUSED_PAD src0_sel:DWORD src1_sel:BYTE_3
	v_cndmask_b32_e32 v4, v28, v4, vcc_lo
	v_and_b32_e32 v5, 3, v5
	v_lshl_add_u32 v4, v4, 23, 0x37800000
	v_cndmask_b32_e32 v1, v1, v5, vcc_lo
	v_and_b32_e32 v5, 0x80000000, v48
	v_lshlrev_b32_e32 v1, 21, v1
	v_or3_b32 v1, v5, v4, v1
.LBB6_6103:                             ;   in Loop: Header=BB6_6037 Depth=3
	s_or_b32 exec_lo, exec_lo, s19
	v_cmp_gt_i16_sdwa s19, v36, v59 src0_sel:BYTE_3 src1_sel:DWORD
	s_mov_b32 s16, 0
	s_and_saveexec_b32 s22, s19
	s_xor_b32 s19, exec_lo, s22
	s_cbranch_execz .LBB6_7329
; %bb.6104:                             ;   in Loop: Header=BB6_6037 Depth=3
	v_cmp_eq_u16_sdwa s23, v36, v60 src0_sel:BYTE_3 src1_sel:DWORD
	s_mov_b32 s16, -1
	s_and_saveexec_b32 s22, s23
; %bb.6105:                             ;   in Loop: Header=BB6_6037 Depth=3
	s_xor_b32 s16, exec_lo, -1
; %bb.6106:                             ;   in Loop: Header=BB6_6037 Depth=3
	s_or_b32 exec_lo, exec_lo, s22
	s_and_b32 s16, s16, exec_lo
	s_or_saveexec_b32 s19, s19
	v_mov_b32_e32 v4, 0x7f800001
	s_xor_b32 exec_lo, exec_lo, s19
	s_cbranch_execnz .LBB6_7330
.LBB6_6107:                             ;   in Loop: Header=BB6_6037 Depth=3
	s_or_b32 exec_lo, exec_lo, s19
	s_and_saveexec_b32 s19, s16
	s_cbranch_execz .LBB6_6109
.LBB6_6108:                             ;   in Loop: Header=BB6_6037 Depth=3
	v_bfe_u32 v4, v36, 24, 2
	v_bfe_u32 v29, v36, 26, 5
	v_ffbh_u32_e32 v5, v4
	v_cmp_eq_u32_e32 vcc_lo, 0, v29
	v_min_u32_e32 v5, 32, v5
	v_subrev_nc_u32_e32 v28, 29, v5
	v_sub_nc_u32_e32 v5, 30, v5
	v_lshlrev_b32_sdwa v28, v28, v36 dst_sel:DWORD dst_unused:UNUSED_PAD src0_sel:DWORD src1_sel:BYTE_3
	v_cndmask_b32_e32 v5, v29, v5, vcc_lo
	v_and_b32_e32 v28, 3, v28
	v_lshl_add_u32 v5, v5, 23, 0x37800000
	v_cndmask_b32_e32 v4, v4, v28, vcc_lo
	v_and_b32_e32 v28, 0x80000000, v36
	v_lshlrev_b32_e32 v4, 21, v4
	v_or3_b32 v4, v28, v5, v4
.LBB6_6109:                             ;   in Loop: Header=BB6_6037 Depth=3
	s_or_b32 exec_lo, exec_lo, s19
	v_mul_f32_e32 v1, v1, v4
	v_mov_b32_e32 v36, 0x8000
	s_mov_b32 s19, exec_lo
	v_and_b32_e32 v4, 0x7f800000, v1
	v_cmpx_ne_u32_e32 0x7f800000, v4
	s_cbranch_execz .LBB6_6117
; %bb.6110:                             ;   in Loop: Header=BB6_6037 Depth=3
	v_mov_b32_e32 v36, 0
	s_mov_b32 s22, exec_lo
	v_cmpx_ne_u32_e32 0, v1
	s_cbranch_execz .LBB6_6116
; %bb.6111:                             ;   in Loop: Header=BB6_6037 Depth=3
	v_bfe_u32 v5, v1, 23, 8
	v_and_b32_e32 v4, 0x7fffff, v1
	v_cmp_gt_u32_e64 s16, 0x71, v5
	v_sub_nc_u32_e32 v28, 0x70, v5
	v_cmp_eq_u32_e32 vcc_lo, 0, v5
	v_or_b32_e32 v29, 0x800000, v4
	v_cndmask_b32_e64 v28, 0, v28, s16
	v_cndmask_b32_e32 v4, v29, v4, vcc_lo
	v_cndmask_b32_e64 v28, v28, 0x6f, vcc_lo
	v_lshl_add_u32 v29, 0x200000, v28, -1
	v_lshlrev_b32_e64 v30, v28, 0x100000
	v_and_b32_e32 v29, v29, v4
	v_cmp_eq_u32_e64 s16, v29, v30
	v_lshrrev_b32_e32 v29, v28, v4
	v_add_nc_u32_e32 v4, 0xffffff91, v5
	v_lshrrev_b32_e32 v5, 23, v29
	v_cndmask_b32_e64 v4, v4, 0xffffff92, vcc_lo
	v_xor_b32_e32 v5, 1, v5
	v_add_nc_u32_e32 v4, v28, v4
	v_bfe_u32 v28, v29, 21, 1
	v_add_nc_u32_e32 v28, -1, v28
	v_cndmask_b32_e64 v28, 0, v28, s16
	s_mov_b32 s16, exec_lo
	v_add_nc_u32_e32 v28, v28, v29
	v_and_b32_e32 v28, 0x1fffff, v28
	v_add_nc_u32_e32 v29, v28, v29
                                        ; implicit-def: $vgpr28
	v_cmpx_ne_u32_e64 v4, v5
	s_xor_b32 s16, exec_lo, s16
; %bb.6112:                             ;   in Loop: Header=BB6_6037 Depth=3
	v_cmp_lt_u32_e32 vcc_lo, 0xffffff, v29
	v_sub_nc_u32_e32 v4, v4, v5
	v_cndmask_b32_e64 v5, 0, 1, vcc_lo
	v_add_co_ci_u32_e64 v28, null, 0, v4, vcc_lo
	v_lshrrev_b32_e32 v29, v5, v29
; %bb.6113:                             ;   in Loop: Header=BB6_6037 Depth=3
	s_andn2_saveexec_b32 s16, s16
; %bb.6114:                             ;   in Loop: Header=BB6_6037 Depth=3
	v_bfe_u32 v28, v29, 23, 1
; %bb.6115:                             ;   in Loop: Header=BB6_6037 Depth=3
	s_or_b32 exec_lo, exec_lo, s16
	v_lshrrev_b32_e32 v4, 21, v29
	v_min_i32_e32 v5, 31, v28
	v_cmp_gt_i32_e32 vcc_lo, 32, v28
	v_and_b32_sdwa v1, v1, v60 dst_sel:DWORD dst_unused:UNUSED_PAD src0_sel:BYTE_3 src1_sel:DWORD
	v_lshlrev_b32_e32 v5, 2, v5
	v_cndmask_b32_e32 v4, 3, v4, vcc_lo
	v_and_b32_e32 v5, 0xfc, v5
	v_and_b32_e32 v29, 3, v4
	v_or_b32_e32 v4, v28, v4
	v_or3_b32 v1, v1, v5, v29
	v_cmp_ne_u32_e32 vcc_lo, 0, v4
	v_lshlrev_b32_e32 v1, 8, v1
	v_cndmask_b32_e32 v36, 0, v1, vcc_lo
.LBB6_6116:                             ;   in Loop: Header=BB6_6037 Depth=3
	s_or_b32 exec_lo, exec_lo, s22
.LBB6_6117:                             ;   in Loop: Header=BB6_6037 Depth=3
	s_or_b32 exec_lo, exec_lo, s19
	v_cmp_gt_i16_sdwa s19, v49, v59 src0_sel:BYTE_0 src1_sel:DWORD
	s_mov_b32 s16, 0
	s_and_saveexec_b32 s22, s19
	s_xor_b32 s19, exec_lo, s22
	s_cbranch_execz .LBB6_7331
; %bb.6118:                             ;   in Loop: Header=BB6_6037 Depth=3
	v_cmp_eq_u16_sdwa s23, v49, v60 src0_sel:BYTE_0 src1_sel:DWORD
	s_mov_b32 s16, -1
	s_and_saveexec_b32 s22, s23
; %bb.6119:                             ;   in Loop: Header=BB6_6037 Depth=3
	s_xor_b32 s16, exec_lo, -1
; %bb.6120:                             ;   in Loop: Header=BB6_6037 Depth=3
	s_or_b32 exec_lo, exec_lo, s22
	s_and_b32 s16, s16, exec_lo
	s_or_saveexec_b32 s19, s19
	v_mov_b32_e32 v1, 0x7f800001
	s_xor_b32 exec_lo, exec_lo, s19
	s_cbranch_execnz .LBB6_7332
.LBB6_6121:                             ;   in Loop: Header=BB6_6037 Depth=3
	s_or_b32 exec_lo, exec_lo, s19
	s_and_saveexec_b32 s19, s16
	s_cbranch_execz .LBB6_6123
.LBB6_6122:                             ;   in Loop: Header=BB6_6037 Depth=3
	v_and_b32_e32 v1, 3, v49
	v_bfe_u32 v28, v49, 2, 5
	v_lshlrev_b32_e32 v29, 24, v49
	v_ffbh_u32_e32 v4, v1
	v_cmp_eq_u32_e32 vcc_lo, 0, v28
	v_min_u32_e32 v4, 32, v4
	v_subrev_nc_u32_e32 v5, 29, v4
	v_sub_nc_u32_e32 v4, 30, v4
	v_lshlrev_b32_e32 v5, v5, v49
	v_cndmask_b32_e32 v4, v28, v4, vcc_lo
	v_and_b32_e32 v5, 3, v5
	v_lshl_add_u32 v4, v4, 23, 0x37800000
	v_cndmask_b32_e32 v1, v1, v5, vcc_lo
	v_and_b32_e32 v5, 0x80000000, v29
	v_lshlrev_b32_e32 v1, 21, v1
	v_or3_b32 v1, v5, v4, v1
.LBB6_6123:                             ;   in Loop: Header=BB6_6037 Depth=3
	s_or_b32 exec_lo, exec_lo, s19
	v_cmp_gt_i16_sdwa s16, v37, v59 src0_sel:BYTE_0 src1_sel:DWORD
	s_mov_b32 s19, 0
	s_and_saveexec_b32 s22, s16
	s_xor_b32 s16, exec_lo, s22
	s_cbranch_execz .LBB6_7333
; %bb.6124:                             ;   in Loop: Header=BB6_6037 Depth=3
	v_cmp_eq_u16_sdwa s23, v37, v60 src0_sel:BYTE_0 src1_sel:DWORD
	s_mov_b32 s19, -1
	s_and_saveexec_b32 s22, s23
; %bb.6125:                             ;   in Loop: Header=BB6_6037 Depth=3
	s_xor_b32 s19, exec_lo, -1
; %bb.6126:                             ;   in Loop: Header=BB6_6037 Depth=3
	s_or_b32 exec_lo, exec_lo, s22
	s_and_b32 s19, s19, exec_lo
	s_or_saveexec_b32 s16, s16
	v_mov_b32_e32 v4, 0x7f800001
	s_xor_b32 exec_lo, exec_lo, s16
	s_cbranch_execnz .LBB6_7334
.LBB6_6127:                             ;   in Loop: Header=BB6_6037 Depth=3
	s_or_b32 exec_lo, exec_lo, s16
	s_and_saveexec_b32 s16, s19
	s_cbranch_execz .LBB6_6129
.LBB6_6128:                             ;   in Loop: Header=BB6_6037 Depth=3
	v_and_b32_e32 v4, 3, v37
	v_bfe_u32 v5, v37, 2, 5
	v_ffbh_u32_e32 v28, v4
	v_cmp_eq_u32_e32 vcc_lo, 0, v5
	v_min_u32_e32 v28, 32, v28
	v_subrev_nc_u32_e32 v29, 29, v28
	v_sub_nc_u32_e32 v28, 30, v28
	v_lshlrev_b32_e32 v29, v29, v37
	v_cndmask_b32_e32 v5, v5, v28, vcc_lo
	v_lshlrev_b32_e32 v28, 24, v37
	v_and_b32_e32 v29, 3, v29
	v_lshl_add_u32 v5, v5, 23, 0x37800000
	v_and_b32_e32 v28, 0x80000000, v28
	v_cndmask_b32_e32 v4, v4, v29, vcc_lo
	v_lshlrev_b32_e32 v4, 21, v4
	v_or3_b32 v4, v28, v5, v4
.LBB6_6129:                             ;   in Loop: Header=BB6_6037 Depth=3
	s_or_b32 exec_lo, exec_lo, s16
	v_mul_f32_e32 v1, v1, v4
	v_mov_b32_e32 v48, 0x80
	s_mov_b32 s19, exec_lo
	v_and_b32_e32 v4, 0x7f800000, v1
	v_cmpx_ne_u32_e32 0x7f800000, v4
	s_cbranch_execz .LBB6_6137
; %bb.6130:                             ;   in Loop: Header=BB6_6037 Depth=3
	v_mov_b32_e32 v48, 0
	s_mov_b32 s22, exec_lo
	v_cmpx_ne_u32_e32 0, v1
	s_cbranch_execz .LBB6_6136
; %bb.6131:                             ;   in Loop: Header=BB6_6037 Depth=3
	v_bfe_u32 v5, v1, 23, 8
	v_and_b32_e32 v4, 0x7fffff, v1
	v_cmp_gt_u32_e64 s16, 0x71, v5
	v_sub_nc_u32_e32 v28, 0x70, v5
	v_cmp_eq_u32_e32 vcc_lo, 0, v5
	v_or_b32_e32 v29, 0x800000, v4
	v_cndmask_b32_e64 v28, 0, v28, s16
	v_cndmask_b32_e32 v4, v29, v4, vcc_lo
	v_cndmask_b32_e64 v28, v28, 0x6f, vcc_lo
	v_lshl_add_u32 v29, 0x200000, v28, -1
	v_lshlrev_b32_e64 v30, v28, 0x100000
	v_and_b32_e32 v29, v29, v4
	v_cmp_eq_u32_e64 s16, v29, v30
	v_lshrrev_b32_e32 v29, v28, v4
	v_add_nc_u32_e32 v4, 0xffffff91, v5
	v_lshrrev_b32_e32 v5, 23, v29
	v_cndmask_b32_e64 v4, v4, 0xffffff92, vcc_lo
	v_xor_b32_e32 v5, 1, v5
	v_add_nc_u32_e32 v4, v28, v4
	v_bfe_u32 v28, v29, 21, 1
	v_add_nc_u32_e32 v28, -1, v28
	v_cndmask_b32_e64 v28, 0, v28, s16
	s_mov_b32 s16, exec_lo
	v_add_nc_u32_e32 v28, v28, v29
	v_and_b32_e32 v28, 0x1fffff, v28
	v_add_nc_u32_e32 v29, v28, v29
                                        ; implicit-def: $vgpr28
	v_cmpx_ne_u32_e64 v4, v5
	s_xor_b32 s16, exec_lo, s16
; %bb.6132:                             ;   in Loop: Header=BB6_6037 Depth=3
	v_cmp_lt_u32_e32 vcc_lo, 0xffffff, v29
	v_sub_nc_u32_e32 v4, v4, v5
	v_cndmask_b32_e64 v5, 0, 1, vcc_lo
	v_add_co_ci_u32_e64 v28, null, 0, v4, vcc_lo
	v_lshrrev_b32_e32 v29, v5, v29
; %bb.6133:                             ;   in Loop: Header=BB6_6037 Depth=3
	s_andn2_saveexec_b32 s16, s16
; %bb.6134:                             ;   in Loop: Header=BB6_6037 Depth=3
	v_bfe_u32 v28, v29, 23, 1
; %bb.6135:                             ;   in Loop: Header=BB6_6037 Depth=3
	s_or_b32 exec_lo, exec_lo, s16
	v_lshrrev_b32_e32 v4, 21, v29
	v_min_i32_e32 v5, 31, v28
	v_cmp_gt_i32_e32 vcc_lo, 32, v28
	v_and_b32_sdwa v1, v1, v60 dst_sel:DWORD dst_unused:UNUSED_PAD src0_sel:BYTE_3 src1_sel:DWORD
	v_lshlrev_b32_e32 v5, 2, v5
	v_cndmask_b32_e32 v4, 3, v4, vcc_lo
	v_and_b32_e32 v5, 0xfc, v5
	v_and_b32_e32 v29, 3, v4
	v_or_b32_e32 v4, v28, v4
	v_or3_b32 v1, v5, v1, v29
	v_cmp_ne_u32_e32 vcc_lo, 0, v4
	v_cndmask_b32_e32 v48, 0, v1, vcc_lo
.LBB6_6136:                             ;   in Loop: Header=BB6_6037 Depth=3
	s_or_b32 exec_lo, exec_lo, s22
.LBB6_6137:                             ;   in Loop: Header=BB6_6037 Depth=3
	s_or_b32 exec_lo, exec_lo, s19
	v_cmp_gt_i16_sdwa s16, v49, v59 src0_sel:BYTE_1 src1_sel:DWORD
	s_mov_b32 s19, 0
	s_and_saveexec_b32 s22, s16
	s_xor_b32 s16, exec_lo, s22
	s_cbranch_execz .LBB6_7335
; %bb.6138:                             ;   in Loop: Header=BB6_6037 Depth=3
	v_cmp_eq_u16_sdwa s23, v49, v60 src0_sel:BYTE_1 src1_sel:DWORD
	s_mov_b32 s19, -1
	s_and_saveexec_b32 s22, s23
; %bb.6139:                             ;   in Loop: Header=BB6_6037 Depth=3
	s_xor_b32 s19, exec_lo, -1
; %bb.6140:                             ;   in Loop: Header=BB6_6037 Depth=3
	s_or_b32 exec_lo, exec_lo, s22
	s_and_b32 s19, s19, exec_lo
	s_or_saveexec_b32 s16, s16
	v_mov_b32_e32 v1, 0x7f800001
	s_xor_b32 exec_lo, exec_lo, s16
	s_cbranch_execnz .LBB6_7336
.LBB6_6141:                             ;   in Loop: Header=BB6_6037 Depth=3
	s_or_b32 exec_lo, exec_lo, s16
	s_and_saveexec_b32 s16, s19
	s_cbranch_execz .LBB6_6143
.LBB6_6142:                             ;   in Loop: Header=BB6_6037 Depth=3
	v_and_b32_sdwa v1, v61, v49 dst_sel:DWORD dst_unused:UNUSED_PAD src0_sel:DWORD src1_sel:BYTE_1
	v_and_b32_e32 v4, 3, v1
	v_bfe_u32 v29, v1, 2, 5
	v_ffbh_u32_e32 v5, v4
	v_cmp_eq_u32_e32 vcc_lo, 0, v29
	v_min_u32_e32 v5, 32, v5
	v_subrev_nc_u32_e32 v28, 29, v5
	v_sub_nc_u32_e32 v5, 30, v5
	v_lshlrev_b32_e32 v1, v28, v1
	v_lshlrev_b32_sdwa v28, v62, v49 dst_sel:DWORD dst_unused:UNUSED_PAD src0_sel:DWORD src1_sel:BYTE_1
	v_cndmask_b32_e32 v5, v29, v5, vcc_lo
	v_and_b32_e32 v1, 3, v1
	v_lshl_add_u32 v5, v5, 23, 0x37800000
	v_cndmask_b32_e32 v1, v4, v1, vcc_lo
	v_and_b32_e32 v4, 0x80000000, v28
	v_lshlrev_b32_e32 v1, 21, v1
	v_or3_b32 v1, v4, v5, v1
.LBB6_6143:                             ;   in Loop: Header=BB6_6037 Depth=3
	s_or_b32 exec_lo, exec_lo, s16
	v_cmp_gt_i16_sdwa s16, v37, v59 src0_sel:BYTE_1 src1_sel:DWORD
	s_mov_b32 s19, 0
	s_and_saveexec_b32 s22, s16
	s_xor_b32 s16, exec_lo, s22
	s_cbranch_execz .LBB6_7337
; %bb.6144:                             ;   in Loop: Header=BB6_6037 Depth=3
	v_cmp_eq_u16_sdwa s23, v37, v60 src0_sel:BYTE_1 src1_sel:DWORD
	s_mov_b32 s19, -1
	s_and_saveexec_b32 s22, s23
; %bb.6145:                             ;   in Loop: Header=BB6_6037 Depth=3
	s_xor_b32 s19, exec_lo, -1
; %bb.6146:                             ;   in Loop: Header=BB6_6037 Depth=3
	s_or_b32 exec_lo, exec_lo, s22
	s_and_b32 s19, s19, exec_lo
	s_or_saveexec_b32 s16, s16
	v_mov_b32_e32 v4, 0x7f800001
	s_xor_b32 exec_lo, exec_lo, s16
	s_cbranch_execnz .LBB6_7338
.LBB6_6147:                             ;   in Loop: Header=BB6_6037 Depth=3
	s_or_b32 exec_lo, exec_lo, s16
	s_and_saveexec_b32 s16, s19
	s_cbranch_execz .LBB6_6149
.LBB6_6148:                             ;   in Loop: Header=BB6_6037 Depth=3
	v_and_b32_sdwa v4, v61, v37 dst_sel:DWORD dst_unused:UNUSED_PAD src0_sel:DWORD src1_sel:BYTE_1
	v_and_b32_e32 v5, 3, v4
	v_bfe_u32 v30, v4, 2, 5
	v_ffbh_u32_e32 v28, v5
	v_cmp_eq_u32_e32 vcc_lo, 0, v30
	v_min_u32_e32 v28, 32, v28
	v_subrev_nc_u32_e32 v29, 29, v28
	v_sub_nc_u32_e32 v28, 30, v28
	v_lshlrev_b32_e32 v4, v29, v4
	v_lshlrev_b32_sdwa v29, v62, v37 dst_sel:DWORD dst_unused:UNUSED_PAD src0_sel:DWORD src1_sel:BYTE_1
	v_cndmask_b32_e32 v28, v30, v28, vcc_lo
	v_and_b32_e32 v4, 3, v4
	v_lshl_add_u32 v28, v28, 23, 0x37800000
	v_cndmask_b32_e32 v4, v5, v4, vcc_lo
	v_and_b32_e32 v5, 0x80000000, v29
	v_lshlrev_b32_e32 v4, 21, v4
	v_or3_b32 v4, v5, v28, v4
.LBB6_6149:                             ;   in Loop: Header=BB6_6037 Depth=3
	s_or_b32 exec_lo, exec_lo, s16
	v_mul_f32_e32 v1, v1, v4
	v_mov_b32_e32 v122, 0x8000
	s_mov_b32 s19, exec_lo
	v_and_b32_e32 v4, 0x7f800000, v1
	v_cmpx_ne_u32_e32 0x7f800000, v4
	s_cbranch_execz .LBB6_6157
; %bb.6150:                             ;   in Loop: Header=BB6_6037 Depth=3
	v_mov_b32_e32 v122, 0
	s_mov_b32 s22, exec_lo
	v_cmpx_ne_u32_e32 0, v1
	s_cbranch_execz .LBB6_6156
; %bb.6151:                             ;   in Loop: Header=BB6_6037 Depth=3
	v_bfe_u32 v5, v1, 23, 8
	v_and_b32_e32 v4, 0x7fffff, v1
	v_cmp_gt_u32_e64 s16, 0x71, v5
	v_sub_nc_u32_e32 v28, 0x70, v5
	v_cmp_eq_u32_e32 vcc_lo, 0, v5
	v_or_b32_e32 v29, 0x800000, v4
	v_cndmask_b32_e64 v28, 0, v28, s16
	v_cndmask_b32_e32 v4, v29, v4, vcc_lo
	v_cndmask_b32_e64 v28, v28, 0x6f, vcc_lo
	v_lshl_add_u32 v29, 0x200000, v28, -1
	v_lshlrev_b32_e64 v30, v28, 0x100000
	v_and_b32_e32 v29, v29, v4
	v_cmp_eq_u32_e64 s16, v29, v30
	v_lshrrev_b32_e32 v29, v28, v4
	v_add_nc_u32_e32 v4, 0xffffff91, v5
	v_lshrrev_b32_e32 v5, 23, v29
	v_cndmask_b32_e64 v4, v4, 0xffffff92, vcc_lo
	v_xor_b32_e32 v5, 1, v5
	v_add_nc_u32_e32 v4, v28, v4
	v_bfe_u32 v28, v29, 21, 1
	v_add_nc_u32_e32 v28, -1, v28
	v_cndmask_b32_e64 v28, 0, v28, s16
	s_mov_b32 s16, exec_lo
	v_add_nc_u32_e32 v28, v28, v29
	v_and_b32_e32 v28, 0x1fffff, v28
	v_add_nc_u32_e32 v28, v28, v29
                                        ; implicit-def: $vgpr29
	v_cmpx_ne_u32_e64 v4, v5
	s_xor_b32 s16, exec_lo, s16
; %bb.6152:                             ;   in Loop: Header=BB6_6037 Depth=3
	v_cmp_lt_u32_e32 vcc_lo, 0xffffff, v28
	v_sub_nc_u32_e32 v4, v4, v5
	v_cndmask_b32_e64 v5, 0, 1, vcc_lo
	v_add_co_ci_u32_e64 v29, null, 0, v4, vcc_lo
	v_lshrrev_b32_e32 v28, v5, v28
; %bb.6153:                             ;   in Loop: Header=BB6_6037 Depth=3
	s_andn2_saveexec_b32 s16, s16
; %bb.6154:                             ;   in Loop: Header=BB6_6037 Depth=3
	v_bfe_u32 v29, v28, 23, 1
; %bb.6155:                             ;   in Loop: Header=BB6_6037 Depth=3
	s_or_b32 exec_lo, exec_lo, s16
	v_lshrrev_b32_e32 v4, 21, v28
	v_min_i32_e32 v5, 31, v29
	v_cmp_gt_i32_e32 vcc_lo, 32, v29
	v_and_b32_sdwa v1, v1, v60 dst_sel:DWORD dst_unused:UNUSED_PAD src0_sel:BYTE_3 src1_sel:DWORD
	v_lshlrev_b32_e32 v5, 2, v5
	v_cndmask_b32_e32 v4, 3, v4, vcc_lo
	v_and_b32_e32 v5, 0xfc, v5
	v_or_b32_e32 v28, v29, v4
	v_and_b32_e32 v4, 3, v4
	v_cmp_ne_u32_e32 vcc_lo, 0, v28
	v_or3_b32 v1, v1, v5, v4
	v_lshlrev_b32_e32 v1, 8, v1
	v_cndmask_b32_e32 v122, 0, v1, vcc_lo
.LBB6_6156:                             ;   in Loop: Header=BB6_6037 Depth=3
	s_or_b32 exec_lo, exec_lo, s22
.LBB6_6157:                             ;   in Loop: Header=BB6_6037 Depth=3
	s_or_b32 exec_lo, exec_lo, s19
	v_and_b32_sdwa v4, v49, v63 dst_sel:DWORD dst_unused:UNUSED_PAD src0_sel:WORD_1 src1_sel:DWORD
	s_mov_b32 s19, 0
	s_mov_b32 s16, exec_lo
	v_cmpx_lt_i16_e32 0x7f, v4
	s_xor_b32 s16, exec_lo, s16
	s_cbranch_execz .LBB6_7339
; %bb.6158:                             ;   in Loop: Header=BB6_6037 Depth=3
	s_mov_b32 s19, -1
	s_mov_b32 s22, exec_lo
	v_cmpx_eq_u16_e32 0x80, v4
; %bb.6159:                             ;   in Loop: Header=BB6_6037 Depth=3
	s_xor_b32 s19, exec_lo, -1
; %bb.6160:                             ;   in Loop: Header=BB6_6037 Depth=3
	s_or_b32 exec_lo, exec_lo, s22
	s_and_b32 s19, s19, exec_lo
                                        ; implicit-def: $vgpr4
	s_or_saveexec_b32 s16, s16
	v_mov_b32_e32 v1, 0x7f800001
	s_xor_b32 exec_lo, exec_lo, s16
	s_cbranch_execnz .LBB6_7340
.LBB6_6161:                             ;   in Loop: Header=BB6_6037 Depth=3
	s_or_b32 exec_lo, exec_lo, s16
	s_and_saveexec_b32 s16, s19
	s_cbranch_execz .LBB6_6163
.LBB6_6162:                             ;   in Loop: Header=BB6_6037 Depth=3
	v_bfe_u32 v1, v49, 16, 2
	v_bfe_u32 v4, v49, 18, 5
	v_ffbh_u32_e32 v5, v1
	v_cmp_eq_u32_e32 vcc_lo, 0, v4
	v_min_u32_e32 v5, 32, v5
	v_subrev_nc_u32_e32 v28, 29, v5
	v_sub_nc_u32_e32 v5, 30, v5
	v_lshlrev_b32_sdwa v28, v28, v49 dst_sel:DWORD dst_unused:UNUSED_PAD src0_sel:DWORD src1_sel:WORD_1
	v_cndmask_b32_e32 v4, v4, v5, vcc_lo
	v_lshlrev_b32_e32 v5, 8, v49
	v_and_b32_e32 v28, 3, v28
	v_lshl_add_u32 v4, v4, 23, 0x37800000
	v_and_b32_e32 v5, 0x80000000, v5
	v_cndmask_b32_e32 v1, v1, v28, vcc_lo
	v_lshlrev_b32_e32 v1, 21, v1
	v_or3_b32 v1, v5, v4, v1
.LBB6_6163:                             ;   in Loop: Header=BB6_6037 Depth=3
	s_or_b32 exec_lo, exec_lo, s16
	v_and_b32_sdwa v5, v37, v63 dst_sel:DWORD dst_unused:UNUSED_PAD src0_sel:WORD_1 src1_sel:DWORD
	s_mov_b32 s19, 0
	s_mov_b32 s16, exec_lo
	v_cmpx_lt_i16_e32 0x7f, v5
	s_xor_b32 s16, exec_lo, s16
	s_cbranch_execz .LBB6_7341
; %bb.6164:                             ;   in Loop: Header=BB6_6037 Depth=3
	s_mov_b32 s19, -1
	s_mov_b32 s22, exec_lo
	v_cmpx_eq_u16_e32 0x80, v5
; %bb.6165:                             ;   in Loop: Header=BB6_6037 Depth=3
	s_xor_b32 s19, exec_lo, -1
; %bb.6166:                             ;   in Loop: Header=BB6_6037 Depth=3
	s_or_b32 exec_lo, exec_lo, s22
	s_and_b32 s19, s19, exec_lo
                                        ; implicit-def: $vgpr5
	s_or_saveexec_b32 s16, s16
	v_mov_b32_e32 v4, 0x7f800001
	s_xor_b32 exec_lo, exec_lo, s16
	s_cbranch_execnz .LBB6_7342
.LBB6_6167:                             ;   in Loop: Header=BB6_6037 Depth=3
	s_or_b32 exec_lo, exec_lo, s16
	s_and_saveexec_b32 s16, s19
	s_cbranch_execz .LBB6_6169
.LBB6_6168:                             ;   in Loop: Header=BB6_6037 Depth=3
	v_bfe_u32 v4, v37, 16, 2
	v_bfe_u32 v5, v37, 18, 5
	v_ffbh_u32_e32 v28, v4
	v_cmp_eq_u32_e32 vcc_lo, 0, v5
	v_min_u32_e32 v28, 32, v28
	v_subrev_nc_u32_e32 v29, 29, v28
	v_sub_nc_u32_e32 v28, 30, v28
	v_lshlrev_b32_sdwa v29, v29, v37 dst_sel:DWORD dst_unused:UNUSED_PAD src0_sel:DWORD src1_sel:WORD_1
	v_cndmask_b32_e32 v5, v5, v28, vcc_lo
	v_lshlrev_b32_e32 v28, 8, v37
	v_and_b32_e32 v29, 3, v29
	v_lshl_add_u32 v5, v5, 23, 0x37800000
	v_and_b32_e32 v28, 0x80000000, v28
	v_cndmask_b32_e32 v4, v4, v29, vcc_lo
	v_lshlrev_b32_e32 v4, 21, v4
	v_or3_b32 v4, v28, v5, v4
.LBB6_6169:                             ;   in Loop: Header=BB6_6037 Depth=3
	s_or_b32 exec_lo, exec_lo, s16
	v_mul_f32_e32 v1, v1, v4
	v_mov_b32_e32 v52, 0x80
	s_mov_b32 s19, exec_lo
	v_and_b32_e32 v4, 0x7f800000, v1
	v_cmpx_ne_u32_e32 0x7f800000, v4
	s_cbranch_execz .LBB6_6177
; %bb.6170:                             ;   in Loop: Header=BB6_6037 Depth=3
	v_mov_b32_e32 v52, 0
	s_mov_b32 s22, exec_lo
	v_cmpx_ne_u32_e32 0, v1
	s_cbranch_execz .LBB6_6176
; %bb.6171:                             ;   in Loop: Header=BB6_6037 Depth=3
	v_bfe_u32 v5, v1, 23, 8
	v_and_b32_e32 v4, 0x7fffff, v1
	v_cmp_gt_u32_e64 s16, 0x71, v5
	v_sub_nc_u32_e32 v28, 0x70, v5
	v_cmp_eq_u32_e32 vcc_lo, 0, v5
	v_or_b32_e32 v29, 0x800000, v4
	v_cndmask_b32_e64 v28, 0, v28, s16
	v_cndmask_b32_e32 v4, v29, v4, vcc_lo
	v_cndmask_b32_e64 v28, v28, 0x6f, vcc_lo
	v_lshl_add_u32 v29, 0x200000, v28, -1
	v_lshlrev_b32_e64 v30, v28, 0x100000
	v_and_b32_e32 v29, v29, v4
	v_cmp_eq_u32_e64 s16, v29, v30
	v_lshrrev_b32_e32 v29, v28, v4
	v_add_nc_u32_e32 v4, 0xffffff91, v5
	v_lshrrev_b32_e32 v5, 23, v29
	v_cndmask_b32_e64 v4, v4, 0xffffff92, vcc_lo
	v_xor_b32_e32 v5, 1, v5
	v_add_nc_u32_e32 v4, v28, v4
	v_bfe_u32 v28, v29, 21, 1
	v_add_nc_u32_e32 v28, -1, v28
	v_cndmask_b32_e64 v28, 0, v28, s16
	s_mov_b32 s16, exec_lo
	v_add_nc_u32_e32 v28, v28, v29
	v_and_b32_e32 v28, 0x1fffff, v28
	v_add_nc_u32_e32 v28, v28, v29
                                        ; implicit-def: $vgpr29
	v_cmpx_ne_u32_e64 v4, v5
	s_xor_b32 s16, exec_lo, s16
; %bb.6172:                             ;   in Loop: Header=BB6_6037 Depth=3
	v_cmp_lt_u32_e32 vcc_lo, 0xffffff, v28
	v_sub_nc_u32_e32 v4, v4, v5
	v_cndmask_b32_e64 v5, 0, 1, vcc_lo
	v_add_co_ci_u32_e64 v29, null, 0, v4, vcc_lo
	v_lshrrev_b32_e32 v28, v5, v28
; %bb.6173:                             ;   in Loop: Header=BB6_6037 Depth=3
	s_andn2_saveexec_b32 s16, s16
; %bb.6174:                             ;   in Loop: Header=BB6_6037 Depth=3
	v_bfe_u32 v29, v28, 23, 1
; %bb.6175:                             ;   in Loop: Header=BB6_6037 Depth=3
	s_or_b32 exec_lo, exec_lo, s16
	v_lshrrev_b32_e32 v4, 21, v28
	v_min_i32_e32 v5, 31, v29
	v_cmp_gt_i32_e32 vcc_lo, 32, v29
	v_and_b32_sdwa v1, v1, v60 dst_sel:DWORD dst_unused:UNUSED_PAD src0_sel:BYTE_3 src1_sel:DWORD
	v_lshlrev_b32_e32 v5, 2, v5
	v_cndmask_b32_e32 v4, 3, v4, vcc_lo
	v_and_b32_e32 v5, 0xfc, v5
	v_or_b32_e32 v28, v29, v4
	v_and_b32_e32 v4, 3, v4
	v_cmp_ne_u32_e32 vcc_lo, 0, v28
	v_or3_b32 v1, v5, v1, v4
	v_cndmask_b32_e32 v52, 0, v1, vcc_lo
.LBB6_6176:                             ;   in Loop: Header=BB6_6037 Depth=3
	s_or_b32 exec_lo, exec_lo, s22
.LBB6_6177:                             ;   in Loop: Header=BB6_6037 Depth=3
	s_or_b32 exec_lo, exec_lo, s19
	v_cmp_gt_i16_sdwa s16, v49, v59 src0_sel:BYTE_3 src1_sel:DWORD
	s_mov_b32 s19, 0
	s_and_saveexec_b32 s22, s16
	s_xor_b32 s16, exec_lo, s22
	s_cbranch_execz .LBB6_7343
; %bb.6178:                             ;   in Loop: Header=BB6_6037 Depth=3
	v_cmp_eq_u16_sdwa s23, v49, v60 src0_sel:BYTE_3 src1_sel:DWORD
	s_mov_b32 s19, -1
	s_and_saveexec_b32 s22, s23
; %bb.6179:                             ;   in Loop: Header=BB6_6037 Depth=3
	s_xor_b32 s19, exec_lo, -1
; %bb.6180:                             ;   in Loop: Header=BB6_6037 Depth=3
	s_or_b32 exec_lo, exec_lo, s22
	s_and_b32 s19, s19, exec_lo
	s_or_saveexec_b32 s16, s16
	v_mov_b32_e32 v1, 0x7f800001
	s_xor_b32 exec_lo, exec_lo, s16
	s_cbranch_execnz .LBB6_7344
.LBB6_6181:                             ;   in Loop: Header=BB6_6037 Depth=3
	s_or_b32 exec_lo, exec_lo, s16
	s_and_saveexec_b32 s16, s19
	s_cbranch_execz .LBB6_6183
.LBB6_6182:                             ;   in Loop: Header=BB6_6037 Depth=3
	v_bfe_u32 v1, v49, 24, 2
	v_bfe_u32 v28, v49, 26, 5
	v_ffbh_u32_e32 v4, v1
	v_cmp_eq_u32_e32 vcc_lo, 0, v28
	v_min_u32_e32 v4, 32, v4
	v_subrev_nc_u32_e32 v5, 29, v4
	v_sub_nc_u32_e32 v4, 30, v4
	v_lshlrev_b32_sdwa v5, v5, v49 dst_sel:DWORD dst_unused:UNUSED_PAD src0_sel:DWORD src1_sel:BYTE_3
	v_cndmask_b32_e32 v4, v28, v4, vcc_lo
	v_and_b32_e32 v5, 3, v5
	v_lshl_add_u32 v4, v4, 23, 0x37800000
	v_cndmask_b32_e32 v1, v1, v5, vcc_lo
	v_and_b32_e32 v5, 0x80000000, v49
	v_lshlrev_b32_e32 v1, 21, v1
	v_or3_b32 v1, v5, v4, v1
.LBB6_6183:                             ;   in Loop: Header=BB6_6037 Depth=3
	s_or_b32 exec_lo, exec_lo, s16
	v_cmp_gt_i16_sdwa s16, v37, v59 src0_sel:BYTE_3 src1_sel:DWORD
	s_mov_b32 s19, 0
	s_and_saveexec_b32 s22, s16
	s_xor_b32 s16, exec_lo, s22
	s_cbranch_execz .LBB6_7345
; %bb.6184:                             ;   in Loop: Header=BB6_6037 Depth=3
	v_cmp_eq_u16_sdwa s23, v37, v60 src0_sel:BYTE_3 src1_sel:DWORD
	s_mov_b32 s19, -1
	s_and_saveexec_b32 s22, s23
; %bb.6185:                             ;   in Loop: Header=BB6_6037 Depth=3
	s_xor_b32 s19, exec_lo, -1
; %bb.6186:                             ;   in Loop: Header=BB6_6037 Depth=3
	s_or_b32 exec_lo, exec_lo, s22
	s_and_b32 s19, s19, exec_lo
	s_or_saveexec_b32 s16, s16
	v_mov_b32_e32 v4, 0x7f800001
	s_xor_b32 exec_lo, exec_lo, s16
	s_cbranch_execnz .LBB6_7346
.LBB6_6187:                             ;   in Loop: Header=BB6_6037 Depth=3
	s_or_b32 exec_lo, exec_lo, s16
	s_and_saveexec_b32 s16, s19
	s_cbranch_execz .LBB6_6189
.LBB6_6188:                             ;   in Loop: Header=BB6_6037 Depth=3
	v_bfe_u32 v4, v37, 24, 2
	v_bfe_u32 v29, v37, 26, 5
	v_ffbh_u32_e32 v5, v4
	v_cmp_eq_u32_e32 vcc_lo, 0, v29
	v_min_u32_e32 v5, 32, v5
	v_subrev_nc_u32_e32 v28, 29, v5
	v_sub_nc_u32_e32 v5, 30, v5
	v_lshlrev_b32_sdwa v28, v28, v37 dst_sel:DWORD dst_unused:UNUSED_PAD src0_sel:DWORD src1_sel:BYTE_3
	v_cndmask_b32_e32 v5, v29, v5, vcc_lo
	v_and_b32_e32 v28, 3, v28
	v_lshl_add_u32 v5, v5, 23, 0x37800000
	v_cndmask_b32_e32 v4, v4, v28, vcc_lo
	v_and_b32_e32 v28, 0x80000000, v37
	v_lshlrev_b32_e32 v4, 21, v4
	v_or3_b32 v4, v28, v5, v4
.LBB6_6189:                             ;   in Loop: Header=BB6_6037 Depth=3
	s_or_b32 exec_lo, exec_lo, s16
	v_mul_f32_e32 v1, v1, v4
	v_mov_b32_e32 v37, 0x8000
	s_mov_b32 s19, exec_lo
	v_and_b32_e32 v4, 0x7f800000, v1
	v_cmpx_ne_u32_e32 0x7f800000, v4
	s_cbranch_execz .LBB6_6197
; %bb.6190:                             ;   in Loop: Header=BB6_6037 Depth=3
	v_mov_b32_e32 v37, 0
	s_mov_b32 s22, exec_lo
	v_cmpx_ne_u32_e32 0, v1
	s_cbranch_execz .LBB6_6196
; %bb.6191:                             ;   in Loop: Header=BB6_6037 Depth=3
	v_bfe_u32 v5, v1, 23, 8
	v_and_b32_e32 v4, 0x7fffff, v1
	v_cmp_gt_u32_e64 s16, 0x71, v5
	v_sub_nc_u32_e32 v28, 0x70, v5
	v_cmp_eq_u32_e32 vcc_lo, 0, v5
	v_or_b32_e32 v29, 0x800000, v4
	v_cndmask_b32_e64 v28, 0, v28, s16
	v_cndmask_b32_e32 v4, v29, v4, vcc_lo
	v_cndmask_b32_e64 v28, v28, 0x6f, vcc_lo
	v_lshl_add_u32 v29, 0x200000, v28, -1
	v_lshlrev_b32_e64 v30, v28, 0x100000
	v_and_b32_e32 v29, v29, v4
	v_cmp_eq_u32_e64 s16, v29, v30
	v_lshrrev_b32_e32 v29, v28, v4
	v_add_nc_u32_e32 v4, 0xffffff91, v5
	v_lshrrev_b32_e32 v5, 23, v29
	v_cndmask_b32_e64 v4, v4, 0xffffff92, vcc_lo
	v_xor_b32_e32 v5, 1, v5
	v_add_nc_u32_e32 v4, v28, v4
	v_bfe_u32 v28, v29, 21, 1
	v_add_nc_u32_e32 v28, -1, v28
	v_cndmask_b32_e64 v28, 0, v28, s16
	s_mov_b32 s16, exec_lo
	v_add_nc_u32_e32 v28, v28, v29
	v_and_b32_e32 v28, 0x1fffff, v28
	v_add_nc_u32_e32 v28, v28, v29
                                        ; implicit-def: $vgpr29
	v_cmpx_ne_u32_e64 v4, v5
	s_xor_b32 s16, exec_lo, s16
; %bb.6192:                             ;   in Loop: Header=BB6_6037 Depth=3
	v_cmp_lt_u32_e32 vcc_lo, 0xffffff, v28
	v_sub_nc_u32_e32 v4, v4, v5
	v_cndmask_b32_e64 v5, 0, 1, vcc_lo
	v_add_co_ci_u32_e64 v29, null, 0, v4, vcc_lo
	v_lshrrev_b32_e32 v28, v5, v28
; %bb.6193:                             ;   in Loop: Header=BB6_6037 Depth=3
	s_andn2_saveexec_b32 s16, s16
; %bb.6194:                             ;   in Loop: Header=BB6_6037 Depth=3
	v_bfe_u32 v29, v28, 23, 1
; %bb.6195:                             ;   in Loop: Header=BB6_6037 Depth=3
	s_or_b32 exec_lo, exec_lo, s16
	v_lshrrev_b32_e32 v4, 21, v28
	v_min_i32_e32 v5, 31, v29
	v_cmp_gt_i32_e32 vcc_lo, 32, v29
	v_and_b32_sdwa v1, v1, v60 dst_sel:DWORD dst_unused:UNUSED_PAD src0_sel:BYTE_3 src1_sel:DWORD
	v_lshlrev_b32_e32 v5, 2, v5
	v_cndmask_b32_e32 v4, 3, v4, vcc_lo
	v_and_b32_e32 v5, 0xfc, v5
	v_or_b32_e32 v28, v29, v4
	v_and_b32_e32 v4, 3, v4
	v_cmp_ne_u32_e32 vcc_lo, 0, v28
	v_or3_b32 v1, v1, v5, v4
	v_lshlrev_b32_e32 v1, 8, v1
	v_cndmask_b32_e32 v37, 0, v1, vcc_lo
.LBB6_6196:                             ;   in Loop: Header=BB6_6037 Depth=3
	s_or_b32 exec_lo, exec_lo, s22
.LBB6_6197:                             ;   in Loop: Header=BB6_6037 Depth=3
	s_or_b32 exec_lo, exec_lo, s19
	v_cmp_gt_i16_sdwa s16, v50, v59 src0_sel:BYTE_0 src1_sel:DWORD
	s_mov_b32 s19, 0
	s_and_saveexec_b32 s22, s16
	s_xor_b32 s16, exec_lo, s22
	s_cbranch_execz .LBB6_7347
; %bb.6198:                             ;   in Loop: Header=BB6_6037 Depth=3
	v_cmp_eq_u16_sdwa s23, v50, v60 src0_sel:BYTE_0 src1_sel:DWORD
	s_mov_b32 s19, -1
	s_and_saveexec_b32 s22, s23
; %bb.6199:                             ;   in Loop: Header=BB6_6037 Depth=3
	s_xor_b32 s19, exec_lo, -1
; %bb.6200:                             ;   in Loop: Header=BB6_6037 Depth=3
	s_or_b32 exec_lo, exec_lo, s22
	s_and_b32 s19, s19, exec_lo
	s_or_saveexec_b32 s16, s16
	v_mov_b32_e32 v1, 0x7f800001
	s_xor_b32 exec_lo, exec_lo, s16
	s_cbranch_execnz .LBB6_7348
.LBB6_6201:                             ;   in Loop: Header=BB6_6037 Depth=3
	s_or_b32 exec_lo, exec_lo, s16
	s_and_saveexec_b32 s16, s19
	s_cbranch_execz .LBB6_6203
.LBB6_6202:                             ;   in Loop: Header=BB6_6037 Depth=3
	v_and_b32_e32 v1, 3, v50
	v_bfe_u32 v4, v50, 2, 5
	v_ffbh_u32_e32 v5, v1
	v_cmp_eq_u32_e32 vcc_lo, 0, v4
	v_min_u32_e32 v5, 32, v5
	v_subrev_nc_u32_e32 v28, 29, v5
	v_sub_nc_u32_e32 v5, 30, v5
	v_lshlrev_b32_e32 v28, v28, v50
	v_cndmask_b32_e32 v4, v4, v5, vcc_lo
	v_lshlrev_b32_e32 v5, 24, v50
	v_and_b32_e32 v28, 3, v28
	v_lshl_add_u32 v4, v4, 23, 0x37800000
	v_and_b32_e32 v5, 0x80000000, v5
	v_cndmask_b32_e32 v1, v1, v28, vcc_lo
	v_lshlrev_b32_e32 v1, 21, v1
	v_or3_b32 v1, v5, v4, v1
.LBB6_6203:                             ;   in Loop: Header=BB6_6037 Depth=3
	s_or_b32 exec_lo, exec_lo, s16
	v_cmp_gt_i16_sdwa s16, v38, v59 src0_sel:BYTE_0 src1_sel:DWORD
	s_mov_b32 s19, 0
	s_and_saveexec_b32 s22, s16
	s_xor_b32 s16, exec_lo, s22
	s_cbranch_execz .LBB6_7349
; %bb.6204:                             ;   in Loop: Header=BB6_6037 Depth=3
	v_cmp_eq_u16_sdwa s23, v38, v60 src0_sel:BYTE_0 src1_sel:DWORD
	s_mov_b32 s19, -1
	s_and_saveexec_b32 s22, s23
; %bb.6205:                             ;   in Loop: Header=BB6_6037 Depth=3
	s_xor_b32 s19, exec_lo, -1
; %bb.6206:                             ;   in Loop: Header=BB6_6037 Depth=3
	s_or_b32 exec_lo, exec_lo, s22
	s_and_b32 s19, s19, exec_lo
	s_or_saveexec_b32 s16, s16
	v_mov_b32_e32 v4, 0x7f800001
	s_xor_b32 exec_lo, exec_lo, s16
	s_cbranch_execnz .LBB6_7350
.LBB6_6207:                             ;   in Loop: Header=BB6_6037 Depth=3
	s_or_b32 exec_lo, exec_lo, s16
	s_and_saveexec_b32 s16, s19
	s_cbranch_execz .LBB6_6209
.LBB6_6208:                             ;   in Loop: Header=BB6_6037 Depth=3
	v_and_b32_e32 v4, 3, v38
	v_bfe_u32 v5, v38, 2, 5
	v_ffbh_u32_e32 v28, v4
	v_cmp_eq_u32_e32 vcc_lo, 0, v5
	v_min_u32_e32 v28, 32, v28
	v_subrev_nc_u32_e32 v29, 29, v28
	v_sub_nc_u32_e32 v28, 30, v28
	v_lshlrev_b32_e32 v29, v29, v38
	v_cndmask_b32_e32 v5, v5, v28, vcc_lo
	v_lshlrev_b32_e32 v28, 24, v38
	v_and_b32_e32 v29, 3, v29
	v_lshl_add_u32 v5, v5, 23, 0x37800000
	v_and_b32_e32 v28, 0x80000000, v28
	v_cndmask_b32_e32 v4, v4, v29, vcc_lo
	v_lshlrev_b32_e32 v4, 21, v4
	v_or3_b32 v4, v28, v5, v4
.LBB6_6209:                             ;   in Loop: Header=BB6_6037 Depth=3
	s_or_b32 exec_lo, exec_lo, s16
	v_mul_f32_e32 v1, v1, v4
	v_mov_b32_e32 v49, 0x80
	s_mov_b32 s19, exec_lo
	v_and_b32_e32 v4, 0x7f800000, v1
	v_cmpx_ne_u32_e32 0x7f800000, v4
	s_cbranch_execz .LBB6_6217
; %bb.6210:                             ;   in Loop: Header=BB6_6037 Depth=3
	v_mov_b32_e32 v49, 0
	s_mov_b32 s22, exec_lo
	v_cmpx_ne_u32_e32 0, v1
	s_cbranch_execz .LBB6_6216
; %bb.6211:                             ;   in Loop: Header=BB6_6037 Depth=3
	v_bfe_u32 v5, v1, 23, 8
	v_and_b32_e32 v4, 0x7fffff, v1
	v_cmp_gt_u32_e64 s16, 0x71, v5
	v_sub_nc_u32_e32 v28, 0x70, v5
	v_cmp_eq_u32_e32 vcc_lo, 0, v5
	v_or_b32_e32 v29, 0x800000, v4
	v_cndmask_b32_e64 v28, 0, v28, s16
	v_cndmask_b32_e32 v4, v29, v4, vcc_lo
	v_cndmask_b32_e64 v28, v28, 0x6f, vcc_lo
	v_lshl_add_u32 v29, 0x200000, v28, -1
	v_lshlrev_b32_e64 v30, v28, 0x100000
	v_and_b32_e32 v29, v29, v4
	v_cmp_eq_u32_e64 s16, v29, v30
	v_lshrrev_b32_e32 v29, v28, v4
	v_add_nc_u32_e32 v4, 0xffffff91, v5
	v_lshrrev_b32_e32 v5, 23, v29
	v_cndmask_b32_e64 v4, v4, 0xffffff92, vcc_lo
	v_xor_b32_e32 v5, 1, v5
	v_add_nc_u32_e32 v4, v28, v4
	v_bfe_u32 v28, v29, 21, 1
	v_add_nc_u32_e32 v28, -1, v28
	v_cndmask_b32_e64 v28, 0, v28, s16
	s_mov_b32 s16, exec_lo
	v_add_nc_u32_e32 v28, v28, v29
	v_and_b32_e32 v28, 0x1fffff, v28
	v_add_nc_u32_e32 v28, v28, v29
                                        ; implicit-def: $vgpr29
	v_cmpx_ne_u32_e64 v4, v5
	s_xor_b32 s16, exec_lo, s16
; %bb.6212:                             ;   in Loop: Header=BB6_6037 Depth=3
	v_cmp_lt_u32_e32 vcc_lo, 0xffffff, v28
	v_sub_nc_u32_e32 v4, v4, v5
	v_cndmask_b32_e64 v5, 0, 1, vcc_lo
	v_add_co_ci_u32_e64 v29, null, 0, v4, vcc_lo
	v_lshrrev_b32_e32 v28, v5, v28
; %bb.6213:                             ;   in Loop: Header=BB6_6037 Depth=3
	s_andn2_saveexec_b32 s16, s16
; %bb.6214:                             ;   in Loop: Header=BB6_6037 Depth=3
	v_bfe_u32 v29, v28, 23, 1
; %bb.6215:                             ;   in Loop: Header=BB6_6037 Depth=3
	s_or_b32 exec_lo, exec_lo, s16
	v_lshrrev_b32_e32 v4, 21, v28
	v_min_i32_e32 v5, 31, v29
	v_cmp_gt_i32_e32 vcc_lo, 32, v29
	v_and_b32_sdwa v1, v1, v60 dst_sel:DWORD dst_unused:UNUSED_PAD src0_sel:BYTE_3 src1_sel:DWORD
	v_lshlrev_b32_e32 v5, 2, v5
	v_cndmask_b32_e32 v4, 3, v4, vcc_lo
	v_and_b32_e32 v5, 0xfc, v5
	v_or_b32_e32 v28, v29, v4
	v_and_b32_e32 v4, 3, v4
	v_cmp_ne_u32_e32 vcc_lo, 0, v28
	v_or3_b32 v1, v5, v1, v4
	v_cndmask_b32_e32 v49, 0, v1, vcc_lo
.LBB6_6216:                             ;   in Loop: Header=BB6_6037 Depth=3
	s_or_b32 exec_lo, exec_lo, s22
.LBB6_6217:                             ;   in Loop: Header=BB6_6037 Depth=3
	s_or_b32 exec_lo, exec_lo, s19
	v_cmp_gt_i16_sdwa s16, v50, v59 src0_sel:BYTE_1 src1_sel:DWORD
	s_mov_b32 s19, 0
	s_and_saveexec_b32 s22, s16
	s_xor_b32 s16, exec_lo, s22
	s_cbranch_execz .LBB6_7351
; %bb.6218:                             ;   in Loop: Header=BB6_6037 Depth=3
	v_cmp_eq_u16_sdwa s23, v50, v60 src0_sel:BYTE_1 src1_sel:DWORD
	s_mov_b32 s19, -1
	s_and_saveexec_b32 s22, s23
; %bb.6219:                             ;   in Loop: Header=BB6_6037 Depth=3
	s_xor_b32 s19, exec_lo, -1
; %bb.6220:                             ;   in Loop: Header=BB6_6037 Depth=3
	s_or_b32 exec_lo, exec_lo, s22
	s_and_b32 s19, s19, exec_lo
	s_or_saveexec_b32 s16, s16
	v_mov_b32_e32 v1, 0x7f800001
	s_xor_b32 exec_lo, exec_lo, s16
	s_cbranch_execnz .LBB6_7352
.LBB6_6221:                             ;   in Loop: Header=BB6_6037 Depth=3
	s_or_b32 exec_lo, exec_lo, s16
	s_and_saveexec_b32 s16, s19
	s_cbranch_execz .LBB6_6223
.LBB6_6222:                             ;   in Loop: Header=BB6_6037 Depth=3
	v_and_b32_sdwa v1, v61, v50 dst_sel:DWORD dst_unused:UNUSED_PAD src0_sel:DWORD src1_sel:BYTE_1
	v_and_b32_e32 v4, 3, v1
	v_bfe_u32 v29, v1, 2, 5
	v_ffbh_u32_e32 v5, v4
	v_cmp_eq_u32_e32 vcc_lo, 0, v29
	v_min_u32_e32 v5, 32, v5
	v_subrev_nc_u32_e32 v28, 29, v5
	v_sub_nc_u32_e32 v5, 30, v5
	v_lshlrev_b32_e32 v1, v28, v1
	v_lshlrev_b32_sdwa v28, v62, v50 dst_sel:DWORD dst_unused:UNUSED_PAD src0_sel:DWORD src1_sel:BYTE_1
	v_cndmask_b32_e32 v5, v29, v5, vcc_lo
	v_and_b32_e32 v1, 3, v1
	v_lshl_add_u32 v5, v5, 23, 0x37800000
	v_cndmask_b32_e32 v1, v4, v1, vcc_lo
	v_and_b32_e32 v4, 0x80000000, v28
	v_lshlrev_b32_e32 v1, 21, v1
	v_or3_b32 v1, v4, v5, v1
.LBB6_6223:                             ;   in Loop: Header=BB6_6037 Depth=3
	s_or_b32 exec_lo, exec_lo, s16
	v_cmp_gt_i16_sdwa s16, v38, v59 src0_sel:BYTE_1 src1_sel:DWORD
	s_mov_b32 s19, 0
	s_and_saveexec_b32 s22, s16
	s_xor_b32 s16, exec_lo, s22
	s_cbranch_execz .LBB6_7353
; %bb.6224:                             ;   in Loop: Header=BB6_6037 Depth=3
	v_cmp_eq_u16_sdwa s23, v38, v60 src0_sel:BYTE_1 src1_sel:DWORD
	s_mov_b32 s19, -1
	s_and_saveexec_b32 s22, s23
; %bb.6225:                             ;   in Loop: Header=BB6_6037 Depth=3
	s_xor_b32 s19, exec_lo, -1
; %bb.6226:                             ;   in Loop: Header=BB6_6037 Depth=3
	s_or_b32 exec_lo, exec_lo, s22
	s_and_b32 s19, s19, exec_lo
	s_or_saveexec_b32 s16, s16
	v_mov_b32_e32 v4, 0x7f800001
	s_xor_b32 exec_lo, exec_lo, s16
	s_cbranch_execnz .LBB6_7354
.LBB6_6227:                             ;   in Loop: Header=BB6_6037 Depth=3
	s_or_b32 exec_lo, exec_lo, s16
	s_and_saveexec_b32 s16, s19
	s_cbranch_execz .LBB6_6229
.LBB6_6228:                             ;   in Loop: Header=BB6_6037 Depth=3
	v_and_b32_sdwa v4, v61, v38 dst_sel:DWORD dst_unused:UNUSED_PAD src0_sel:DWORD src1_sel:BYTE_1
	v_and_b32_e32 v5, 3, v4
	v_bfe_u32 v30, v4, 2, 5
	v_ffbh_u32_e32 v28, v5
	v_cmp_eq_u32_e32 vcc_lo, 0, v30
	v_min_u32_e32 v28, 32, v28
	v_subrev_nc_u32_e32 v29, 29, v28
	v_sub_nc_u32_e32 v28, 30, v28
	v_lshlrev_b32_e32 v4, v29, v4
	v_lshlrev_b32_sdwa v29, v62, v38 dst_sel:DWORD dst_unused:UNUSED_PAD src0_sel:DWORD src1_sel:BYTE_1
	v_cndmask_b32_e32 v28, v30, v28, vcc_lo
	v_and_b32_e32 v4, 3, v4
	v_lshl_add_u32 v28, v28, 23, 0x37800000
	v_cndmask_b32_e32 v4, v5, v4, vcc_lo
	v_and_b32_e32 v5, 0x80000000, v29
	v_lshlrev_b32_e32 v4, 21, v4
	v_or3_b32 v4, v5, v28, v4
.LBB6_6229:                             ;   in Loop: Header=BB6_6037 Depth=3
	s_or_b32 exec_lo, exec_lo, s16
	v_mul_f32_e32 v1, v1, v4
	v_mov_b32_e32 v53, 0x8000
	s_mov_b32 s19, exec_lo
	v_and_b32_e32 v4, 0x7f800000, v1
	v_cmpx_ne_u32_e32 0x7f800000, v4
	s_cbranch_execz .LBB6_6237
; %bb.6230:                             ;   in Loop: Header=BB6_6037 Depth=3
	v_mov_b32_e32 v53, 0
	s_mov_b32 s22, exec_lo
	v_cmpx_ne_u32_e32 0, v1
	s_cbranch_execz .LBB6_6236
; %bb.6231:                             ;   in Loop: Header=BB6_6037 Depth=3
	v_bfe_u32 v5, v1, 23, 8
	v_and_b32_e32 v4, 0x7fffff, v1
	v_cmp_gt_u32_e64 s16, 0x71, v5
	v_sub_nc_u32_e32 v28, 0x70, v5
	v_cmp_eq_u32_e32 vcc_lo, 0, v5
	v_or_b32_e32 v29, 0x800000, v4
	v_cndmask_b32_e64 v28, 0, v28, s16
	v_cndmask_b32_e32 v4, v29, v4, vcc_lo
	v_cndmask_b32_e64 v28, v28, 0x6f, vcc_lo
	v_lshl_add_u32 v29, 0x200000, v28, -1
	v_lshlrev_b32_e64 v30, v28, 0x100000
	v_and_b32_e32 v29, v29, v4
	v_cmp_eq_u32_e64 s16, v29, v30
	v_lshrrev_b32_e32 v29, v28, v4
	v_add_nc_u32_e32 v4, 0xffffff91, v5
	v_lshrrev_b32_e32 v5, 23, v29
	v_cndmask_b32_e64 v4, v4, 0xffffff92, vcc_lo
	v_xor_b32_e32 v5, 1, v5
	v_add_nc_u32_e32 v4, v28, v4
	v_bfe_u32 v28, v29, 21, 1
	v_add_nc_u32_e32 v28, -1, v28
	v_cndmask_b32_e64 v28, 0, v28, s16
	s_mov_b32 s16, exec_lo
	v_add_nc_u32_e32 v28, v28, v29
	v_and_b32_e32 v28, 0x1fffff, v28
	v_add_nc_u32_e32 v28, v28, v29
                                        ; implicit-def: $vgpr29
	v_cmpx_ne_u32_e64 v4, v5
	s_xor_b32 s16, exec_lo, s16
; %bb.6232:                             ;   in Loop: Header=BB6_6037 Depth=3
	v_cmp_lt_u32_e32 vcc_lo, 0xffffff, v28
	v_sub_nc_u32_e32 v4, v4, v5
	v_cndmask_b32_e64 v5, 0, 1, vcc_lo
	v_add_co_ci_u32_e64 v29, null, 0, v4, vcc_lo
	v_lshrrev_b32_e32 v28, v5, v28
; %bb.6233:                             ;   in Loop: Header=BB6_6037 Depth=3
	s_andn2_saveexec_b32 s16, s16
; %bb.6234:                             ;   in Loop: Header=BB6_6037 Depth=3
	v_bfe_u32 v29, v28, 23, 1
; %bb.6235:                             ;   in Loop: Header=BB6_6037 Depth=3
	s_or_b32 exec_lo, exec_lo, s16
	v_lshrrev_b32_e32 v4, 21, v28
	v_min_i32_e32 v5, 31, v29
	v_cmp_gt_i32_e32 vcc_lo, 32, v29
	v_and_b32_sdwa v1, v1, v60 dst_sel:DWORD dst_unused:UNUSED_PAD src0_sel:BYTE_3 src1_sel:DWORD
	v_lshlrev_b32_e32 v5, 2, v5
	v_cndmask_b32_e32 v4, 3, v4, vcc_lo
	v_and_b32_e32 v5, 0xfc, v5
	v_or_b32_e32 v28, v29, v4
	v_and_b32_e32 v4, 3, v4
	v_cmp_ne_u32_e32 vcc_lo, 0, v28
	v_or3_b32 v1, v1, v5, v4
	v_lshlrev_b32_e32 v1, 8, v1
	v_cndmask_b32_e32 v53, 0, v1, vcc_lo
.LBB6_6236:                             ;   in Loop: Header=BB6_6037 Depth=3
	s_or_b32 exec_lo, exec_lo, s22
.LBB6_6237:                             ;   in Loop: Header=BB6_6037 Depth=3
	s_or_b32 exec_lo, exec_lo, s19
	v_and_b32_sdwa v4, v50, v63 dst_sel:DWORD dst_unused:UNUSED_PAD src0_sel:WORD_1 src1_sel:DWORD
	s_mov_b32 s19, 0
	s_mov_b32 s16, exec_lo
	v_cmpx_lt_i16_e32 0x7f, v4
	s_xor_b32 s16, exec_lo, s16
	s_cbranch_execz .LBB6_7355
; %bb.6238:                             ;   in Loop: Header=BB6_6037 Depth=3
	s_mov_b32 s19, -1
	s_mov_b32 s22, exec_lo
	v_cmpx_eq_u16_e32 0x80, v4
; %bb.6239:                             ;   in Loop: Header=BB6_6037 Depth=3
	s_xor_b32 s19, exec_lo, -1
; %bb.6240:                             ;   in Loop: Header=BB6_6037 Depth=3
	s_or_b32 exec_lo, exec_lo, s22
	s_and_b32 s19, s19, exec_lo
                                        ; implicit-def: $vgpr4
	s_or_saveexec_b32 s16, s16
	v_mov_b32_e32 v1, 0x7f800001
	s_xor_b32 exec_lo, exec_lo, s16
	s_cbranch_execnz .LBB6_7356
.LBB6_6241:                             ;   in Loop: Header=BB6_6037 Depth=3
	s_or_b32 exec_lo, exec_lo, s16
	s_and_saveexec_b32 s16, s19
	s_cbranch_execz .LBB6_6243
.LBB6_6242:                             ;   in Loop: Header=BB6_6037 Depth=3
	v_bfe_u32 v1, v50, 16, 2
	v_bfe_u32 v4, v50, 18, 5
	v_ffbh_u32_e32 v5, v1
	v_cmp_eq_u32_e32 vcc_lo, 0, v4
	v_min_u32_e32 v5, 32, v5
	v_subrev_nc_u32_e32 v28, 29, v5
	v_sub_nc_u32_e32 v5, 30, v5
	v_lshlrev_b32_sdwa v28, v28, v50 dst_sel:DWORD dst_unused:UNUSED_PAD src0_sel:DWORD src1_sel:WORD_1
	v_cndmask_b32_e32 v4, v4, v5, vcc_lo
	v_lshlrev_b32_e32 v5, 8, v50
	v_and_b32_e32 v28, 3, v28
	v_lshl_add_u32 v4, v4, 23, 0x37800000
	v_and_b32_e32 v5, 0x80000000, v5
	v_cndmask_b32_e32 v1, v1, v28, vcc_lo
	v_lshlrev_b32_e32 v1, 21, v1
	v_or3_b32 v1, v5, v4, v1
.LBB6_6243:                             ;   in Loop: Header=BB6_6037 Depth=3
	s_or_b32 exec_lo, exec_lo, s16
	v_and_b32_sdwa v5, v38, v63 dst_sel:DWORD dst_unused:UNUSED_PAD src0_sel:WORD_1 src1_sel:DWORD
	s_mov_b32 s19, 0
	s_mov_b32 s16, exec_lo
	v_cmpx_lt_i16_e32 0x7f, v5
	s_xor_b32 s16, exec_lo, s16
	s_cbranch_execz .LBB6_7357
; %bb.6244:                             ;   in Loop: Header=BB6_6037 Depth=3
	s_mov_b32 s19, -1
	s_mov_b32 s22, exec_lo
	v_cmpx_eq_u16_e32 0x80, v5
; %bb.6245:                             ;   in Loop: Header=BB6_6037 Depth=3
	s_xor_b32 s19, exec_lo, -1
; %bb.6246:                             ;   in Loop: Header=BB6_6037 Depth=3
	s_or_b32 exec_lo, exec_lo, s22
	s_and_b32 s19, s19, exec_lo
                                        ; implicit-def: $vgpr5
	s_or_saveexec_b32 s16, s16
	v_mov_b32_e32 v4, 0x7f800001
	s_xor_b32 exec_lo, exec_lo, s16
	s_cbranch_execnz .LBB6_7358
.LBB6_6247:                             ;   in Loop: Header=BB6_6037 Depth=3
	s_or_b32 exec_lo, exec_lo, s16
	s_and_saveexec_b32 s16, s19
	s_cbranch_execz .LBB6_6249
.LBB6_6248:                             ;   in Loop: Header=BB6_6037 Depth=3
	v_bfe_u32 v4, v38, 16, 2
	v_bfe_u32 v5, v38, 18, 5
	v_ffbh_u32_e32 v28, v4
	v_cmp_eq_u32_e32 vcc_lo, 0, v5
	v_min_u32_e32 v28, 32, v28
	v_subrev_nc_u32_e32 v29, 29, v28
	v_sub_nc_u32_e32 v28, 30, v28
	v_lshlrev_b32_sdwa v29, v29, v38 dst_sel:DWORD dst_unused:UNUSED_PAD src0_sel:DWORD src1_sel:WORD_1
	v_cndmask_b32_e32 v5, v5, v28, vcc_lo
	v_lshlrev_b32_e32 v28, 8, v38
	v_and_b32_e32 v29, 3, v29
	v_lshl_add_u32 v5, v5, 23, 0x37800000
	v_and_b32_e32 v28, 0x80000000, v28
	v_cndmask_b32_e32 v4, v4, v29, vcc_lo
	v_lshlrev_b32_e32 v4, 21, v4
	v_or3_b32 v4, v28, v5, v4
.LBB6_6249:                             ;   in Loop: Header=BB6_6037 Depth=3
	s_or_b32 exec_lo, exec_lo, s16
	v_mul_f32_e32 v1, v1, v4
	v_mov_b32_e32 v30, 0x80
	s_mov_b32 s19, exec_lo
	v_and_b32_e32 v4, 0x7f800000, v1
	v_cmpx_ne_u32_e32 0x7f800000, v4
	s_cbranch_execz .LBB6_6257
; %bb.6250:                             ;   in Loop: Header=BB6_6037 Depth=3
	v_mov_b32_e32 v30, 0
	s_mov_b32 s22, exec_lo
	v_cmpx_ne_u32_e32 0, v1
	s_cbranch_execz .LBB6_6256
; %bb.6251:                             ;   in Loop: Header=BB6_6037 Depth=3
	v_bfe_u32 v5, v1, 23, 8
	v_and_b32_e32 v4, 0x7fffff, v1
	v_cmp_gt_u32_e64 s16, 0x71, v5
	v_sub_nc_u32_e32 v28, 0x70, v5
	v_cmp_eq_u32_e32 vcc_lo, 0, v5
	v_or_b32_e32 v29, 0x800000, v4
	v_cndmask_b32_e64 v28, 0, v28, s16
	v_cndmask_b32_e32 v4, v29, v4, vcc_lo
	v_cndmask_b32_e64 v28, v28, 0x6f, vcc_lo
	v_lshl_add_u32 v29, 0x200000, v28, -1
	v_lshlrev_b32_e64 v30, v28, 0x100000
	v_and_b32_e32 v29, v29, v4
	v_cmp_eq_u32_e64 s16, v29, v30
	v_lshrrev_b32_e32 v29, v28, v4
	v_add_nc_u32_e32 v4, 0xffffff91, v5
	v_lshrrev_b32_e32 v5, 23, v29
	v_cndmask_b32_e64 v4, v4, 0xffffff92, vcc_lo
	v_xor_b32_e32 v5, 1, v5
	v_add_nc_u32_e32 v4, v28, v4
	v_bfe_u32 v28, v29, 21, 1
	v_add_nc_u32_e32 v28, -1, v28
	v_cndmask_b32_e64 v28, 0, v28, s16
	s_mov_b32 s16, exec_lo
	v_add_nc_u32_e32 v28, v28, v29
	v_and_b32_e32 v28, 0x1fffff, v28
	v_add_nc_u32_e32 v28, v28, v29
                                        ; implicit-def: $vgpr29
	v_cmpx_ne_u32_e64 v4, v5
	s_xor_b32 s16, exec_lo, s16
; %bb.6252:                             ;   in Loop: Header=BB6_6037 Depth=3
	v_cmp_lt_u32_e32 vcc_lo, 0xffffff, v28
	v_sub_nc_u32_e32 v4, v4, v5
	v_cndmask_b32_e64 v5, 0, 1, vcc_lo
	v_add_co_ci_u32_e64 v29, null, 0, v4, vcc_lo
	v_lshrrev_b32_e32 v28, v5, v28
; %bb.6253:                             ;   in Loop: Header=BB6_6037 Depth=3
	s_andn2_saveexec_b32 s16, s16
; %bb.6254:                             ;   in Loop: Header=BB6_6037 Depth=3
	v_bfe_u32 v29, v28, 23, 1
; %bb.6255:                             ;   in Loop: Header=BB6_6037 Depth=3
	s_or_b32 exec_lo, exec_lo, s16
	v_lshrrev_b32_e32 v4, 21, v28
	v_min_i32_e32 v5, 31, v29
	v_cmp_gt_i32_e32 vcc_lo, 32, v29
	v_and_b32_sdwa v1, v1, v60 dst_sel:DWORD dst_unused:UNUSED_PAD src0_sel:BYTE_3 src1_sel:DWORD
	v_lshlrev_b32_e32 v5, 2, v5
	v_cndmask_b32_e32 v4, 3, v4, vcc_lo
	v_and_b32_e32 v5, 0xfc, v5
	v_or_b32_e32 v28, v29, v4
	v_and_b32_e32 v4, 3, v4
	v_cmp_ne_u32_e32 vcc_lo, 0, v28
	v_or3_b32 v1, v5, v1, v4
	v_cndmask_b32_e32 v30, 0, v1, vcc_lo
.LBB6_6256:                             ;   in Loop: Header=BB6_6037 Depth=3
	s_or_b32 exec_lo, exec_lo, s22
.LBB6_6257:                             ;   in Loop: Header=BB6_6037 Depth=3
	s_or_b32 exec_lo, exec_lo, s19
	v_cmp_gt_i16_sdwa s16, v50, v59 src0_sel:BYTE_3 src1_sel:DWORD
	s_mov_b32 s19, 0
	s_and_saveexec_b32 s22, s16
	s_xor_b32 s16, exec_lo, s22
	s_cbranch_execz .LBB6_7359
; %bb.6258:                             ;   in Loop: Header=BB6_6037 Depth=3
	v_cmp_eq_u16_sdwa s23, v50, v60 src0_sel:BYTE_3 src1_sel:DWORD
	s_mov_b32 s19, -1
	s_and_saveexec_b32 s22, s23
; %bb.6259:                             ;   in Loop: Header=BB6_6037 Depth=3
	s_xor_b32 s19, exec_lo, -1
; %bb.6260:                             ;   in Loop: Header=BB6_6037 Depth=3
	s_or_b32 exec_lo, exec_lo, s22
	s_and_b32 s19, s19, exec_lo
	s_or_saveexec_b32 s16, s16
	v_mov_b32_e32 v1, 0x7f800001
	s_xor_b32 exec_lo, exec_lo, s16
	s_cbranch_execnz .LBB6_7360
.LBB6_6261:                             ;   in Loop: Header=BB6_6037 Depth=3
	s_or_b32 exec_lo, exec_lo, s16
	s_and_saveexec_b32 s16, s19
	s_cbranch_execz .LBB6_6263
.LBB6_6262:                             ;   in Loop: Header=BB6_6037 Depth=3
	v_bfe_u32 v1, v50, 24, 2
	v_bfe_u32 v28, v50, 26, 5
	v_ffbh_u32_e32 v4, v1
	v_cmp_eq_u32_e32 vcc_lo, 0, v28
	v_min_u32_e32 v4, 32, v4
	v_subrev_nc_u32_e32 v5, 29, v4
	v_sub_nc_u32_e32 v4, 30, v4
	v_lshlrev_b32_sdwa v5, v5, v50 dst_sel:DWORD dst_unused:UNUSED_PAD src0_sel:DWORD src1_sel:BYTE_3
	v_cndmask_b32_e32 v4, v28, v4, vcc_lo
	v_and_b32_e32 v5, 3, v5
	v_lshl_add_u32 v4, v4, 23, 0x37800000
	v_cndmask_b32_e32 v1, v1, v5, vcc_lo
	v_and_b32_e32 v5, 0x80000000, v50
	v_lshlrev_b32_e32 v1, 21, v1
	v_or3_b32 v1, v5, v4, v1
.LBB6_6263:                             ;   in Loop: Header=BB6_6037 Depth=3
	s_or_b32 exec_lo, exec_lo, s16
	v_cmp_gt_i16_sdwa s16, v38, v59 src0_sel:BYTE_3 src1_sel:DWORD
	s_mov_b32 s19, 0
	s_and_saveexec_b32 s22, s16
	s_xor_b32 s16, exec_lo, s22
	s_cbranch_execz .LBB6_7361
; %bb.6264:                             ;   in Loop: Header=BB6_6037 Depth=3
	v_cmp_eq_u16_sdwa s23, v38, v60 src0_sel:BYTE_3 src1_sel:DWORD
	s_mov_b32 s19, -1
	s_and_saveexec_b32 s22, s23
; %bb.6265:                             ;   in Loop: Header=BB6_6037 Depth=3
	s_xor_b32 s19, exec_lo, -1
; %bb.6266:                             ;   in Loop: Header=BB6_6037 Depth=3
	s_or_b32 exec_lo, exec_lo, s22
	s_and_b32 s19, s19, exec_lo
	s_or_saveexec_b32 s16, s16
	v_mov_b32_e32 v4, 0x7f800001
	s_xor_b32 exec_lo, exec_lo, s16
	s_cbranch_execnz .LBB6_7362
.LBB6_6267:                             ;   in Loop: Header=BB6_6037 Depth=3
	s_or_b32 exec_lo, exec_lo, s16
	s_and_saveexec_b32 s16, s19
	s_cbranch_execz .LBB6_6269
.LBB6_6268:                             ;   in Loop: Header=BB6_6037 Depth=3
	v_bfe_u32 v4, v38, 24, 2
	v_bfe_u32 v29, v38, 26, 5
	v_ffbh_u32_e32 v5, v4
	v_cmp_eq_u32_e32 vcc_lo, 0, v29
	v_min_u32_e32 v5, 32, v5
	v_subrev_nc_u32_e32 v28, 29, v5
	v_sub_nc_u32_e32 v5, 30, v5
	v_lshlrev_b32_sdwa v28, v28, v38 dst_sel:DWORD dst_unused:UNUSED_PAD src0_sel:DWORD src1_sel:BYTE_3
	v_cndmask_b32_e32 v5, v29, v5, vcc_lo
	v_and_b32_e32 v28, 3, v28
	v_lshl_add_u32 v5, v5, 23, 0x37800000
	v_cndmask_b32_e32 v4, v4, v28, vcc_lo
	v_and_b32_e32 v28, 0x80000000, v38
	v_lshlrev_b32_e32 v4, 21, v4
	v_or3_b32 v4, v28, v5, v4
.LBB6_6269:                             ;   in Loop: Header=BB6_6037 Depth=3
	s_or_b32 exec_lo, exec_lo, s16
	v_mul_f32_e32 v1, v1, v4
	v_mov_b32_e32 v38, 0x8000
	s_mov_b32 s19, exec_lo
	v_and_b32_e32 v4, 0x7f800000, v1
	v_cmpx_ne_u32_e32 0x7f800000, v4
	s_cbranch_execz .LBB6_6277
; %bb.6270:                             ;   in Loop: Header=BB6_6037 Depth=3
	v_mov_b32_e32 v38, 0
	s_mov_b32 s22, exec_lo
	v_cmpx_ne_u32_e32 0, v1
	s_cbranch_execz .LBB6_6276
; %bb.6271:                             ;   in Loop: Header=BB6_6037 Depth=3
	v_bfe_u32 v5, v1, 23, 8
	v_and_b32_e32 v4, 0x7fffff, v1
	v_cmp_gt_u32_e64 s16, 0x71, v5
	v_sub_nc_u32_e32 v28, 0x70, v5
	v_cmp_eq_u32_e32 vcc_lo, 0, v5
	v_or_b32_e32 v29, 0x800000, v4
	v_cndmask_b32_e64 v28, 0, v28, s16
	v_cndmask_b32_e32 v4, v29, v4, vcc_lo
	v_cndmask_b32_e64 v28, v28, 0x6f, vcc_lo
	v_lshl_add_u32 v29, 0x200000, v28, -1
	v_lshlrev_b32_e64 v31, v28, 0x100000
	v_and_b32_e32 v29, v29, v4
	v_cmp_eq_u32_e64 s16, v29, v31
	v_lshrrev_b32_e32 v29, v28, v4
	v_add_nc_u32_e32 v4, 0xffffff91, v5
	v_lshrrev_b32_e32 v5, 23, v29
	v_cndmask_b32_e64 v4, v4, 0xffffff92, vcc_lo
	v_xor_b32_e32 v5, 1, v5
	v_add_nc_u32_e32 v4, v28, v4
	v_bfe_u32 v28, v29, 21, 1
	v_add_nc_u32_e32 v28, -1, v28
	v_cndmask_b32_e64 v28, 0, v28, s16
	s_mov_b32 s16, exec_lo
	v_add_nc_u32_e32 v28, v28, v29
	v_and_b32_e32 v28, 0x1fffff, v28
	v_add_nc_u32_e32 v28, v28, v29
                                        ; implicit-def: $vgpr29
	v_cmpx_ne_u32_e64 v4, v5
	s_xor_b32 s16, exec_lo, s16
; %bb.6272:                             ;   in Loop: Header=BB6_6037 Depth=3
	v_cmp_lt_u32_e32 vcc_lo, 0xffffff, v28
	v_sub_nc_u32_e32 v4, v4, v5
	v_cndmask_b32_e64 v5, 0, 1, vcc_lo
	v_add_co_ci_u32_e64 v29, null, 0, v4, vcc_lo
	v_lshrrev_b32_e32 v28, v5, v28
; %bb.6273:                             ;   in Loop: Header=BB6_6037 Depth=3
	s_andn2_saveexec_b32 s16, s16
; %bb.6274:                             ;   in Loop: Header=BB6_6037 Depth=3
	v_bfe_u32 v29, v28, 23, 1
; %bb.6275:                             ;   in Loop: Header=BB6_6037 Depth=3
	s_or_b32 exec_lo, exec_lo, s16
	v_lshrrev_b32_e32 v4, 21, v28
	v_min_i32_e32 v5, 31, v29
	v_cmp_gt_i32_e32 vcc_lo, 32, v29
	v_and_b32_sdwa v1, v1, v60 dst_sel:DWORD dst_unused:UNUSED_PAD src0_sel:BYTE_3 src1_sel:DWORD
	v_lshlrev_b32_e32 v5, 2, v5
	v_cndmask_b32_e32 v4, 3, v4, vcc_lo
	v_and_b32_e32 v5, 0xfc, v5
	v_or_b32_e32 v28, v29, v4
	v_and_b32_e32 v4, 3, v4
	v_cmp_ne_u32_e32 vcc_lo, 0, v28
	v_or3_b32 v1, v1, v5, v4
	v_lshlrev_b32_e32 v1, 8, v1
	v_cndmask_b32_e32 v38, 0, v1, vcc_lo
.LBB6_6276:                             ;   in Loop: Header=BB6_6037 Depth=3
	s_or_b32 exec_lo, exec_lo, s22
.LBB6_6277:                             ;   in Loop: Header=BB6_6037 Depth=3
	s_or_b32 exec_lo, exec_lo, s19
	v_cmp_gt_i16_sdwa s16, v51, v59 src0_sel:BYTE_0 src1_sel:DWORD
	s_mov_b32 s19, 0
	s_and_saveexec_b32 s22, s16
	s_xor_b32 s16, exec_lo, s22
	s_cbranch_execz .LBB6_7363
; %bb.6278:                             ;   in Loop: Header=BB6_6037 Depth=3
	v_cmp_eq_u16_sdwa s23, v51, v60 src0_sel:BYTE_0 src1_sel:DWORD
	s_mov_b32 s19, -1
	s_and_saveexec_b32 s22, s23
; %bb.6279:                             ;   in Loop: Header=BB6_6037 Depth=3
	s_xor_b32 s19, exec_lo, -1
; %bb.6280:                             ;   in Loop: Header=BB6_6037 Depth=3
	s_or_b32 exec_lo, exec_lo, s22
	s_and_b32 s19, s19, exec_lo
	s_or_saveexec_b32 s16, s16
	v_mov_b32_e32 v1, 0x7f800001
	s_xor_b32 exec_lo, exec_lo, s16
	s_cbranch_execnz .LBB6_7364
.LBB6_6281:                             ;   in Loop: Header=BB6_6037 Depth=3
	s_or_b32 exec_lo, exec_lo, s16
	s_and_saveexec_b32 s16, s19
	s_cbranch_execz .LBB6_6283
.LBB6_6282:                             ;   in Loop: Header=BB6_6037 Depth=3
	v_and_b32_e32 v1, 3, v51
	v_bfe_u32 v4, v51, 2, 5
	v_ffbh_u32_e32 v5, v1
	v_cmp_eq_u32_e32 vcc_lo, 0, v4
	v_min_u32_e32 v5, 32, v5
	v_subrev_nc_u32_e32 v28, 29, v5
	v_sub_nc_u32_e32 v5, 30, v5
	v_lshlrev_b32_e32 v28, v28, v51
	v_cndmask_b32_e32 v4, v4, v5, vcc_lo
	v_lshlrev_b32_e32 v5, 24, v51
	v_and_b32_e32 v28, 3, v28
	v_lshl_add_u32 v4, v4, 23, 0x37800000
	v_and_b32_e32 v5, 0x80000000, v5
	v_cndmask_b32_e32 v1, v1, v28, vcc_lo
	v_lshlrev_b32_e32 v1, 21, v1
	v_or3_b32 v1, v5, v4, v1
.LBB6_6283:                             ;   in Loop: Header=BB6_6037 Depth=3
	s_or_b32 exec_lo, exec_lo, s16
	v_cmp_gt_i16_sdwa s16, v39, v59 src0_sel:BYTE_0 src1_sel:DWORD
	s_mov_b32 s19, 0
	s_and_saveexec_b32 s22, s16
	s_xor_b32 s16, exec_lo, s22
	s_cbranch_execz .LBB6_7365
; %bb.6284:                             ;   in Loop: Header=BB6_6037 Depth=3
	v_cmp_eq_u16_sdwa s23, v39, v60 src0_sel:BYTE_0 src1_sel:DWORD
	s_mov_b32 s19, -1
	s_and_saveexec_b32 s22, s23
; %bb.6285:                             ;   in Loop: Header=BB6_6037 Depth=3
	s_xor_b32 s19, exec_lo, -1
; %bb.6286:                             ;   in Loop: Header=BB6_6037 Depth=3
	s_or_b32 exec_lo, exec_lo, s22
	s_and_b32 s19, s19, exec_lo
	s_or_saveexec_b32 s16, s16
	v_mov_b32_e32 v4, 0x7f800001
	s_xor_b32 exec_lo, exec_lo, s16
	s_cbranch_execnz .LBB6_7366
.LBB6_6287:                             ;   in Loop: Header=BB6_6037 Depth=3
	s_or_b32 exec_lo, exec_lo, s16
	s_and_saveexec_b32 s16, s19
	s_cbranch_execz .LBB6_6289
.LBB6_6288:                             ;   in Loop: Header=BB6_6037 Depth=3
	v_and_b32_e32 v4, 3, v39
	v_bfe_u32 v5, v39, 2, 5
	v_ffbh_u32_e32 v28, v4
	v_cmp_eq_u32_e32 vcc_lo, 0, v5
	v_min_u32_e32 v28, 32, v28
	v_subrev_nc_u32_e32 v29, 29, v28
	v_sub_nc_u32_e32 v28, 30, v28
	v_lshlrev_b32_e32 v29, v29, v39
	v_cndmask_b32_e32 v5, v5, v28, vcc_lo
	v_lshlrev_b32_e32 v28, 24, v39
	v_and_b32_e32 v29, 3, v29
	v_lshl_add_u32 v5, v5, 23, 0x37800000
	v_and_b32_e32 v28, 0x80000000, v28
	v_cndmask_b32_e32 v4, v4, v29, vcc_lo
	v_lshlrev_b32_e32 v4, 21, v4
	v_or3_b32 v4, v28, v5, v4
.LBB6_6289:                             ;   in Loop: Header=BB6_6037 Depth=3
	s_or_b32 exec_lo, exec_lo, s16
	v_mul_f32_e32 v1, v1, v4
	v_mov_b32_e32 v50, 0x80
	s_mov_b32 s19, exec_lo
	v_and_b32_e32 v4, 0x7f800000, v1
	v_cmpx_ne_u32_e32 0x7f800000, v4
	s_cbranch_execz .LBB6_6297
; %bb.6290:                             ;   in Loop: Header=BB6_6037 Depth=3
	v_mov_b32_e32 v50, 0
	s_mov_b32 s22, exec_lo
	v_cmpx_ne_u32_e32 0, v1
	s_cbranch_execz .LBB6_6296
; %bb.6291:                             ;   in Loop: Header=BB6_6037 Depth=3
	v_bfe_u32 v5, v1, 23, 8
	v_and_b32_e32 v4, 0x7fffff, v1
	v_cmp_gt_u32_e64 s16, 0x71, v5
	v_sub_nc_u32_e32 v28, 0x70, v5
	v_cmp_eq_u32_e32 vcc_lo, 0, v5
	v_or_b32_e32 v29, 0x800000, v4
	v_cndmask_b32_e64 v28, 0, v28, s16
	v_cndmask_b32_e32 v4, v29, v4, vcc_lo
	v_cndmask_b32_e64 v28, v28, 0x6f, vcc_lo
	v_lshl_add_u32 v29, 0x200000, v28, -1
	v_lshlrev_b32_e64 v31, v28, 0x100000
	v_and_b32_e32 v29, v29, v4
	v_cmp_eq_u32_e64 s16, v29, v31
	v_lshrrev_b32_e32 v29, v28, v4
	v_add_nc_u32_e32 v4, 0xffffff91, v5
	v_lshrrev_b32_e32 v5, 23, v29
	v_cndmask_b32_e64 v4, v4, 0xffffff92, vcc_lo
	v_xor_b32_e32 v5, 1, v5
	v_add_nc_u32_e32 v4, v28, v4
	v_bfe_u32 v28, v29, 21, 1
	v_add_nc_u32_e32 v28, -1, v28
	v_cndmask_b32_e64 v28, 0, v28, s16
	s_mov_b32 s16, exec_lo
	v_add_nc_u32_e32 v28, v28, v29
	v_and_b32_e32 v28, 0x1fffff, v28
	v_add_nc_u32_e32 v28, v28, v29
                                        ; implicit-def: $vgpr29
	v_cmpx_ne_u32_e64 v4, v5
	s_xor_b32 s16, exec_lo, s16
; %bb.6292:                             ;   in Loop: Header=BB6_6037 Depth=3
	v_cmp_lt_u32_e32 vcc_lo, 0xffffff, v28
	v_sub_nc_u32_e32 v4, v4, v5
	v_cndmask_b32_e64 v5, 0, 1, vcc_lo
	v_add_co_ci_u32_e64 v29, null, 0, v4, vcc_lo
	v_lshrrev_b32_e32 v28, v5, v28
; %bb.6293:                             ;   in Loop: Header=BB6_6037 Depth=3
	s_andn2_saveexec_b32 s16, s16
; %bb.6294:                             ;   in Loop: Header=BB6_6037 Depth=3
	v_bfe_u32 v29, v28, 23, 1
; %bb.6295:                             ;   in Loop: Header=BB6_6037 Depth=3
	s_or_b32 exec_lo, exec_lo, s16
	v_lshrrev_b32_e32 v4, 21, v28
	v_min_i32_e32 v5, 31, v29
	v_cmp_gt_i32_e32 vcc_lo, 32, v29
	v_and_b32_sdwa v1, v1, v60 dst_sel:DWORD dst_unused:UNUSED_PAD src0_sel:BYTE_3 src1_sel:DWORD
	v_lshlrev_b32_e32 v5, 2, v5
	v_cndmask_b32_e32 v4, 3, v4, vcc_lo
	v_and_b32_e32 v5, 0xfc, v5
	v_or_b32_e32 v28, v29, v4
	v_and_b32_e32 v4, 3, v4
	v_cmp_ne_u32_e32 vcc_lo, 0, v28
	v_or3_b32 v1, v5, v1, v4
	v_cndmask_b32_e32 v50, 0, v1, vcc_lo
.LBB6_6296:                             ;   in Loop: Header=BB6_6037 Depth=3
	s_or_b32 exec_lo, exec_lo, s22
.LBB6_6297:                             ;   in Loop: Header=BB6_6037 Depth=3
	s_or_b32 exec_lo, exec_lo, s19
	v_cmp_gt_i16_sdwa s16, v51, v59 src0_sel:BYTE_1 src1_sel:DWORD
	s_mov_b32 s19, 0
	s_and_saveexec_b32 s22, s16
	s_xor_b32 s16, exec_lo, s22
	s_cbranch_execz .LBB6_7367
; %bb.6298:                             ;   in Loop: Header=BB6_6037 Depth=3
	v_cmp_eq_u16_sdwa s23, v51, v60 src0_sel:BYTE_1 src1_sel:DWORD
	s_mov_b32 s19, -1
	s_and_saveexec_b32 s22, s23
; %bb.6299:                             ;   in Loop: Header=BB6_6037 Depth=3
	s_xor_b32 s19, exec_lo, -1
; %bb.6300:                             ;   in Loop: Header=BB6_6037 Depth=3
	s_or_b32 exec_lo, exec_lo, s22
	s_and_b32 s19, s19, exec_lo
	s_or_saveexec_b32 s16, s16
	v_mov_b32_e32 v1, 0x7f800001
	s_xor_b32 exec_lo, exec_lo, s16
	s_cbranch_execnz .LBB6_7368
.LBB6_6301:                             ;   in Loop: Header=BB6_6037 Depth=3
	s_or_b32 exec_lo, exec_lo, s16
	s_and_saveexec_b32 s16, s19
	s_cbranch_execz .LBB6_6303
.LBB6_6302:                             ;   in Loop: Header=BB6_6037 Depth=3
	v_and_b32_sdwa v1, v61, v51 dst_sel:DWORD dst_unused:UNUSED_PAD src0_sel:DWORD src1_sel:BYTE_1
	v_and_b32_e32 v4, 3, v1
	v_bfe_u32 v29, v1, 2, 5
	v_ffbh_u32_e32 v5, v4
	v_cmp_eq_u32_e32 vcc_lo, 0, v29
	v_min_u32_e32 v5, 32, v5
	v_subrev_nc_u32_e32 v28, 29, v5
	v_sub_nc_u32_e32 v5, 30, v5
	v_lshlrev_b32_e32 v1, v28, v1
	v_lshlrev_b32_sdwa v28, v62, v51 dst_sel:DWORD dst_unused:UNUSED_PAD src0_sel:DWORD src1_sel:BYTE_1
	v_cndmask_b32_e32 v5, v29, v5, vcc_lo
	v_and_b32_e32 v1, 3, v1
	v_lshl_add_u32 v5, v5, 23, 0x37800000
	v_cndmask_b32_e32 v1, v4, v1, vcc_lo
	v_and_b32_e32 v4, 0x80000000, v28
	v_lshlrev_b32_e32 v1, 21, v1
	v_or3_b32 v1, v4, v5, v1
.LBB6_6303:                             ;   in Loop: Header=BB6_6037 Depth=3
	s_or_b32 exec_lo, exec_lo, s16
	v_cmp_gt_i16_sdwa s16, v39, v59 src0_sel:BYTE_1 src1_sel:DWORD
	s_mov_b32 s19, 0
	s_and_saveexec_b32 s22, s16
	s_xor_b32 s16, exec_lo, s22
	s_cbranch_execz .LBB6_7369
; %bb.6304:                             ;   in Loop: Header=BB6_6037 Depth=3
	v_cmp_eq_u16_sdwa s23, v39, v60 src0_sel:BYTE_1 src1_sel:DWORD
	s_mov_b32 s19, -1
	s_and_saveexec_b32 s22, s23
; %bb.6305:                             ;   in Loop: Header=BB6_6037 Depth=3
	s_xor_b32 s19, exec_lo, -1
; %bb.6306:                             ;   in Loop: Header=BB6_6037 Depth=3
	s_or_b32 exec_lo, exec_lo, s22
	s_and_b32 s19, s19, exec_lo
	s_or_saveexec_b32 s16, s16
	v_mov_b32_e32 v4, 0x7f800001
	s_xor_b32 exec_lo, exec_lo, s16
	s_cbranch_execnz .LBB6_7370
.LBB6_6307:                             ;   in Loop: Header=BB6_6037 Depth=3
	s_or_b32 exec_lo, exec_lo, s16
	s_and_saveexec_b32 s16, s19
	s_cbranch_execz .LBB6_6309
.LBB6_6308:                             ;   in Loop: Header=BB6_6037 Depth=3
	v_and_b32_sdwa v4, v61, v39 dst_sel:DWORD dst_unused:UNUSED_PAD src0_sel:DWORD src1_sel:BYTE_1
	v_and_b32_e32 v5, 3, v4
	v_bfe_u32 v31, v4, 2, 5
	v_ffbh_u32_e32 v28, v5
	v_cmp_eq_u32_e32 vcc_lo, 0, v31
	v_min_u32_e32 v28, 32, v28
	v_subrev_nc_u32_e32 v29, 29, v28
	v_sub_nc_u32_e32 v28, 30, v28
	v_lshlrev_b32_e32 v4, v29, v4
	v_lshlrev_b32_sdwa v29, v62, v39 dst_sel:DWORD dst_unused:UNUSED_PAD src0_sel:DWORD src1_sel:BYTE_1
	v_cndmask_b32_e32 v28, v31, v28, vcc_lo
	v_and_b32_e32 v4, 3, v4
	v_lshl_add_u32 v28, v28, 23, 0x37800000
	v_cndmask_b32_e32 v4, v5, v4, vcc_lo
	v_and_b32_e32 v5, 0x80000000, v29
	v_lshlrev_b32_e32 v4, 21, v4
	v_or3_b32 v4, v5, v28, v4
.LBB6_6309:                             ;   in Loop: Header=BB6_6037 Depth=3
	s_or_b32 exec_lo, exec_lo, s16
	v_mul_f32_e32 v1, v1, v4
	v_mov_b32_e32 v54, 0x8000
	s_mov_b32 s19, exec_lo
	v_and_b32_e32 v4, 0x7f800000, v1
	v_cmpx_ne_u32_e32 0x7f800000, v4
	s_cbranch_execz .LBB6_6317
; %bb.6310:                             ;   in Loop: Header=BB6_6037 Depth=3
	v_mov_b32_e32 v54, 0
	s_mov_b32 s22, exec_lo
	v_cmpx_ne_u32_e32 0, v1
	s_cbranch_execz .LBB6_6316
; %bb.6311:                             ;   in Loop: Header=BB6_6037 Depth=3
	v_bfe_u32 v5, v1, 23, 8
	v_and_b32_e32 v4, 0x7fffff, v1
	v_cmp_gt_u32_e64 s16, 0x71, v5
	v_sub_nc_u32_e32 v28, 0x70, v5
	v_cmp_eq_u32_e32 vcc_lo, 0, v5
	v_or_b32_e32 v29, 0x800000, v4
	v_cndmask_b32_e64 v28, 0, v28, s16
	v_cndmask_b32_e32 v4, v29, v4, vcc_lo
	v_cndmask_b32_e64 v28, v28, 0x6f, vcc_lo
	v_lshl_add_u32 v29, 0x200000, v28, -1
	v_lshlrev_b32_e64 v31, v28, 0x100000
	v_and_b32_e32 v29, v29, v4
	v_cmp_eq_u32_e64 s16, v29, v31
	v_lshrrev_b32_e32 v29, v28, v4
	v_add_nc_u32_e32 v4, 0xffffff91, v5
	v_lshrrev_b32_e32 v5, 23, v29
	v_cndmask_b32_e64 v4, v4, 0xffffff92, vcc_lo
	v_xor_b32_e32 v5, 1, v5
	v_add_nc_u32_e32 v4, v28, v4
	v_bfe_u32 v28, v29, 21, 1
	v_add_nc_u32_e32 v28, -1, v28
	v_cndmask_b32_e64 v28, 0, v28, s16
	s_mov_b32 s16, exec_lo
	v_add_nc_u32_e32 v28, v28, v29
	v_and_b32_e32 v28, 0x1fffff, v28
	v_add_nc_u32_e32 v28, v28, v29
                                        ; implicit-def: $vgpr29
	v_cmpx_ne_u32_e64 v4, v5
	s_xor_b32 s16, exec_lo, s16
; %bb.6312:                             ;   in Loop: Header=BB6_6037 Depth=3
	v_cmp_lt_u32_e32 vcc_lo, 0xffffff, v28
	v_sub_nc_u32_e32 v4, v4, v5
	v_cndmask_b32_e64 v5, 0, 1, vcc_lo
	v_add_co_ci_u32_e64 v29, null, 0, v4, vcc_lo
	v_lshrrev_b32_e32 v28, v5, v28
; %bb.6313:                             ;   in Loop: Header=BB6_6037 Depth=3
	s_andn2_saveexec_b32 s16, s16
; %bb.6314:                             ;   in Loop: Header=BB6_6037 Depth=3
	v_bfe_u32 v29, v28, 23, 1
; %bb.6315:                             ;   in Loop: Header=BB6_6037 Depth=3
	s_or_b32 exec_lo, exec_lo, s16
	v_lshrrev_b32_e32 v4, 21, v28
	v_min_i32_e32 v5, 31, v29
	v_cmp_gt_i32_e32 vcc_lo, 32, v29
	v_and_b32_sdwa v1, v1, v60 dst_sel:DWORD dst_unused:UNUSED_PAD src0_sel:BYTE_3 src1_sel:DWORD
	v_lshlrev_b32_e32 v5, 2, v5
	v_cndmask_b32_e32 v4, 3, v4, vcc_lo
	v_and_b32_e32 v5, 0xfc, v5
	v_or_b32_e32 v28, v29, v4
	v_and_b32_e32 v4, 3, v4
	v_cmp_ne_u32_e32 vcc_lo, 0, v28
	v_or3_b32 v1, v1, v5, v4
	v_lshlrev_b32_e32 v1, 8, v1
	v_cndmask_b32_e32 v54, 0, v1, vcc_lo
.LBB6_6316:                             ;   in Loop: Header=BB6_6037 Depth=3
	s_or_b32 exec_lo, exec_lo, s22
.LBB6_6317:                             ;   in Loop: Header=BB6_6037 Depth=3
	s_or_b32 exec_lo, exec_lo, s19
	v_and_b32_sdwa v4, v51, v63 dst_sel:DWORD dst_unused:UNUSED_PAD src0_sel:WORD_1 src1_sel:DWORD
	s_mov_b32 s19, 0
	s_mov_b32 s16, exec_lo
	v_cmpx_lt_i16_e32 0x7f, v4
	s_xor_b32 s16, exec_lo, s16
	s_cbranch_execz .LBB6_7371
; %bb.6318:                             ;   in Loop: Header=BB6_6037 Depth=3
	s_mov_b32 s19, -1
	s_mov_b32 s22, exec_lo
	v_cmpx_eq_u16_e32 0x80, v4
; %bb.6319:                             ;   in Loop: Header=BB6_6037 Depth=3
	s_xor_b32 s19, exec_lo, -1
; %bb.6320:                             ;   in Loop: Header=BB6_6037 Depth=3
	s_or_b32 exec_lo, exec_lo, s22
	s_and_b32 s19, s19, exec_lo
                                        ; implicit-def: $vgpr4
	s_or_saveexec_b32 s16, s16
	v_mov_b32_e32 v1, 0x7f800001
	s_xor_b32 exec_lo, exec_lo, s16
	s_cbranch_execnz .LBB6_7372
.LBB6_6321:                             ;   in Loop: Header=BB6_6037 Depth=3
	s_or_b32 exec_lo, exec_lo, s16
	s_and_saveexec_b32 s16, s19
	s_cbranch_execz .LBB6_6323
.LBB6_6322:                             ;   in Loop: Header=BB6_6037 Depth=3
	v_bfe_u32 v1, v51, 16, 2
	v_bfe_u32 v4, v51, 18, 5
	v_ffbh_u32_e32 v5, v1
	v_cmp_eq_u32_e32 vcc_lo, 0, v4
	v_min_u32_e32 v5, 32, v5
	v_subrev_nc_u32_e32 v28, 29, v5
	v_sub_nc_u32_e32 v5, 30, v5
	v_lshlrev_b32_sdwa v28, v28, v51 dst_sel:DWORD dst_unused:UNUSED_PAD src0_sel:DWORD src1_sel:WORD_1
	v_cndmask_b32_e32 v4, v4, v5, vcc_lo
	v_lshlrev_b32_e32 v5, 8, v51
	v_and_b32_e32 v28, 3, v28
	v_lshl_add_u32 v4, v4, 23, 0x37800000
	v_and_b32_e32 v5, 0x80000000, v5
	v_cndmask_b32_e32 v1, v1, v28, vcc_lo
	v_lshlrev_b32_e32 v1, 21, v1
	v_or3_b32 v1, v5, v4, v1
.LBB6_6323:                             ;   in Loop: Header=BB6_6037 Depth=3
	s_or_b32 exec_lo, exec_lo, s16
	v_and_b32_sdwa v5, v39, v63 dst_sel:DWORD dst_unused:UNUSED_PAD src0_sel:WORD_1 src1_sel:DWORD
	s_mov_b32 s19, 0
	s_mov_b32 s16, exec_lo
	v_cmpx_lt_i16_e32 0x7f, v5
	s_xor_b32 s16, exec_lo, s16
	s_cbranch_execz .LBB6_7373
; %bb.6324:                             ;   in Loop: Header=BB6_6037 Depth=3
	s_mov_b32 s19, -1
	s_mov_b32 s22, exec_lo
	v_cmpx_eq_u16_e32 0x80, v5
; %bb.6325:                             ;   in Loop: Header=BB6_6037 Depth=3
	s_xor_b32 s19, exec_lo, -1
; %bb.6326:                             ;   in Loop: Header=BB6_6037 Depth=3
	s_or_b32 exec_lo, exec_lo, s22
	s_and_b32 s19, s19, exec_lo
                                        ; implicit-def: $vgpr5
	s_or_saveexec_b32 s16, s16
	v_mov_b32_e32 v4, 0x7f800001
	s_xor_b32 exec_lo, exec_lo, s16
	s_cbranch_execnz .LBB6_7374
.LBB6_6327:                             ;   in Loop: Header=BB6_6037 Depth=3
	s_or_b32 exec_lo, exec_lo, s16
	s_and_saveexec_b32 s16, s19
	s_cbranch_execz .LBB6_6329
.LBB6_6328:                             ;   in Loop: Header=BB6_6037 Depth=3
	v_bfe_u32 v4, v39, 16, 2
	v_bfe_u32 v5, v39, 18, 5
	v_ffbh_u32_e32 v28, v4
	v_cmp_eq_u32_e32 vcc_lo, 0, v5
	v_min_u32_e32 v28, 32, v28
	v_subrev_nc_u32_e32 v29, 29, v28
	v_sub_nc_u32_e32 v28, 30, v28
	v_lshlrev_b32_sdwa v29, v29, v39 dst_sel:DWORD dst_unused:UNUSED_PAD src0_sel:DWORD src1_sel:WORD_1
	v_cndmask_b32_e32 v5, v5, v28, vcc_lo
	v_lshlrev_b32_e32 v28, 8, v39
	v_and_b32_e32 v29, 3, v29
	v_lshl_add_u32 v5, v5, 23, 0x37800000
	v_and_b32_e32 v28, 0x80000000, v28
	v_cndmask_b32_e32 v4, v4, v29, vcc_lo
	v_lshlrev_b32_e32 v4, 21, v4
	v_or3_b32 v4, v28, v5, v4
.LBB6_6329:                             ;   in Loop: Header=BB6_6037 Depth=3
	s_or_b32 exec_lo, exec_lo, s16
	v_mul_f32_e32 v1, v1, v4
	v_mov_b32_e32 v55, 0x80
	s_mov_b32 s19, exec_lo
	v_and_b32_e32 v4, 0x7f800000, v1
	v_cmpx_ne_u32_e32 0x7f800000, v4
	s_cbranch_execz .LBB6_6337
; %bb.6330:                             ;   in Loop: Header=BB6_6037 Depth=3
	v_mov_b32_e32 v55, 0
	s_mov_b32 s22, exec_lo
	v_cmpx_ne_u32_e32 0, v1
	s_cbranch_execz .LBB6_6336
; %bb.6331:                             ;   in Loop: Header=BB6_6037 Depth=3
	v_bfe_u32 v5, v1, 23, 8
	v_and_b32_e32 v4, 0x7fffff, v1
	v_cmp_gt_u32_e64 s16, 0x71, v5
	v_sub_nc_u32_e32 v28, 0x70, v5
	v_cmp_eq_u32_e32 vcc_lo, 0, v5
	v_or_b32_e32 v29, 0x800000, v4
	v_cndmask_b32_e64 v28, 0, v28, s16
	v_cndmask_b32_e32 v4, v29, v4, vcc_lo
	v_cndmask_b32_e64 v28, v28, 0x6f, vcc_lo
	v_lshl_add_u32 v29, 0x200000, v28, -1
	v_lshlrev_b32_e64 v31, v28, 0x100000
	v_and_b32_e32 v29, v29, v4
	v_cmp_eq_u32_e64 s16, v29, v31
	v_lshrrev_b32_e32 v29, v28, v4
	v_add_nc_u32_e32 v4, 0xffffff91, v5
	v_lshrrev_b32_e32 v5, 23, v29
	v_cndmask_b32_e64 v4, v4, 0xffffff92, vcc_lo
	v_xor_b32_e32 v5, 1, v5
	v_add_nc_u32_e32 v4, v28, v4
	v_bfe_u32 v28, v29, 21, 1
	v_add_nc_u32_e32 v28, -1, v28
	v_cndmask_b32_e64 v28, 0, v28, s16
	s_mov_b32 s16, exec_lo
	v_add_nc_u32_e32 v28, v28, v29
	v_and_b32_e32 v28, 0x1fffff, v28
	v_add_nc_u32_e32 v28, v28, v29
                                        ; implicit-def: $vgpr29
	v_cmpx_ne_u32_e64 v4, v5
	s_xor_b32 s16, exec_lo, s16
; %bb.6332:                             ;   in Loop: Header=BB6_6037 Depth=3
	v_cmp_lt_u32_e32 vcc_lo, 0xffffff, v28
	v_sub_nc_u32_e32 v4, v4, v5
	v_cndmask_b32_e64 v5, 0, 1, vcc_lo
	v_add_co_ci_u32_e64 v29, null, 0, v4, vcc_lo
	v_lshrrev_b32_e32 v28, v5, v28
; %bb.6333:                             ;   in Loop: Header=BB6_6037 Depth=3
	s_andn2_saveexec_b32 s16, s16
; %bb.6334:                             ;   in Loop: Header=BB6_6037 Depth=3
	v_bfe_u32 v29, v28, 23, 1
; %bb.6335:                             ;   in Loop: Header=BB6_6037 Depth=3
	s_or_b32 exec_lo, exec_lo, s16
	v_lshrrev_b32_e32 v4, 21, v28
	v_min_i32_e32 v5, 31, v29
	v_cmp_gt_i32_e32 vcc_lo, 32, v29
	v_and_b32_sdwa v1, v1, v60 dst_sel:DWORD dst_unused:UNUSED_PAD src0_sel:BYTE_3 src1_sel:DWORD
	v_lshlrev_b32_e32 v5, 2, v5
	v_cndmask_b32_e32 v4, 3, v4, vcc_lo
	v_and_b32_e32 v5, 0xfc, v5
	v_or_b32_e32 v28, v29, v4
	v_and_b32_e32 v4, 3, v4
	v_cmp_ne_u32_e32 vcc_lo, 0, v28
	v_or3_b32 v1, v5, v1, v4
	v_cndmask_b32_e32 v55, 0, v1, vcc_lo
.LBB6_6336:                             ;   in Loop: Header=BB6_6037 Depth=3
	s_or_b32 exec_lo, exec_lo, s22
.LBB6_6337:                             ;   in Loop: Header=BB6_6037 Depth=3
	s_or_b32 exec_lo, exec_lo, s19
	v_cmp_gt_i16_sdwa s16, v51, v59 src0_sel:BYTE_3 src1_sel:DWORD
	s_mov_b32 s19, 0
	s_and_saveexec_b32 s22, s16
	s_xor_b32 s16, exec_lo, s22
	s_cbranch_execz .LBB6_7375
; %bb.6338:                             ;   in Loop: Header=BB6_6037 Depth=3
	v_cmp_eq_u16_sdwa s23, v51, v60 src0_sel:BYTE_3 src1_sel:DWORD
	s_mov_b32 s19, -1
	s_and_saveexec_b32 s22, s23
; %bb.6339:                             ;   in Loop: Header=BB6_6037 Depth=3
	s_xor_b32 s19, exec_lo, -1
; %bb.6340:                             ;   in Loop: Header=BB6_6037 Depth=3
	s_or_b32 exec_lo, exec_lo, s22
	s_and_b32 s19, s19, exec_lo
	s_or_saveexec_b32 s16, s16
	v_mov_b32_e32 v1, 0x7f800001
	s_xor_b32 exec_lo, exec_lo, s16
	s_cbranch_execnz .LBB6_7376
.LBB6_6341:                             ;   in Loop: Header=BB6_6037 Depth=3
	s_or_b32 exec_lo, exec_lo, s16
	s_and_saveexec_b32 s16, s19
	s_cbranch_execz .LBB6_6343
.LBB6_6342:                             ;   in Loop: Header=BB6_6037 Depth=3
	v_bfe_u32 v1, v51, 24, 2
	v_bfe_u32 v28, v51, 26, 5
	v_ffbh_u32_e32 v4, v1
	v_cmp_eq_u32_e32 vcc_lo, 0, v28
	v_min_u32_e32 v4, 32, v4
	v_subrev_nc_u32_e32 v5, 29, v4
	v_sub_nc_u32_e32 v4, 30, v4
	v_lshlrev_b32_sdwa v5, v5, v51 dst_sel:DWORD dst_unused:UNUSED_PAD src0_sel:DWORD src1_sel:BYTE_3
	v_cndmask_b32_e32 v4, v28, v4, vcc_lo
	v_and_b32_e32 v5, 3, v5
	v_lshl_add_u32 v4, v4, 23, 0x37800000
	v_cndmask_b32_e32 v1, v1, v5, vcc_lo
	v_and_b32_e32 v5, 0x80000000, v51
	v_lshlrev_b32_e32 v1, 21, v1
	v_or3_b32 v1, v5, v4, v1
.LBB6_6343:                             ;   in Loop: Header=BB6_6037 Depth=3
	s_or_b32 exec_lo, exec_lo, s16
	v_cmp_gt_i16_sdwa s16, v39, v59 src0_sel:BYTE_3 src1_sel:DWORD
	s_mov_b32 s19, 0
	s_and_saveexec_b32 s22, s16
	s_xor_b32 s16, exec_lo, s22
	s_cbranch_execz .LBB6_7377
; %bb.6344:                             ;   in Loop: Header=BB6_6037 Depth=3
	v_cmp_eq_u16_sdwa s23, v39, v60 src0_sel:BYTE_3 src1_sel:DWORD
	s_mov_b32 s19, -1
	s_and_saveexec_b32 s22, s23
; %bb.6345:                             ;   in Loop: Header=BB6_6037 Depth=3
	s_xor_b32 s19, exec_lo, -1
; %bb.6346:                             ;   in Loop: Header=BB6_6037 Depth=3
	s_or_b32 exec_lo, exec_lo, s22
	s_and_b32 s19, s19, exec_lo
	s_or_saveexec_b32 s16, s16
	v_mov_b32_e32 v4, 0x7f800001
	s_xor_b32 exec_lo, exec_lo, s16
	s_cbranch_execnz .LBB6_7378
.LBB6_6347:                             ;   in Loop: Header=BB6_6037 Depth=3
	s_or_b32 exec_lo, exec_lo, s16
	s_and_saveexec_b32 s16, s19
	s_cbranch_execz .LBB6_6349
.LBB6_6348:                             ;   in Loop: Header=BB6_6037 Depth=3
	v_bfe_u32 v4, v39, 24, 2
	v_bfe_u32 v29, v39, 26, 5
	v_ffbh_u32_e32 v5, v4
	v_cmp_eq_u32_e32 vcc_lo, 0, v29
	v_min_u32_e32 v5, 32, v5
	v_subrev_nc_u32_e32 v28, 29, v5
	v_sub_nc_u32_e32 v5, 30, v5
	v_lshlrev_b32_sdwa v28, v28, v39 dst_sel:DWORD dst_unused:UNUSED_PAD src0_sel:DWORD src1_sel:BYTE_3
	v_cndmask_b32_e32 v5, v29, v5, vcc_lo
	v_and_b32_e32 v28, 3, v28
	v_lshl_add_u32 v5, v5, 23, 0x37800000
	v_cndmask_b32_e32 v4, v4, v28, vcc_lo
	v_and_b32_e32 v28, 0x80000000, v39
	v_lshlrev_b32_e32 v4, 21, v4
	v_or3_b32 v4, v28, v5, v4
.LBB6_6349:                             ;   in Loop: Header=BB6_6037 Depth=3
	s_or_b32 exec_lo, exec_lo, s16
	v_mul_f32_e32 v1, v1, v4
	v_mov_b32_e32 v39, 0x8000
	s_mov_b32 s19, exec_lo
	v_and_b32_e32 v4, 0x7f800000, v1
	v_cmpx_ne_u32_e32 0x7f800000, v4
	s_cbranch_execz .LBB6_6357
; %bb.6350:                             ;   in Loop: Header=BB6_6037 Depth=3
	v_mov_b32_e32 v39, 0
	s_mov_b32 s22, exec_lo
	v_cmpx_ne_u32_e32 0, v1
	s_cbranch_execz .LBB6_6356
; %bb.6351:                             ;   in Loop: Header=BB6_6037 Depth=3
	v_bfe_u32 v5, v1, 23, 8
	v_and_b32_e32 v4, 0x7fffff, v1
	v_cmp_gt_u32_e64 s16, 0x71, v5
	v_sub_nc_u32_e32 v28, 0x70, v5
	v_cmp_eq_u32_e32 vcc_lo, 0, v5
	v_or_b32_e32 v29, 0x800000, v4
	v_cndmask_b32_e64 v28, 0, v28, s16
	v_cndmask_b32_e32 v4, v29, v4, vcc_lo
	v_cndmask_b32_e64 v28, v28, 0x6f, vcc_lo
	v_lshl_add_u32 v29, 0x200000, v28, -1
	v_lshlrev_b32_e64 v31, v28, 0x100000
	v_and_b32_e32 v29, v29, v4
	v_cmp_eq_u32_e64 s16, v29, v31
	v_lshrrev_b32_e32 v29, v28, v4
	v_add_nc_u32_e32 v4, 0xffffff91, v5
	v_lshrrev_b32_e32 v5, 23, v29
	v_cndmask_b32_e64 v4, v4, 0xffffff92, vcc_lo
	v_xor_b32_e32 v5, 1, v5
	v_add_nc_u32_e32 v4, v28, v4
	v_bfe_u32 v28, v29, 21, 1
	v_add_nc_u32_e32 v28, -1, v28
	v_cndmask_b32_e64 v28, 0, v28, s16
	s_mov_b32 s16, exec_lo
	v_add_nc_u32_e32 v28, v28, v29
	v_and_b32_e32 v28, 0x1fffff, v28
	v_add_nc_u32_e32 v28, v28, v29
                                        ; implicit-def: $vgpr29
	v_cmpx_ne_u32_e64 v4, v5
	s_xor_b32 s16, exec_lo, s16
; %bb.6352:                             ;   in Loop: Header=BB6_6037 Depth=3
	v_cmp_lt_u32_e32 vcc_lo, 0xffffff, v28
	v_sub_nc_u32_e32 v4, v4, v5
	v_cndmask_b32_e64 v5, 0, 1, vcc_lo
	v_add_co_ci_u32_e64 v29, null, 0, v4, vcc_lo
	v_lshrrev_b32_e32 v28, v5, v28
; %bb.6353:                             ;   in Loop: Header=BB6_6037 Depth=3
	s_andn2_saveexec_b32 s16, s16
; %bb.6354:                             ;   in Loop: Header=BB6_6037 Depth=3
	v_bfe_u32 v29, v28, 23, 1
; %bb.6355:                             ;   in Loop: Header=BB6_6037 Depth=3
	s_or_b32 exec_lo, exec_lo, s16
	v_lshrrev_b32_e32 v4, 21, v28
	v_min_i32_e32 v5, 31, v29
	v_cmp_gt_i32_e32 vcc_lo, 32, v29
	v_and_b32_sdwa v1, v1, v60 dst_sel:DWORD dst_unused:UNUSED_PAD src0_sel:BYTE_3 src1_sel:DWORD
	v_lshlrev_b32_e32 v5, 2, v5
	v_cndmask_b32_e32 v4, 3, v4, vcc_lo
	v_and_b32_e32 v5, 0xfc, v5
	v_or_b32_e32 v28, v29, v4
	v_and_b32_e32 v4, 3, v4
	v_cmp_ne_u32_e32 vcc_lo, 0, v28
	v_or3_b32 v1, v1, v5, v4
	v_lshlrev_b32_e32 v1, 8, v1
	v_cndmask_b32_e32 v39, 0, v1, vcc_lo
.LBB6_6356:                             ;   in Loop: Header=BB6_6037 Depth=3
	s_or_b32 exec_lo, exec_lo, s22
.LBB6_6357:                             ;   in Loop: Header=BB6_6037 Depth=3
	s_or_b32 exec_lo, exec_lo, s19
	v_cmp_gt_i16_sdwa s16, v32, v59 src0_sel:BYTE_0 src1_sel:DWORD
	s_mov_b32 s19, 0
	s_and_saveexec_b32 s22, s16
	s_xor_b32 s16, exec_lo, s22
	s_cbranch_execz .LBB6_7379
; %bb.6358:                             ;   in Loop: Header=BB6_6037 Depth=3
	v_cmp_eq_u16_sdwa s23, v32, v60 src0_sel:BYTE_0 src1_sel:DWORD
	s_mov_b32 s19, -1
	s_and_saveexec_b32 s22, s23
; %bb.6359:                             ;   in Loop: Header=BB6_6037 Depth=3
	s_xor_b32 s19, exec_lo, -1
; %bb.6360:                             ;   in Loop: Header=BB6_6037 Depth=3
	s_or_b32 exec_lo, exec_lo, s22
	s_and_b32 s19, s19, exec_lo
	s_or_saveexec_b32 s16, s16
	v_mov_b32_e32 v1, 0x7f800001
	s_xor_b32 exec_lo, exec_lo, s16
	s_cbranch_execnz .LBB6_7380
.LBB6_6361:                             ;   in Loop: Header=BB6_6037 Depth=3
	s_or_b32 exec_lo, exec_lo, s16
	s_and_saveexec_b32 s16, s19
	s_cbranch_execz .LBB6_6363
.LBB6_6362:                             ;   in Loop: Header=BB6_6037 Depth=3
	v_and_b32_e32 v1, 3, v32
	v_bfe_u32 v4, v32, 2, 5
	v_ffbh_u32_e32 v5, v1
	v_cmp_eq_u32_e32 vcc_lo, 0, v4
	v_min_u32_e32 v5, 32, v5
	v_subrev_nc_u32_e32 v28, 29, v5
	v_sub_nc_u32_e32 v5, 30, v5
	v_lshlrev_b32_e32 v28, v28, v32
	v_cndmask_b32_e32 v4, v4, v5, vcc_lo
	v_lshlrev_b32_e32 v5, 24, v32
	v_and_b32_e32 v28, 3, v28
	v_lshl_add_u32 v4, v4, 23, 0x37800000
	v_and_b32_e32 v5, 0x80000000, v5
	v_cndmask_b32_e32 v1, v1, v28, vcc_lo
	v_lshlrev_b32_e32 v1, 21, v1
	v_or3_b32 v1, v5, v4, v1
.LBB6_6363:                             ;   in Loop: Header=BB6_6037 Depth=3
	s_or_b32 exec_lo, exec_lo, s16
	s_waitcnt vmcnt(2)
	v_cmp_gt_i16_sdwa s16, v24, v59 src0_sel:BYTE_0 src1_sel:DWORD
	s_mov_b32 s19, 0
	s_and_saveexec_b32 s22, s16
	s_xor_b32 s16, exec_lo, s22
	s_cbranch_execz .LBB6_7381
; %bb.6364:                             ;   in Loop: Header=BB6_6037 Depth=3
	v_cmp_eq_u16_sdwa s23, v24, v60 src0_sel:BYTE_0 src1_sel:DWORD
	s_mov_b32 s19, -1
	s_and_saveexec_b32 s22, s23
; %bb.6365:                             ;   in Loop: Header=BB6_6037 Depth=3
	s_xor_b32 s19, exec_lo, -1
; %bb.6366:                             ;   in Loop: Header=BB6_6037 Depth=3
	s_or_b32 exec_lo, exec_lo, s22
	s_and_b32 s19, s19, exec_lo
	s_or_saveexec_b32 s16, s16
	v_mov_b32_e32 v4, 0x7f800001
	s_xor_b32 exec_lo, exec_lo, s16
	s_cbranch_execnz .LBB6_7382
.LBB6_6367:                             ;   in Loop: Header=BB6_6037 Depth=3
	s_or_b32 exec_lo, exec_lo, s16
	s_and_saveexec_b32 s16, s19
	s_cbranch_execz .LBB6_6369
.LBB6_6368:                             ;   in Loop: Header=BB6_6037 Depth=3
	v_and_b32_e32 v4, 3, v24
	v_bfe_u32 v5, v24, 2, 5
	v_ffbh_u32_e32 v28, v4
	v_cmp_eq_u32_e32 vcc_lo, 0, v5
	v_min_u32_e32 v28, 32, v28
	v_subrev_nc_u32_e32 v29, 29, v28
	v_sub_nc_u32_e32 v28, 30, v28
	v_lshlrev_b32_e32 v29, v29, v24
	v_cndmask_b32_e32 v5, v5, v28, vcc_lo
	v_lshlrev_b32_e32 v28, 24, v24
	v_and_b32_e32 v29, 3, v29
	v_lshl_add_u32 v5, v5, 23, 0x37800000
	v_and_b32_e32 v28, 0x80000000, v28
	v_cndmask_b32_e32 v4, v4, v29, vcc_lo
	v_lshlrev_b32_e32 v4, 21, v4
	v_or3_b32 v4, v28, v5, v4
.LBB6_6369:                             ;   in Loop: Header=BB6_6037 Depth=3
	s_or_b32 exec_lo, exec_lo, s16
	v_mul_f32_e32 v1, v1, v4
	v_mov_b32_e32 v51, 0x80
	s_mov_b32 s19, exec_lo
	v_and_b32_e32 v4, 0x7f800000, v1
	v_cmpx_ne_u32_e32 0x7f800000, v4
	s_cbranch_execz .LBB6_6377
; %bb.6370:                             ;   in Loop: Header=BB6_6037 Depth=3
	v_mov_b32_e32 v51, 0
	s_mov_b32 s22, exec_lo
	v_cmpx_ne_u32_e32 0, v1
	s_cbranch_execz .LBB6_6376
; %bb.6371:                             ;   in Loop: Header=BB6_6037 Depth=3
	v_bfe_u32 v5, v1, 23, 8
	v_and_b32_e32 v4, 0x7fffff, v1
	v_cmp_gt_u32_e64 s16, 0x71, v5
	v_sub_nc_u32_e32 v28, 0x70, v5
	v_cmp_eq_u32_e32 vcc_lo, 0, v5
	v_or_b32_e32 v29, 0x800000, v4
	v_cndmask_b32_e64 v28, 0, v28, s16
	v_cndmask_b32_e32 v4, v29, v4, vcc_lo
	v_cndmask_b32_e64 v28, v28, 0x6f, vcc_lo
	v_lshl_add_u32 v29, 0x200000, v28, -1
	v_lshlrev_b32_e64 v31, v28, 0x100000
	v_and_b32_e32 v29, v29, v4
	v_cmp_eq_u32_e64 s16, v29, v31
	v_lshrrev_b32_e32 v29, v28, v4
	v_add_nc_u32_e32 v4, 0xffffff91, v5
	v_lshrrev_b32_e32 v5, 23, v29
	v_cndmask_b32_e64 v4, v4, 0xffffff92, vcc_lo
	v_xor_b32_e32 v5, 1, v5
	v_add_nc_u32_e32 v4, v28, v4
	v_bfe_u32 v28, v29, 21, 1
	v_add_nc_u32_e32 v28, -1, v28
	v_cndmask_b32_e64 v28, 0, v28, s16
	s_mov_b32 s16, exec_lo
	v_add_nc_u32_e32 v28, v28, v29
	v_and_b32_e32 v28, 0x1fffff, v28
	v_add_nc_u32_e32 v28, v28, v29
                                        ; implicit-def: $vgpr29
	v_cmpx_ne_u32_e64 v4, v5
	s_xor_b32 s16, exec_lo, s16
; %bb.6372:                             ;   in Loop: Header=BB6_6037 Depth=3
	v_cmp_lt_u32_e32 vcc_lo, 0xffffff, v28
	v_sub_nc_u32_e32 v4, v4, v5
	v_cndmask_b32_e64 v5, 0, 1, vcc_lo
	v_add_co_ci_u32_e64 v29, null, 0, v4, vcc_lo
	v_lshrrev_b32_e32 v28, v5, v28
; %bb.6373:                             ;   in Loop: Header=BB6_6037 Depth=3
	s_andn2_saveexec_b32 s16, s16
; %bb.6374:                             ;   in Loop: Header=BB6_6037 Depth=3
	v_bfe_u32 v29, v28, 23, 1
; %bb.6375:                             ;   in Loop: Header=BB6_6037 Depth=3
	s_or_b32 exec_lo, exec_lo, s16
	v_lshrrev_b32_e32 v4, 21, v28
	v_min_i32_e32 v5, 31, v29
	v_cmp_gt_i32_e32 vcc_lo, 32, v29
	v_and_b32_sdwa v1, v1, v60 dst_sel:DWORD dst_unused:UNUSED_PAD src0_sel:BYTE_3 src1_sel:DWORD
	v_lshlrev_b32_e32 v5, 2, v5
	v_cndmask_b32_e32 v4, 3, v4, vcc_lo
	v_and_b32_e32 v5, 0xfc, v5
	v_or_b32_e32 v28, v29, v4
	v_and_b32_e32 v4, 3, v4
	v_cmp_ne_u32_e32 vcc_lo, 0, v28
	v_or3_b32 v1, v5, v1, v4
	v_cndmask_b32_e32 v51, 0, v1, vcc_lo
.LBB6_6376:                             ;   in Loop: Header=BB6_6037 Depth=3
	s_or_b32 exec_lo, exec_lo, s22
.LBB6_6377:                             ;   in Loop: Header=BB6_6037 Depth=3
	s_or_b32 exec_lo, exec_lo, s19
	v_cmp_gt_i16_sdwa s19, v32, v59 src0_sel:BYTE_1 src1_sel:DWORD
	s_mov_b32 s16, 0
	s_and_saveexec_b32 s22, s19
	s_xor_b32 s19, exec_lo, s22
	s_cbranch_execz .LBB6_7383
; %bb.6378:                             ;   in Loop: Header=BB6_6037 Depth=3
	v_cmp_eq_u16_sdwa s23, v32, v60 src0_sel:BYTE_1 src1_sel:DWORD
	s_mov_b32 s16, -1
	s_and_saveexec_b32 s22, s23
; %bb.6379:                             ;   in Loop: Header=BB6_6037 Depth=3
	s_xor_b32 s16, exec_lo, -1
; %bb.6380:                             ;   in Loop: Header=BB6_6037 Depth=3
	s_or_b32 exec_lo, exec_lo, s22
	s_and_b32 s16, s16, exec_lo
	s_or_saveexec_b32 s19, s19
	v_mov_b32_e32 v1, 0x7f800001
	s_xor_b32 exec_lo, exec_lo, s19
	s_cbranch_execnz .LBB6_7384
.LBB6_6381:                             ;   in Loop: Header=BB6_6037 Depth=3
	s_or_b32 exec_lo, exec_lo, s19
	s_and_saveexec_b32 s19, s16
	s_cbranch_execz .LBB6_6383
.LBB6_6382:                             ;   in Loop: Header=BB6_6037 Depth=3
	v_and_b32_sdwa v1, v61, v32 dst_sel:DWORD dst_unused:UNUSED_PAD src0_sel:DWORD src1_sel:BYTE_1
	v_and_b32_e32 v4, 3, v1
	v_bfe_u32 v29, v1, 2, 5
	v_ffbh_u32_e32 v5, v4
	v_cmp_eq_u32_e32 vcc_lo, 0, v29
	v_min_u32_e32 v5, 32, v5
	v_subrev_nc_u32_e32 v28, 29, v5
	v_sub_nc_u32_e32 v5, 30, v5
	v_lshlrev_b32_e32 v1, v28, v1
	v_lshlrev_b32_sdwa v28, v62, v32 dst_sel:DWORD dst_unused:UNUSED_PAD src0_sel:DWORD src1_sel:BYTE_1
	v_cndmask_b32_e32 v5, v29, v5, vcc_lo
	v_and_b32_e32 v1, 3, v1
	v_lshl_add_u32 v5, v5, 23, 0x37800000
	v_cndmask_b32_e32 v1, v4, v1, vcc_lo
	v_and_b32_e32 v4, 0x80000000, v28
	v_lshlrev_b32_e32 v1, 21, v1
	v_or3_b32 v1, v4, v5, v1
.LBB6_6383:                             ;   in Loop: Header=BB6_6037 Depth=3
	s_or_b32 exec_lo, exec_lo, s19
	v_cmp_gt_i16_sdwa s19, v24, v59 src0_sel:BYTE_1 src1_sel:DWORD
	s_mov_b32 s16, 0
	s_and_saveexec_b32 s22, s19
	s_xor_b32 s19, exec_lo, s22
	s_cbranch_execz .LBB6_7385
; %bb.6384:                             ;   in Loop: Header=BB6_6037 Depth=3
	v_cmp_eq_u16_sdwa s23, v24, v60 src0_sel:BYTE_1 src1_sel:DWORD
	s_mov_b32 s16, -1
	s_and_saveexec_b32 s22, s23
; %bb.6385:                             ;   in Loop: Header=BB6_6037 Depth=3
	s_xor_b32 s16, exec_lo, -1
; %bb.6386:                             ;   in Loop: Header=BB6_6037 Depth=3
	s_or_b32 exec_lo, exec_lo, s22
	s_and_b32 s16, s16, exec_lo
	s_or_saveexec_b32 s19, s19
	v_mov_b32_e32 v4, 0x7f800001
	s_xor_b32 exec_lo, exec_lo, s19
	s_cbranch_execnz .LBB6_7386
.LBB6_6387:                             ;   in Loop: Header=BB6_6037 Depth=3
	s_or_b32 exec_lo, exec_lo, s19
	s_and_saveexec_b32 s19, s16
	s_cbranch_execz .LBB6_6389
.LBB6_6388:                             ;   in Loop: Header=BB6_6037 Depth=3
	v_and_b32_sdwa v4, v61, v24 dst_sel:DWORD dst_unused:UNUSED_PAD src0_sel:DWORD src1_sel:BYTE_1
	v_and_b32_e32 v5, 3, v4
	v_bfe_u32 v31, v4, 2, 5
	v_ffbh_u32_e32 v28, v5
	v_cmp_eq_u32_e32 vcc_lo, 0, v31
	v_min_u32_e32 v28, 32, v28
	v_subrev_nc_u32_e32 v29, 29, v28
	v_sub_nc_u32_e32 v28, 30, v28
	v_lshlrev_b32_e32 v4, v29, v4
	v_lshlrev_b32_sdwa v29, v62, v24 dst_sel:DWORD dst_unused:UNUSED_PAD src0_sel:DWORD src1_sel:BYTE_1
	v_cndmask_b32_e32 v28, v31, v28, vcc_lo
	v_and_b32_e32 v4, 3, v4
	v_lshl_add_u32 v28, v28, 23, 0x37800000
	v_cndmask_b32_e32 v4, v5, v4, vcc_lo
	v_and_b32_e32 v5, 0x80000000, v29
	v_lshlrev_b32_e32 v4, 21, v4
	v_or3_b32 v4, v5, v28, v4
.LBB6_6389:                             ;   in Loop: Header=BB6_6037 Depth=3
	s_or_b32 exec_lo, exec_lo, s19
	v_mul_f32_e32 v1, v1, v4
	v_mov_b32_e32 v123, 0x8000
	s_mov_b32 s19, exec_lo
	v_and_b32_e32 v4, 0x7f800000, v1
	v_cmpx_ne_u32_e32 0x7f800000, v4
	s_cbranch_execz .LBB6_6397
; %bb.6390:                             ;   in Loop: Header=BB6_6037 Depth=3
	v_mov_b32_e32 v123, 0
	s_mov_b32 s22, exec_lo
	v_cmpx_ne_u32_e32 0, v1
	s_cbranch_execz .LBB6_6396
; %bb.6391:                             ;   in Loop: Header=BB6_6037 Depth=3
	v_bfe_u32 v5, v1, 23, 8
	v_and_b32_e32 v4, 0x7fffff, v1
	v_cmp_gt_u32_e64 s16, 0x71, v5
	v_sub_nc_u32_e32 v28, 0x70, v5
	v_cmp_eq_u32_e32 vcc_lo, 0, v5
	v_or_b32_e32 v29, 0x800000, v4
	v_cndmask_b32_e64 v28, 0, v28, s16
	v_cndmask_b32_e32 v4, v29, v4, vcc_lo
	v_cndmask_b32_e64 v28, v28, 0x6f, vcc_lo
	v_lshl_add_u32 v29, 0x200000, v28, -1
	v_lshlrev_b32_e64 v31, v28, 0x100000
	v_and_b32_e32 v29, v29, v4
	v_cmp_eq_u32_e64 s16, v29, v31
	v_lshrrev_b32_e32 v29, v28, v4
	v_add_nc_u32_e32 v4, 0xffffff91, v5
	v_lshrrev_b32_e32 v5, 23, v29
	v_cndmask_b32_e64 v4, v4, 0xffffff92, vcc_lo
	v_xor_b32_e32 v5, 1, v5
	v_add_nc_u32_e32 v4, v28, v4
	v_bfe_u32 v28, v29, 21, 1
	v_add_nc_u32_e32 v28, -1, v28
	v_cndmask_b32_e64 v28, 0, v28, s16
	s_mov_b32 s16, exec_lo
	v_add_nc_u32_e32 v28, v28, v29
	v_and_b32_e32 v28, 0x1fffff, v28
	v_add_nc_u32_e32 v28, v28, v29
                                        ; implicit-def: $vgpr29
	v_cmpx_ne_u32_e64 v4, v5
	s_xor_b32 s16, exec_lo, s16
; %bb.6392:                             ;   in Loop: Header=BB6_6037 Depth=3
	v_cmp_lt_u32_e32 vcc_lo, 0xffffff, v28
	v_sub_nc_u32_e32 v4, v4, v5
	v_cndmask_b32_e64 v5, 0, 1, vcc_lo
	v_add_co_ci_u32_e64 v29, null, 0, v4, vcc_lo
	v_lshrrev_b32_e32 v28, v5, v28
; %bb.6393:                             ;   in Loop: Header=BB6_6037 Depth=3
	s_andn2_saveexec_b32 s16, s16
; %bb.6394:                             ;   in Loop: Header=BB6_6037 Depth=3
	v_bfe_u32 v29, v28, 23, 1
; %bb.6395:                             ;   in Loop: Header=BB6_6037 Depth=3
	s_or_b32 exec_lo, exec_lo, s16
	v_lshrrev_b32_e32 v4, 21, v28
	v_min_i32_e32 v5, 31, v29
	v_cmp_gt_i32_e32 vcc_lo, 32, v29
	v_and_b32_sdwa v1, v1, v60 dst_sel:DWORD dst_unused:UNUSED_PAD src0_sel:BYTE_3 src1_sel:DWORD
	v_lshlrev_b32_e32 v5, 2, v5
	v_cndmask_b32_e32 v4, 3, v4, vcc_lo
	v_and_b32_e32 v5, 0xfc, v5
	v_or_b32_e32 v28, v29, v4
	v_and_b32_e32 v4, 3, v4
	v_cmp_ne_u32_e32 vcc_lo, 0, v28
	v_or3_b32 v1, v1, v5, v4
	v_lshlrev_b32_e32 v1, 8, v1
	v_cndmask_b32_e32 v123, 0, v1, vcc_lo
.LBB6_6396:                             ;   in Loop: Header=BB6_6037 Depth=3
	s_or_b32 exec_lo, exec_lo, s22
.LBB6_6397:                             ;   in Loop: Header=BB6_6037 Depth=3
	s_or_b32 exec_lo, exec_lo, s19
	v_and_b32_sdwa v4, v32, v63 dst_sel:DWORD dst_unused:UNUSED_PAD src0_sel:WORD_1 src1_sel:DWORD
	s_mov_b32 s19, 0
	s_mov_b32 s16, exec_lo
	v_cmpx_lt_i16_e32 0x7f, v4
	s_xor_b32 s16, exec_lo, s16
	s_cbranch_execz .LBB6_7387
; %bb.6398:                             ;   in Loop: Header=BB6_6037 Depth=3
	s_mov_b32 s19, -1
	s_mov_b32 s22, exec_lo
	v_cmpx_eq_u16_e32 0x80, v4
; %bb.6399:                             ;   in Loop: Header=BB6_6037 Depth=3
	s_xor_b32 s19, exec_lo, -1
; %bb.6400:                             ;   in Loop: Header=BB6_6037 Depth=3
	s_or_b32 exec_lo, exec_lo, s22
	s_and_b32 s19, s19, exec_lo
                                        ; implicit-def: $vgpr4
	s_or_saveexec_b32 s16, s16
	v_mov_b32_e32 v1, 0x7f800001
	s_xor_b32 exec_lo, exec_lo, s16
	s_cbranch_execnz .LBB6_7388
.LBB6_6401:                             ;   in Loop: Header=BB6_6037 Depth=3
	s_or_b32 exec_lo, exec_lo, s16
	s_and_saveexec_b32 s16, s19
	s_cbranch_execz .LBB6_6403
.LBB6_6402:                             ;   in Loop: Header=BB6_6037 Depth=3
	v_bfe_u32 v1, v32, 16, 2
	v_bfe_u32 v4, v32, 18, 5
	v_ffbh_u32_e32 v5, v1
	v_cmp_eq_u32_e32 vcc_lo, 0, v4
	v_min_u32_e32 v5, 32, v5
	v_subrev_nc_u32_e32 v28, 29, v5
	v_sub_nc_u32_e32 v5, 30, v5
	v_lshlrev_b32_sdwa v28, v28, v32 dst_sel:DWORD dst_unused:UNUSED_PAD src0_sel:DWORD src1_sel:WORD_1
	v_cndmask_b32_e32 v4, v4, v5, vcc_lo
	v_lshlrev_b32_e32 v5, 8, v32
	v_and_b32_e32 v28, 3, v28
	v_lshl_add_u32 v4, v4, 23, 0x37800000
	v_and_b32_e32 v5, 0x80000000, v5
	v_cndmask_b32_e32 v1, v1, v28, vcc_lo
	v_lshlrev_b32_e32 v1, 21, v1
	v_or3_b32 v1, v5, v4, v1
.LBB6_6403:                             ;   in Loop: Header=BB6_6037 Depth=3
	s_or_b32 exec_lo, exec_lo, s16
	v_and_b32_sdwa v5, v24, v63 dst_sel:DWORD dst_unused:UNUSED_PAD src0_sel:WORD_1 src1_sel:DWORD
	s_mov_b32 s19, 0
	s_mov_b32 s16, exec_lo
	v_cmpx_lt_i16_e32 0x7f, v5
	s_xor_b32 s16, exec_lo, s16
	s_cbranch_execz .LBB6_7389
; %bb.6404:                             ;   in Loop: Header=BB6_6037 Depth=3
	s_mov_b32 s19, -1
	s_mov_b32 s22, exec_lo
	v_cmpx_eq_u16_e32 0x80, v5
; %bb.6405:                             ;   in Loop: Header=BB6_6037 Depth=3
	s_xor_b32 s19, exec_lo, -1
; %bb.6406:                             ;   in Loop: Header=BB6_6037 Depth=3
	s_or_b32 exec_lo, exec_lo, s22
	s_and_b32 s19, s19, exec_lo
                                        ; implicit-def: $vgpr5
	s_or_saveexec_b32 s16, s16
	v_mov_b32_e32 v4, 0x7f800001
	s_xor_b32 exec_lo, exec_lo, s16
	s_cbranch_execnz .LBB6_7390
.LBB6_6407:                             ;   in Loop: Header=BB6_6037 Depth=3
	s_or_b32 exec_lo, exec_lo, s16
	s_and_saveexec_b32 s16, s19
	s_cbranch_execz .LBB6_6409
.LBB6_6408:                             ;   in Loop: Header=BB6_6037 Depth=3
	v_bfe_u32 v4, v24, 16, 2
	v_bfe_u32 v5, v24, 18, 5
	v_ffbh_u32_e32 v28, v4
	v_cmp_eq_u32_e32 vcc_lo, 0, v5
	v_min_u32_e32 v28, 32, v28
	v_subrev_nc_u32_e32 v29, 29, v28
	v_sub_nc_u32_e32 v28, 30, v28
	v_lshlrev_b32_sdwa v29, v29, v24 dst_sel:DWORD dst_unused:UNUSED_PAD src0_sel:DWORD src1_sel:WORD_1
	v_cndmask_b32_e32 v5, v5, v28, vcc_lo
	v_lshlrev_b32_e32 v28, 8, v24
	v_and_b32_e32 v29, 3, v29
	v_lshl_add_u32 v5, v5, 23, 0x37800000
	v_and_b32_e32 v28, 0x80000000, v28
	v_cndmask_b32_e32 v4, v4, v29, vcc_lo
	v_lshlrev_b32_e32 v4, 21, v4
	v_or3_b32 v4, v28, v5, v4
.LBB6_6409:                             ;   in Loop: Header=BB6_6037 Depth=3
	s_or_b32 exec_lo, exec_lo, s16
	v_mul_f32_e32 v1, v1, v4
	v_mov_b32_e32 v28, 0x80
	s_mov_b32 s19, exec_lo
	v_and_b32_e32 v4, 0x7f800000, v1
	v_cmpx_ne_u32_e32 0x7f800000, v4
	s_cbranch_execz .LBB6_6417
; %bb.6410:                             ;   in Loop: Header=BB6_6037 Depth=3
	v_mov_b32_e32 v28, 0
	s_mov_b32 s22, exec_lo
	v_cmpx_ne_u32_e32 0, v1
	s_cbranch_execz .LBB6_6416
; %bb.6411:                             ;   in Loop: Header=BB6_6037 Depth=3
	v_bfe_u32 v5, v1, 23, 8
	v_and_b32_e32 v4, 0x7fffff, v1
	v_cmp_gt_u32_e64 s16, 0x71, v5
	v_sub_nc_u32_e32 v28, 0x70, v5
	v_cmp_eq_u32_e32 vcc_lo, 0, v5
	v_or_b32_e32 v29, 0x800000, v4
	v_cndmask_b32_e64 v28, 0, v28, s16
	v_cndmask_b32_e32 v4, v29, v4, vcc_lo
	v_cndmask_b32_e64 v28, v28, 0x6f, vcc_lo
	v_lshl_add_u32 v29, 0x200000, v28, -1
	v_lshlrev_b32_e64 v31, v28, 0x100000
	v_and_b32_e32 v29, v29, v4
	v_cmp_eq_u32_e64 s16, v29, v31
	v_lshrrev_b32_e32 v29, v28, v4
	v_add_nc_u32_e32 v4, 0xffffff91, v5
	v_lshrrev_b32_e32 v5, 23, v29
	v_cndmask_b32_e64 v4, v4, 0xffffff92, vcc_lo
	v_xor_b32_e32 v5, 1, v5
	v_add_nc_u32_e32 v4, v28, v4
	v_bfe_u32 v28, v29, 21, 1
	v_add_nc_u32_e32 v28, -1, v28
	v_cndmask_b32_e64 v28, 0, v28, s16
	s_mov_b32 s16, exec_lo
	v_add_nc_u32_e32 v28, v28, v29
	v_and_b32_e32 v28, 0x1fffff, v28
	v_add_nc_u32_e32 v28, v28, v29
                                        ; implicit-def: $vgpr29
	v_cmpx_ne_u32_e64 v4, v5
	s_xor_b32 s16, exec_lo, s16
; %bb.6412:                             ;   in Loop: Header=BB6_6037 Depth=3
	v_cmp_lt_u32_e32 vcc_lo, 0xffffff, v28
	v_sub_nc_u32_e32 v4, v4, v5
	v_cndmask_b32_e64 v5, 0, 1, vcc_lo
	v_add_co_ci_u32_e64 v29, null, 0, v4, vcc_lo
	v_lshrrev_b32_e32 v28, v5, v28
; %bb.6413:                             ;   in Loop: Header=BB6_6037 Depth=3
	s_andn2_saveexec_b32 s16, s16
; %bb.6414:                             ;   in Loop: Header=BB6_6037 Depth=3
	v_bfe_u32 v29, v28, 23, 1
; %bb.6415:                             ;   in Loop: Header=BB6_6037 Depth=3
	s_or_b32 exec_lo, exec_lo, s16
	v_lshrrev_b32_e32 v4, 21, v28
	v_min_i32_e32 v5, 31, v29
	v_cmp_gt_i32_e32 vcc_lo, 32, v29
	v_and_b32_sdwa v1, v1, v60 dst_sel:DWORD dst_unused:UNUSED_PAD src0_sel:BYTE_3 src1_sel:DWORD
	v_lshlrev_b32_e32 v5, 2, v5
	v_cndmask_b32_e32 v4, 3, v4, vcc_lo
	v_and_b32_e32 v5, 0xfc, v5
	v_or_b32_e32 v28, v29, v4
	v_and_b32_e32 v4, 3, v4
	v_cmp_ne_u32_e32 vcc_lo, 0, v28
	v_or3_b32 v1, v5, v1, v4
	v_cndmask_b32_e32 v28, 0, v1, vcc_lo
.LBB6_6416:                             ;   in Loop: Header=BB6_6037 Depth=3
	s_or_b32 exec_lo, exec_lo, s22
.LBB6_6417:                             ;   in Loop: Header=BB6_6037 Depth=3
	s_or_b32 exec_lo, exec_lo, s19
	v_cmp_gt_i16_sdwa s19, v32, v59 src0_sel:BYTE_3 src1_sel:DWORD
	s_mov_b32 s16, 0
	s_and_saveexec_b32 s22, s19
	s_xor_b32 s19, exec_lo, s22
	s_cbranch_execz .LBB6_7391
; %bb.6418:                             ;   in Loop: Header=BB6_6037 Depth=3
	v_cmp_eq_u16_sdwa s23, v32, v60 src0_sel:BYTE_3 src1_sel:DWORD
	s_mov_b32 s16, -1
	s_and_saveexec_b32 s22, s23
; %bb.6419:                             ;   in Loop: Header=BB6_6037 Depth=3
	s_xor_b32 s16, exec_lo, -1
; %bb.6420:                             ;   in Loop: Header=BB6_6037 Depth=3
	s_or_b32 exec_lo, exec_lo, s22
	s_and_b32 s16, s16, exec_lo
	s_or_saveexec_b32 s19, s19
	v_mov_b32_e32 v1, 0x7f800001
	s_xor_b32 exec_lo, exec_lo, s19
	s_cbranch_execnz .LBB6_7392
.LBB6_6421:                             ;   in Loop: Header=BB6_6037 Depth=3
	s_or_b32 exec_lo, exec_lo, s19
	s_and_saveexec_b32 s19, s16
	s_cbranch_execz .LBB6_6423
.LBB6_6422:                             ;   in Loop: Header=BB6_6037 Depth=3
	v_bfe_u32 v1, v32, 24, 2
	v_bfe_u32 v29, v32, 26, 5
	v_ffbh_u32_e32 v4, v1
	v_cmp_eq_u32_e32 vcc_lo, 0, v29
	v_min_u32_e32 v4, 32, v4
	v_subrev_nc_u32_e32 v5, 29, v4
	v_sub_nc_u32_e32 v4, 30, v4
	v_lshlrev_b32_sdwa v5, v5, v32 dst_sel:DWORD dst_unused:UNUSED_PAD src0_sel:DWORD src1_sel:BYTE_3
	v_cndmask_b32_e32 v4, v29, v4, vcc_lo
	v_and_b32_e32 v5, 3, v5
	v_lshl_add_u32 v4, v4, 23, 0x37800000
	v_cndmask_b32_e32 v1, v1, v5, vcc_lo
	v_and_b32_e32 v5, 0x80000000, v32
	v_lshlrev_b32_e32 v1, 21, v1
	v_or3_b32 v1, v5, v4, v1
.LBB6_6423:                             ;   in Loop: Header=BB6_6037 Depth=3
	s_or_b32 exec_lo, exec_lo, s19
	v_cmp_gt_i16_sdwa s19, v24, v59 src0_sel:BYTE_3 src1_sel:DWORD
	s_mov_b32 s16, 0
	s_and_saveexec_b32 s22, s19
	s_xor_b32 s19, exec_lo, s22
	s_cbranch_execz .LBB6_7393
; %bb.6424:                             ;   in Loop: Header=BB6_6037 Depth=3
	v_cmp_eq_u16_sdwa s23, v24, v60 src0_sel:BYTE_3 src1_sel:DWORD
	s_mov_b32 s16, -1
	s_and_saveexec_b32 s22, s23
; %bb.6425:                             ;   in Loop: Header=BB6_6037 Depth=3
	s_xor_b32 s16, exec_lo, -1
; %bb.6426:                             ;   in Loop: Header=BB6_6037 Depth=3
	s_or_b32 exec_lo, exec_lo, s22
	s_and_b32 s16, s16, exec_lo
	s_or_saveexec_b32 s19, s19
	v_mov_b32_e32 v4, 0x7f800001
	s_xor_b32 exec_lo, exec_lo, s19
	s_cbranch_execnz .LBB6_7394
.LBB6_6427:                             ;   in Loop: Header=BB6_6037 Depth=3
	s_or_b32 exec_lo, exec_lo, s19
	s_and_saveexec_b32 s19, s16
	s_cbranch_execz .LBB6_6429
.LBB6_6428:                             ;   in Loop: Header=BB6_6037 Depth=3
	v_bfe_u32 v4, v24, 24, 2
	v_bfe_u32 v31, v24, 26, 5
	v_ffbh_u32_e32 v5, v4
	v_cmp_eq_u32_e32 vcc_lo, 0, v31
	v_min_u32_e32 v5, 32, v5
	v_subrev_nc_u32_e32 v29, 29, v5
	v_sub_nc_u32_e32 v5, 30, v5
	v_lshlrev_b32_sdwa v29, v29, v24 dst_sel:DWORD dst_unused:UNUSED_PAD src0_sel:DWORD src1_sel:BYTE_3
	v_cndmask_b32_e32 v5, v31, v5, vcc_lo
	v_and_b32_e32 v24, 0x80000000, v24
	v_and_b32_e32 v29, 3, v29
	v_lshl_add_u32 v5, v5, 23, 0x37800000
	v_cndmask_b32_e32 v4, v4, v29, vcc_lo
	v_lshlrev_b32_e32 v4, 21, v4
	v_or3_b32 v4, v24, v5, v4
.LBB6_6429:                             ;   in Loop: Header=BB6_6037 Depth=3
	s_or_b32 exec_lo, exec_lo, s19
	v_mul_f32_e32 v1, v1, v4
	v_mov_b32_e32 v24, 0x8000
	s_mov_b32 s19, exec_lo
	v_and_b32_e32 v4, 0x7f800000, v1
	v_cmpx_ne_u32_e32 0x7f800000, v4
	s_cbranch_execz .LBB6_6437
; %bb.6430:                             ;   in Loop: Header=BB6_6037 Depth=3
	v_mov_b32_e32 v24, 0
	s_mov_b32 s22, exec_lo
	v_cmpx_ne_u32_e32 0, v1
	s_cbranch_execz .LBB6_6436
; %bb.6431:                             ;   in Loop: Header=BB6_6037 Depth=3
	v_bfe_u32 v5, v1, 23, 8
	v_and_b32_e32 v4, 0x7fffff, v1
	v_cmp_gt_u32_e64 s16, 0x71, v5
	v_sub_nc_u32_e32 v24, 0x70, v5
	v_cmp_eq_u32_e32 vcc_lo, 0, v5
	v_or_b32_e32 v29, 0x800000, v4
	v_cndmask_b32_e64 v24, 0, v24, s16
	v_cndmask_b32_e32 v4, v29, v4, vcc_lo
	v_cndmask_b32_e64 v24, v24, 0x6f, vcc_lo
	v_lshl_add_u32 v29, 0x200000, v24, -1
	v_lshlrev_b32_e64 v31, v24, 0x100000
	v_and_b32_e32 v29, v29, v4
	v_cmp_eq_u32_e64 s16, v29, v31
	v_lshrrev_b32_e32 v29, v24, v4
	v_add_nc_u32_e32 v4, 0xffffff91, v5
	v_lshrrev_b32_e32 v5, 23, v29
	v_cndmask_b32_e64 v4, v4, 0xffffff92, vcc_lo
	v_xor_b32_e32 v5, 1, v5
	v_add_nc_u32_e32 v4, v24, v4
	v_bfe_u32 v24, v29, 21, 1
	v_add_nc_u32_e32 v24, -1, v24
	v_cndmask_b32_e64 v24, 0, v24, s16
	s_mov_b32 s16, exec_lo
	v_add_nc_u32_e32 v24, v24, v29
	v_and_b32_e32 v24, 0x1fffff, v24
	v_add_nc_u32_e32 v24, v24, v29
                                        ; implicit-def: $vgpr29
	v_cmpx_ne_u32_e64 v4, v5
	s_xor_b32 s16, exec_lo, s16
; %bb.6432:                             ;   in Loop: Header=BB6_6037 Depth=3
	v_cmp_lt_u32_e32 vcc_lo, 0xffffff, v24
	v_sub_nc_u32_e32 v4, v4, v5
	v_cndmask_b32_e64 v5, 0, 1, vcc_lo
	v_add_co_ci_u32_e64 v29, null, 0, v4, vcc_lo
	v_lshrrev_b32_e32 v24, v5, v24
; %bb.6433:                             ;   in Loop: Header=BB6_6037 Depth=3
	s_andn2_saveexec_b32 s16, s16
; %bb.6434:                             ;   in Loop: Header=BB6_6037 Depth=3
	v_bfe_u32 v29, v24, 23, 1
; %bb.6435:                             ;   in Loop: Header=BB6_6037 Depth=3
	s_or_b32 exec_lo, exec_lo, s16
	v_lshrrev_b32_e32 v4, 21, v24
	v_min_i32_e32 v5, 31, v29
	v_cmp_gt_i32_e32 vcc_lo, 32, v29
	v_and_b32_sdwa v1, v1, v60 dst_sel:DWORD dst_unused:UNUSED_PAD src0_sel:BYTE_3 src1_sel:DWORD
	v_lshlrev_b32_e32 v5, 2, v5
	v_cndmask_b32_e32 v4, 3, v4, vcc_lo
	v_and_b32_e32 v5, 0xfc, v5
	v_or_b32_e32 v24, v29, v4
	v_and_b32_e32 v4, 3, v4
	v_cmp_ne_u32_e32 vcc_lo, 0, v24
	v_or3_b32 v1, v1, v5, v4
	v_lshlrev_b32_e32 v1, 8, v1
	v_cndmask_b32_e32 v24, 0, v1, vcc_lo
.LBB6_6436:                             ;   in Loop: Header=BB6_6037 Depth=3
	s_or_b32 exec_lo, exec_lo, s22
.LBB6_6437:                             ;   in Loop: Header=BB6_6037 Depth=3
	s_or_b32 exec_lo, exec_lo, s19
	v_cmp_gt_i16_sdwa s16, v33, v59 src0_sel:BYTE_0 src1_sel:DWORD
	s_mov_b32 s19, 0
	s_and_saveexec_b32 s22, s16
	s_xor_b32 s16, exec_lo, s22
	s_cbranch_execz .LBB6_7395
; %bb.6438:                             ;   in Loop: Header=BB6_6037 Depth=3
	v_cmp_eq_u16_sdwa s23, v33, v60 src0_sel:BYTE_0 src1_sel:DWORD
	s_mov_b32 s19, -1
	s_and_saveexec_b32 s22, s23
; %bb.6439:                             ;   in Loop: Header=BB6_6037 Depth=3
	s_xor_b32 s19, exec_lo, -1
; %bb.6440:                             ;   in Loop: Header=BB6_6037 Depth=3
	s_or_b32 exec_lo, exec_lo, s22
	s_and_b32 s19, s19, exec_lo
	s_or_saveexec_b32 s16, s16
	v_mov_b32_e32 v1, 0x7f800001
	s_xor_b32 exec_lo, exec_lo, s16
	s_cbranch_execnz .LBB6_7396
.LBB6_6441:                             ;   in Loop: Header=BB6_6037 Depth=3
	s_or_b32 exec_lo, exec_lo, s16
	s_and_saveexec_b32 s16, s19
	s_cbranch_execz .LBB6_6443
.LBB6_6442:                             ;   in Loop: Header=BB6_6037 Depth=3
	v_and_b32_e32 v1, 3, v33
	v_bfe_u32 v4, v33, 2, 5
	v_ffbh_u32_e32 v5, v1
	v_cmp_eq_u32_e32 vcc_lo, 0, v4
	v_min_u32_e32 v5, 32, v5
	v_subrev_nc_u32_e32 v29, 29, v5
	v_sub_nc_u32_e32 v5, 30, v5
	v_lshlrev_b32_e32 v29, v29, v33
	v_cndmask_b32_e32 v4, v4, v5, vcc_lo
	v_lshlrev_b32_e32 v5, 24, v33
	v_and_b32_e32 v29, 3, v29
	v_lshl_add_u32 v4, v4, 23, 0x37800000
	v_and_b32_e32 v5, 0x80000000, v5
	v_cndmask_b32_e32 v1, v1, v29, vcc_lo
	v_lshlrev_b32_e32 v1, 21, v1
	v_or3_b32 v1, v5, v4, v1
.LBB6_6443:                             ;   in Loop: Header=BB6_6037 Depth=3
	s_or_b32 exec_lo, exec_lo, s16
	v_cmp_gt_i16_sdwa s16, v25, v59 src0_sel:BYTE_0 src1_sel:DWORD
	s_mov_b32 s19, 0
	s_and_saveexec_b32 s22, s16
	s_xor_b32 s16, exec_lo, s22
	s_cbranch_execz .LBB6_7397
; %bb.6444:                             ;   in Loop: Header=BB6_6037 Depth=3
	v_cmp_eq_u16_sdwa s23, v25, v60 src0_sel:BYTE_0 src1_sel:DWORD
	s_mov_b32 s19, -1
	s_and_saveexec_b32 s22, s23
; %bb.6445:                             ;   in Loop: Header=BB6_6037 Depth=3
	s_xor_b32 s19, exec_lo, -1
; %bb.6446:                             ;   in Loop: Header=BB6_6037 Depth=3
	s_or_b32 exec_lo, exec_lo, s22
	s_and_b32 s19, s19, exec_lo
	s_or_saveexec_b32 s16, s16
	v_mov_b32_e32 v4, 0x7f800001
	s_xor_b32 exec_lo, exec_lo, s16
	s_cbranch_execnz .LBB6_7398
.LBB6_6447:                             ;   in Loop: Header=BB6_6037 Depth=3
	s_or_b32 exec_lo, exec_lo, s16
	s_and_saveexec_b32 s16, s19
	s_cbranch_execz .LBB6_6449
.LBB6_6448:                             ;   in Loop: Header=BB6_6037 Depth=3
	v_and_b32_e32 v4, 3, v25
	v_bfe_u32 v5, v25, 2, 5
	v_ffbh_u32_e32 v29, v4
	v_cmp_eq_u32_e32 vcc_lo, 0, v5
	v_min_u32_e32 v29, 32, v29
	v_subrev_nc_u32_e32 v31, 29, v29
	v_sub_nc_u32_e32 v29, 30, v29
	v_lshlrev_b32_e32 v31, v31, v25
	v_cndmask_b32_e32 v5, v5, v29, vcc_lo
	v_lshlrev_b32_e32 v29, 24, v25
	v_and_b32_e32 v31, 3, v31
	v_lshl_add_u32 v5, v5, 23, 0x37800000
	v_and_b32_e32 v29, 0x80000000, v29
	v_cndmask_b32_e32 v4, v4, v31, vcc_lo
	v_lshlrev_b32_e32 v4, 21, v4
	v_or3_b32 v4, v29, v5, v4
.LBB6_6449:                             ;   in Loop: Header=BB6_6037 Depth=3
	s_or_b32 exec_lo, exec_lo, s16
	v_mul_f32_e32 v1, v1, v4
	v_mov_b32_e32 v29, 0x80
	s_mov_b32 s19, exec_lo
	v_and_b32_e32 v4, 0x7f800000, v1
	v_cmpx_ne_u32_e32 0x7f800000, v4
	s_cbranch_execz .LBB6_6457
; %bb.6450:                             ;   in Loop: Header=BB6_6037 Depth=3
	v_mov_b32_e32 v29, 0
	s_mov_b32 s22, exec_lo
	v_cmpx_ne_u32_e32 0, v1
	s_cbranch_execz .LBB6_6456
; %bb.6451:                             ;   in Loop: Header=BB6_6037 Depth=3
	v_bfe_u32 v5, v1, 23, 8
	v_and_b32_e32 v4, 0x7fffff, v1
	v_cmp_gt_u32_e64 s16, 0x71, v5
	v_sub_nc_u32_e32 v29, 0x70, v5
	v_cmp_eq_u32_e32 vcc_lo, 0, v5
	v_or_b32_e32 v31, 0x800000, v4
	v_cndmask_b32_e64 v29, 0, v29, s16
	v_cndmask_b32_e32 v4, v31, v4, vcc_lo
	v_cndmask_b32_e64 v29, v29, 0x6f, vcc_lo
	v_lshl_add_u32 v31, 0x200000, v29, -1
	v_lshlrev_b32_e64 v32, v29, 0x100000
	v_and_b32_e32 v31, v31, v4
	v_cmp_eq_u32_e64 s16, v31, v32
	v_lshrrev_b32_e32 v31, v29, v4
	v_add_nc_u32_e32 v4, 0xffffff91, v5
	v_lshrrev_b32_e32 v5, 23, v31
	v_cndmask_b32_e64 v4, v4, 0xffffff92, vcc_lo
	v_xor_b32_e32 v5, 1, v5
	v_add_nc_u32_e32 v4, v29, v4
	v_bfe_u32 v29, v31, 21, 1
	v_add_nc_u32_e32 v29, -1, v29
	v_cndmask_b32_e64 v29, 0, v29, s16
	s_mov_b32 s16, exec_lo
	v_add_nc_u32_e32 v29, v29, v31
	v_and_b32_e32 v29, 0x1fffff, v29
	v_add_nc_u32_e32 v29, v29, v31
                                        ; implicit-def: $vgpr31
	v_cmpx_ne_u32_e64 v4, v5
	s_xor_b32 s16, exec_lo, s16
; %bb.6452:                             ;   in Loop: Header=BB6_6037 Depth=3
	v_cmp_lt_u32_e32 vcc_lo, 0xffffff, v29
	v_sub_nc_u32_e32 v4, v4, v5
	v_cndmask_b32_e64 v5, 0, 1, vcc_lo
	v_add_co_ci_u32_e64 v31, null, 0, v4, vcc_lo
	v_lshrrev_b32_e32 v29, v5, v29
; %bb.6453:                             ;   in Loop: Header=BB6_6037 Depth=3
	s_andn2_saveexec_b32 s16, s16
; %bb.6454:                             ;   in Loop: Header=BB6_6037 Depth=3
	v_bfe_u32 v31, v29, 23, 1
; %bb.6455:                             ;   in Loop: Header=BB6_6037 Depth=3
	s_or_b32 exec_lo, exec_lo, s16
	v_lshrrev_b32_e32 v4, 21, v29
	v_min_i32_e32 v5, 31, v31
	v_cmp_gt_i32_e32 vcc_lo, 32, v31
	v_and_b32_sdwa v1, v1, v60 dst_sel:DWORD dst_unused:UNUSED_PAD src0_sel:BYTE_3 src1_sel:DWORD
	v_lshlrev_b32_e32 v5, 2, v5
	v_cndmask_b32_e32 v4, 3, v4, vcc_lo
	v_and_b32_e32 v5, 0xfc, v5
	v_or_b32_e32 v29, v31, v4
	v_and_b32_e32 v4, 3, v4
	v_cmp_ne_u32_e32 vcc_lo, 0, v29
	v_or3_b32 v1, v5, v1, v4
	v_cndmask_b32_e32 v29, 0, v1, vcc_lo
.LBB6_6456:                             ;   in Loop: Header=BB6_6037 Depth=3
	s_or_b32 exec_lo, exec_lo, s22
.LBB6_6457:                             ;   in Loop: Header=BB6_6037 Depth=3
	s_or_b32 exec_lo, exec_lo, s19
	v_cmp_gt_i16_sdwa s19, v33, v59 src0_sel:BYTE_1 src1_sel:DWORD
	s_mov_b32 s16, 0
	s_and_saveexec_b32 s22, s19
	s_xor_b32 s19, exec_lo, s22
	s_cbranch_execz .LBB6_7399
; %bb.6458:                             ;   in Loop: Header=BB6_6037 Depth=3
	v_cmp_eq_u16_sdwa s23, v33, v60 src0_sel:BYTE_1 src1_sel:DWORD
	s_mov_b32 s16, -1
	s_and_saveexec_b32 s22, s23
; %bb.6459:                             ;   in Loop: Header=BB6_6037 Depth=3
	s_xor_b32 s16, exec_lo, -1
; %bb.6460:                             ;   in Loop: Header=BB6_6037 Depth=3
	s_or_b32 exec_lo, exec_lo, s22
	s_and_b32 s16, s16, exec_lo
	s_or_saveexec_b32 s19, s19
	v_mov_b32_e32 v1, 0x7f800001
	s_xor_b32 exec_lo, exec_lo, s19
	s_cbranch_execnz .LBB6_7400
.LBB6_6461:                             ;   in Loop: Header=BB6_6037 Depth=3
	s_or_b32 exec_lo, exec_lo, s19
	s_and_saveexec_b32 s19, s16
	s_cbranch_execz .LBB6_6463
.LBB6_6462:                             ;   in Loop: Header=BB6_6037 Depth=3
	v_and_b32_sdwa v1, v61, v33 dst_sel:DWORD dst_unused:UNUSED_PAD src0_sel:DWORD src1_sel:BYTE_1
	v_and_b32_e32 v4, 3, v1
	v_bfe_u32 v32, v1, 2, 5
	v_ffbh_u32_e32 v5, v4
	v_cmp_eq_u32_e32 vcc_lo, 0, v32
	v_min_u32_e32 v5, 32, v5
	v_subrev_nc_u32_e32 v31, 29, v5
	v_sub_nc_u32_e32 v5, 30, v5
	v_lshlrev_b32_e32 v1, v31, v1
	v_lshlrev_b32_sdwa v31, v62, v33 dst_sel:DWORD dst_unused:UNUSED_PAD src0_sel:DWORD src1_sel:BYTE_1
	v_cndmask_b32_e32 v5, v32, v5, vcc_lo
	v_and_b32_e32 v1, 3, v1
	v_lshl_add_u32 v5, v5, 23, 0x37800000
	v_cndmask_b32_e32 v1, v4, v1, vcc_lo
	v_and_b32_e32 v4, 0x80000000, v31
	v_lshlrev_b32_e32 v1, 21, v1
	v_or3_b32 v1, v4, v5, v1
.LBB6_6463:                             ;   in Loop: Header=BB6_6037 Depth=3
	s_or_b32 exec_lo, exec_lo, s19
	v_cmp_gt_i16_sdwa s19, v25, v59 src0_sel:BYTE_1 src1_sel:DWORD
	s_mov_b32 s16, 0
	s_and_saveexec_b32 s22, s19
	s_xor_b32 s19, exec_lo, s22
	s_cbranch_execz .LBB6_7401
; %bb.6464:                             ;   in Loop: Header=BB6_6037 Depth=3
	v_cmp_eq_u16_sdwa s23, v25, v60 src0_sel:BYTE_1 src1_sel:DWORD
	s_mov_b32 s16, -1
	s_and_saveexec_b32 s22, s23
; %bb.6465:                             ;   in Loop: Header=BB6_6037 Depth=3
	s_xor_b32 s16, exec_lo, -1
; %bb.6466:                             ;   in Loop: Header=BB6_6037 Depth=3
	s_or_b32 exec_lo, exec_lo, s22
	s_and_b32 s16, s16, exec_lo
	s_or_saveexec_b32 s19, s19
	v_mov_b32_e32 v4, 0x7f800001
	s_xor_b32 exec_lo, exec_lo, s19
	s_cbranch_execnz .LBB6_7402
.LBB6_6467:                             ;   in Loop: Header=BB6_6037 Depth=3
	s_or_b32 exec_lo, exec_lo, s19
	s_and_saveexec_b32 s19, s16
	s_cbranch_execz .LBB6_6469
.LBB6_6468:                             ;   in Loop: Header=BB6_6037 Depth=3
	v_and_b32_sdwa v4, v61, v25 dst_sel:DWORD dst_unused:UNUSED_PAD src0_sel:DWORD src1_sel:BYTE_1
	v_and_b32_e32 v5, 3, v4
	v_bfe_u32 v82, v4, 2, 5
	v_ffbh_u32_e32 v31, v5
	v_cmp_eq_u32_e32 vcc_lo, 0, v82
	v_min_u32_e32 v31, 32, v31
	v_subrev_nc_u32_e32 v32, 29, v31
	v_sub_nc_u32_e32 v31, 30, v31
	v_lshlrev_b32_e32 v4, v32, v4
	v_lshlrev_b32_sdwa v32, v62, v25 dst_sel:DWORD dst_unused:UNUSED_PAD src0_sel:DWORD src1_sel:BYTE_1
	v_cndmask_b32_e32 v31, v82, v31, vcc_lo
	v_and_b32_e32 v4, 3, v4
	v_lshl_add_u32 v31, v31, 23, 0x37800000
	v_cndmask_b32_e32 v4, v5, v4, vcc_lo
	v_and_b32_e32 v5, 0x80000000, v32
	v_lshlrev_b32_e32 v4, 21, v4
	v_or3_b32 v4, v5, v31, v4
.LBB6_6469:                             ;   in Loop: Header=BB6_6037 Depth=3
	s_or_b32 exec_lo, exec_lo, s19
	v_mul_f32_e32 v1, v1, v4
	v_mov_b32_e32 v32, 0x8000
	s_mov_b32 s19, exec_lo
	v_and_b32_e32 v4, 0x7f800000, v1
	v_cmpx_ne_u32_e32 0x7f800000, v4
	s_cbranch_execz .LBB6_6477
; %bb.6470:                             ;   in Loop: Header=BB6_6037 Depth=3
	v_mov_b32_e32 v32, 0
	s_mov_b32 s22, exec_lo
	v_cmpx_ne_u32_e32 0, v1
	s_cbranch_execz .LBB6_6476
; %bb.6471:                             ;   in Loop: Header=BB6_6037 Depth=3
	v_bfe_u32 v5, v1, 23, 8
	v_and_b32_e32 v4, 0x7fffff, v1
	v_cmp_gt_u32_e64 s16, 0x71, v5
	v_sub_nc_u32_e32 v31, 0x70, v5
	v_cmp_eq_u32_e32 vcc_lo, 0, v5
	v_or_b32_e32 v32, 0x800000, v4
	v_cndmask_b32_e64 v31, 0, v31, s16
	v_cndmask_b32_e32 v4, v32, v4, vcc_lo
	v_cndmask_b32_e64 v31, v31, 0x6f, vcc_lo
	v_lshl_add_u32 v32, 0x200000, v31, -1
	v_lshlrev_b32_e64 v82, v31, 0x100000
	v_and_b32_e32 v32, v32, v4
	v_cmp_eq_u32_e64 s16, v32, v82
	v_lshrrev_b32_e32 v32, v31, v4
	v_add_nc_u32_e32 v4, 0xffffff91, v5
	v_lshrrev_b32_e32 v5, 23, v32
	v_cndmask_b32_e64 v4, v4, 0xffffff92, vcc_lo
	v_xor_b32_e32 v5, 1, v5
	v_add_nc_u32_e32 v4, v31, v4
	v_bfe_u32 v31, v32, 21, 1
	v_add_nc_u32_e32 v31, -1, v31
	v_cndmask_b32_e64 v31, 0, v31, s16
	s_mov_b32 s16, exec_lo
	v_add_nc_u32_e32 v31, v31, v32
	v_and_b32_e32 v31, 0x1fffff, v31
	v_add_nc_u32_e32 v31, v31, v32
                                        ; implicit-def: $vgpr32
	v_cmpx_ne_u32_e64 v4, v5
	s_xor_b32 s16, exec_lo, s16
; %bb.6472:                             ;   in Loop: Header=BB6_6037 Depth=3
	v_cmp_lt_u32_e32 vcc_lo, 0xffffff, v31
	v_sub_nc_u32_e32 v4, v4, v5
	v_cndmask_b32_e64 v5, 0, 1, vcc_lo
	v_add_co_ci_u32_e64 v32, null, 0, v4, vcc_lo
	v_lshrrev_b32_e32 v31, v5, v31
; %bb.6473:                             ;   in Loop: Header=BB6_6037 Depth=3
	s_andn2_saveexec_b32 s16, s16
; %bb.6474:                             ;   in Loop: Header=BB6_6037 Depth=3
	v_bfe_u32 v32, v31, 23, 1
; %bb.6475:                             ;   in Loop: Header=BB6_6037 Depth=3
	s_or_b32 exec_lo, exec_lo, s16
	v_lshrrev_b32_e32 v4, 21, v31
	v_min_i32_e32 v5, 31, v32
	v_cmp_gt_i32_e32 vcc_lo, 32, v32
	v_and_b32_sdwa v1, v1, v60 dst_sel:DWORD dst_unused:UNUSED_PAD src0_sel:BYTE_3 src1_sel:DWORD
	v_lshlrev_b32_e32 v5, 2, v5
	v_cndmask_b32_e32 v4, 3, v4, vcc_lo
	v_and_b32_e32 v5, 0xfc, v5
	v_or_b32_e32 v31, v32, v4
	v_and_b32_e32 v4, 3, v4
	v_cmp_ne_u32_e32 vcc_lo, 0, v31
	v_or3_b32 v1, v1, v5, v4
	v_lshlrev_b32_e32 v1, 8, v1
	v_cndmask_b32_e32 v32, 0, v1, vcc_lo
.LBB6_6476:                             ;   in Loop: Header=BB6_6037 Depth=3
	s_or_b32 exec_lo, exec_lo, s22
.LBB6_6477:                             ;   in Loop: Header=BB6_6037 Depth=3
	s_or_b32 exec_lo, exec_lo, s19
	v_and_b32_sdwa v4, v33, v63 dst_sel:DWORD dst_unused:UNUSED_PAD src0_sel:WORD_1 src1_sel:DWORD
	s_mov_b32 s19, 0
	s_mov_b32 s16, exec_lo
	v_cmpx_lt_i16_e32 0x7f, v4
	s_xor_b32 s16, exec_lo, s16
	s_cbranch_execz .LBB6_7403
; %bb.6478:                             ;   in Loop: Header=BB6_6037 Depth=3
	s_mov_b32 s19, -1
	s_mov_b32 s22, exec_lo
	v_cmpx_eq_u16_e32 0x80, v4
; %bb.6479:                             ;   in Loop: Header=BB6_6037 Depth=3
	s_xor_b32 s19, exec_lo, -1
; %bb.6480:                             ;   in Loop: Header=BB6_6037 Depth=3
	s_or_b32 exec_lo, exec_lo, s22
	s_and_b32 s19, s19, exec_lo
                                        ; implicit-def: $vgpr4
	s_or_saveexec_b32 s16, s16
	v_mov_b32_e32 v1, 0x7f800001
	s_xor_b32 exec_lo, exec_lo, s16
	s_cbranch_execnz .LBB6_7404
.LBB6_6481:                             ;   in Loop: Header=BB6_6037 Depth=3
	s_or_b32 exec_lo, exec_lo, s16
	s_and_saveexec_b32 s16, s19
	s_cbranch_execz .LBB6_6483
.LBB6_6482:                             ;   in Loop: Header=BB6_6037 Depth=3
	v_bfe_u32 v1, v33, 16, 2
	v_bfe_u32 v4, v33, 18, 5
	v_ffbh_u32_e32 v5, v1
	v_cmp_eq_u32_e32 vcc_lo, 0, v4
	v_min_u32_e32 v5, 32, v5
	v_subrev_nc_u32_e32 v31, 29, v5
	v_sub_nc_u32_e32 v5, 30, v5
	v_lshlrev_b32_sdwa v31, v31, v33 dst_sel:DWORD dst_unused:UNUSED_PAD src0_sel:DWORD src1_sel:WORD_1
	v_cndmask_b32_e32 v4, v4, v5, vcc_lo
	v_lshlrev_b32_e32 v5, 8, v33
	v_and_b32_e32 v31, 3, v31
	v_lshl_add_u32 v4, v4, 23, 0x37800000
	v_and_b32_e32 v5, 0x80000000, v5
	v_cndmask_b32_e32 v1, v1, v31, vcc_lo
	v_lshlrev_b32_e32 v1, 21, v1
	v_or3_b32 v1, v5, v4, v1
.LBB6_6483:                             ;   in Loop: Header=BB6_6037 Depth=3
	s_or_b32 exec_lo, exec_lo, s16
	v_and_b32_sdwa v5, v25, v63 dst_sel:DWORD dst_unused:UNUSED_PAD src0_sel:WORD_1 src1_sel:DWORD
	s_mov_b32 s19, 0
	s_mov_b32 s16, exec_lo
	v_cmpx_lt_i16_e32 0x7f, v5
	s_xor_b32 s16, exec_lo, s16
	s_cbranch_execz .LBB6_7405
; %bb.6484:                             ;   in Loop: Header=BB6_6037 Depth=3
	s_mov_b32 s19, -1
	s_mov_b32 s22, exec_lo
	v_cmpx_eq_u16_e32 0x80, v5
; %bb.6485:                             ;   in Loop: Header=BB6_6037 Depth=3
	s_xor_b32 s19, exec_lo, -1
; %bb.6486:                             ;   in Loop: Header=BB6_6037 Depth=3
	s_or_b32 exec_lo, exec_lo, s22
	s_and_b32 s19, s19, exec_lo
                                        ; implicit-def: $vgpr5
	s_or_saveexec_b32 s16, s16
	v_mov_b32_e32 v4, 0x7f800001
	s_xor_b32 exec_lo, exec_lo, s16
	s_cbranch_execnz .LBB6_7406
.LBB6_6487:                             ;   in Loop: Header=BB6_6037 Depth=3
	s_or_b32 exec_lo, exec_lo, s16
	s_and_saveexec_b32 s16, s19
	s_cbranch_execz .LBB6_6489
.LBB6_6488:                             ;   in Loop: Header=BB6_6037 Depth=3
	v_bfe_u32 v4, v25, 16, 2
	v_bfe_u32 v5, v25, 18, 5
	v_ffbh_u32_e32 v31, v4
	v_cmp_eq_u32_e32 vcc_lo, 0, v5
	v_min_u32_e32 v31, 32, v31
	v_subrev_nc_u32_e32 v82, 29, v31
	v_sub_nc_u32_e32 v31, 30, v31
	v_lshlrev_b32_sdwa v82, v82, v25 dst_sel:DWORD dst_unused:UNUSED_PAD src0_sel:DWORD src1_sel:WORD_1
	v_cndmask_b32_e32 v5, v5, v31, vcc_lo
	v_lshlrev_b32_e32 v31, 8, v25
	v_and_b32_e32 v82, 3, v82
	v_lshl_add_u32 v5, v5, 23, 0x37800000
	v_and_b32_e32 v31, 0x80000000, v31
	v_cndmask_b32_e32 v4, v4, v82, vcc_lo
	v_lshlrev_b32_e32 v4, 21, v4
	v_or3_b32 v4, v31, v5, v4
.LBB6_6489:                             ;   in Loop: Header=BB6_6037 Depth=3
	s_or_b32 exec_lo, exec_lo, s16
	v_mul_f32_e32 v1, v1, v4
	v_mov_b32_e32 v84, 0x80
	s_mov_b32 s19, exec_lo
	v_and_b32_e32 v4, 0x7f800000, v1
	v_cmpx_ne_u32_e32 0x7f800000, v4
	s_cbranch_execz .LBB6_6497
; %bb.6490:                             ;   in Loop: Header=BB6_6037 Depth=3
	v_mov_b32_e32 v84, 0
	s_mov_b32 s22, exec_lo
	v_cmpx_ne_u32_e32 0, v1
	s_cbranch_execz .LBB6_6496
; %bb.6491:                             ;   in Loop: Header=BB6_6037 Depth=3
	v_bfe_u32 v5, v1, 23, 8
	v_and_b32_e32 v4, 0x7fffff, v1
	v_cmp_gt_u32_e64 s16, 0x71, v5
	v_sub_nc_u32_e32 v31, 0x70, v5
	v_cmp_eq_u32_e32 vcc_lo, 0, v5
	v_or_b32_e32 v82, 0x800000, v4
	v_cndmask_b32_e64 v31, 0, v31, s16
	v_cndmask_b32_e32 v4, v82, v4, vcc_lo
	v_cndmask_b32_e64 v31, v31, 0x6f, vcc_lo
	v_lshl_add_u32 v82, 0x200000, v31, -1
	v_lshlrev_b32_e64 v83, v31, 0x100000
	v_and_b32_e32 v82, v82, v4
	v_cmp_eq_u32_e64 s16, v82, v83
	v_lshrrev_b32_e32 v82, v31, v4
	v_add_nc_u32_e32 v4, 0xffffff91, v5
	v_lshrrev_b32_e32 v5, 23, v82
	v_cndmask_b32_e64 v4, v4, 0xffffff92, vcc_lo
	v_xor_b32_e32 v5, 1, v5
	v_add_nc_u32_e32 v4, v31, v4
	v_bfe_u32 v31, v82, 21, 1
	v_add_nc_u32_e32 v31, -1, v31
	v_cndmask_b32_e64 v31, 0, v31, s16
	s_mov_b32 s16, exec_lo
	v_add_nc_u32_e32 v31, v31, v82
	v_and_b32_e32 v31, 0x1fffff, v31
	v_add_nc_u32_e32 v31, v31, v82
                                        ; implicit-def: $vgpr82
	v_cmpx_ne_u32_e64 v4, v5
	s_xor_b32 s16, exec_lo, s16
; %bb.6492:                             ;   in Loop: Header=BB6_6037 Depth=3
	v_cmp_lt_u32_e32 vcc_lo, 0xffffff, v31
	v_sub_nc_u32_e32 v4, v4, v5
	v_cndmask_b32_e64 v5, 0, 1, vcc_lo
	v_add_co_ci_u32_e64 v82, null, 0, v4, vcc_lo
	v_lshrrev_b32_e32 v31, v5, v31
; %bb.6493:                             ;   in Loop: Header=BB6_6037 Depth=3
	s_andn2_saveexec_b32 s16, s16
; %bb.6494:                             ;   in Loop: Header=BB6_6037 Depth=3
	v_bfe_u32 v82, v31, 23, 1
; %bb.6495:                             ;   in Loop: Header=BB6_6037 Depth=3
	s_or_b32 exec_lo, exec_lo, s16
	v_lshrrev_b32_e32 v4, 21, v31
	v_min_i32_e32 v5, 31, v82
	v_cmp_gt_i32_e32 vcc_lo, 32, v82
	v_and_b32_sdwa v1, v1, v60 dst_sel:DWORD dst_unused:UNUSED_PAD src0_sel:BYTE_3 src1_sel:DWORD
	v_lshlrev_b32_e32 v5, 2, v5
	v_cndmask_b32_e32 v4, 3, v4, vcc_lo
	v_and_b32_e32 v5, 0xfc, v5
	v_or_b32_e32 v31, v82, v4
	v_and_b32_e32 v4, 3, v4
	v_cmp_ne_u32_e32 vcc_lo, 0, v31
	v_or3_b32 v1, v5, v1, v4
	v_cndmask_b32_e32 v84, 0, v1, vcc_lo
.LBB6_6496:                             ;   in Loop: Header=BB6_6037 Depth=3
	s_or_b32 exec_lo, exec_lo, s22
.LBB6_6497:                             ;   in Loop: Header=BB6_6037 Depth=3
	s_or_b32 exec_lo, exec_lo, s19
	v_cmp_gt_i16_sdwa s19, v33, v59 src0_sel:BYTE_3 src1_sel:DWORD
	s_mov_b32 s16, 0
	s_and_saveexec_b32 s22, s19
	s_xor_b32 s19, exec_lo, s22
	s_cbranch_execz .LBB6_7407
; %bb.6498:                             ;   in Loop: Header=BB6_6037 Depth=3
	v_cmp_eq_u16_sdwa s23, v33, v60 src0_sel:BYTE_3 src1_sel:DWORD
	s_mov_b32 s16, -1
	s_and_saveexec_b32 s22, s23
; %bb.6499:                             ;   in Loop: Header=BB6_6037 Depth=3
	s_xor_b32 s16, exec_lo, -1
; %bb.6500:                             ;   in Loop: Header=BB6_6037 Depth=3
	s_or_b32 exec_lo, exec_lo, s22
	s_and_b32 s16, s16, exec_lo
	s_or_saveexec_b32 s19, s19
	v_mov_b32_e32 v1, 0x7f800001
	s_xor_b32 exec_lo, exec_lo, s19
	s_cbranch_execnz .LBB6_7408
.LBB6_6501:                             ;   in Loop: Header=BB6_6037 Depth=3
	s_or_b32 exec_lo, exec_lo, s19
	s_and_saveexec_b32 s19, s16
	s_cbranch_execz .LBB6_6503
.LBB6_6502:                             ;   in Loop: Header=BB6_6037 Depth=3
	v_bfe_u32 v1, v33, 24, 2
	v_bfe_u32 v31, v33, 26, 5
	v_ffbh_u32_e32 v4, v1
	v_cmp_eq_u32_e32 vcc_lo, 0, v31
	v_min_u32_e32 v4, 32, v4
	v_subrev_nc_u32_e32 v5, 29, v4
	v_sub_nc_u32_e32 v4, 30, v4
	v_lshlrev_b32_sdwa v5, v5, v33 dst_sel:DWORD dst_unused:UNUSED_PAD src0_sel:DWORD src1_sel:BYTE_3
	v_cndmask_b32_e32 v4, v31, v4, vcc_lo
	v_and_b32_e32 v5, 3, v5
	v_lshl_add_u32 v4, v4, 23, 0x37800000
	v_cndmask_b32_e32 v1, v1, v5, vcc_lo
	v_and_b32_e32 v5, 0x80000000, v33
	v_lshlrev_b32_e32 v1, 21, v1
	v_or3_b32 v1, v5, v4, v1
.LBB6_6503:                             ;   in Loop: Header=BB6_6037 Depth=3
	s_or_b32 exec_lo, exec_lo, s19
	v_cmp_gt_i16_sdwa s19, v25, v59 src0_sel:BYTE_3 src1_sel:DWORD
	s_mov_b32 s16, 0
	s_and_saveexec_b32 s22, s19
	s_xor_b32 s19, exec_lo, s22
	s_cbranch_execz .LBB6_7409
; %bb.6504:                             ;   in Loop: Header=BB6_6037 Depth=3
	v_cmp_eq_u16_sdwa s23, v25, v60 src0_sel:BYTE_3 src1_sel:DWORD
	s_mov_b32 s16, -1
	s_and_saveexec_b32 s22, s23
; %bb.6505:                             ;   in Loop: Header=BB6_6037 Depth=3
	s_xor_b32 s16, exec_lo, -1
; %bb.6506:                             ;   in Loop: Header=BB6_6037 Depth=3
	s_or_b32 exec_lo, exec_lo, s22
	s_and_b32 s16, s16, exec_lo
	s_or_saveexec_b32 s19, s19
	v_mov_b32_e32 v4, 0x7f800001
	s_xor_b32 exec_lo, exec_lo, s19
	s_cbranch_execnz .LBB6_7410
.LBB6_6507:                             ;   in Loop: Header=BB6_6037 Depth=3
	s_or_b32 exec_lo, exec_lo, s19
	s_and_saveexec_b32 s19, s16
	s_cbranch_execz .LBB6_6509
.LBB6_6508:                             ;   in Loop: Header=BB6_6037 Depth=3
	v_bfe_u32 v4, v25, 24, 2
	v_bfe_u32 v33, v25, 26, 5
	v_ffbh_u32_e32 v5, v4
	v_cmp_eq_u32_e32 vcc_lo, 0, v33
	v_min_u32_e32 v5, 32, v5
	v_subrev_nc_u32_e32 v31, 29, v5
	v_sub_nc_u32_e32 v5, 30, v5
	v_lshlrev_b32_sdwa v31, v31, v25 dst_sel:DWORD dst_unused:UNUSED_PAD src0_sel:DWORD src1_sel:BYTE_3
	v_cndmask_b32_e32 v5, v33, v5, vcc_lo
	v_and_b32_e32 v25, 0x80000000, v25
	v_and_b32_e32 v31, 3, v31
	v_lshl_add_u32 v5, v5, 23, 0x37800000
	v_cndmask_b32_e32 v4, v4, v31, vcc_lo
	v_lshlrev_b32_e32 v4, 21, v4
	v_or3_b32 v4, v25, v5, v4
.LBB6_6509:                             ;   in Loop: Header=BB6_6037 Depth=3
	s_or_b32 exec_lo, exec_lo, s19
	v_mul_f32_e32 v1, v1, v4
	v_mov_b32_e32 v25, 0x8000
	s_mov_b32 s19, exec_lo
	v_and_b32_e32 v4, 0x7f800000, v1
	v_cmpx_ne_u32_e32 0x7f800000, v4
	s_cbranch_execz .LBB6_6517
; %bb.6510:                             ;   in Loop: Header=BB6_6037 Depth=3
	v_mov_b32_e32 v25, 0
	s_mov_b32 s22, exec_lo
	v_cmpx_ne_u32_e32 0, v1
	s_cbranch_execz .LBB6_6516
; %bb.6511:                             ;   in Loop: Header=BB6_6037 Depth=3
	v_bfe_u32 v5, v1, 23, 8
	v_and_b32_e32 v4, 0x7fffff, v1
	v_cmp_gt_u32_e64 s16, 0x71, v5
	v_sub_nc_u32_e32 v25, 0x70, v5
	v_cmp_eq_u32_e32 vcc_lo, 0, v5
	v_or_b32_e32 v31, 0x800000, v4
	v_cndmask_b32_e64 v25, 0, v25, s16
	v_cndmask_b32_e32 v4, v31, v4, vcc_lo
	v_cndmask_b32_e64 v25, v25, 0x6f, vcc_lo
	v_lshl_add_u32 v31, 0x200000, v25, -1
	v_lshlrev_b32_e64 v33, v25, 0x100000
	v_and_b32_e32 v31, v31, v4
	v_cmp_eq_u32_e64 s16, v31, v33
	v_lshrrev_b32_e32 v31, v25, v4
	v_add_nc_u32_e32 v4, 0xffffff91, v5
	v_lshrrev_b32_e32 v5, 23, v31
	v_cndmask_b32_e64 v4, v4, 0xffffff92, vcc_lo
	v_xor_b32_e32 v5, 1, v5
	v_add_nc_u32_e32 v4, v25, v4
	v_bfe_u32 v25, v31, 21, 1
	v_add_nc_u32_e32 v25, -1, v25
	v_cndmask_b32_e64 v25, 0, v25, s16
	s_mov_b32 s16, exec_lo
	v_add_nc_u32_e32 v25, v25, v31
	v_and_b32_e32 v25, 0x1fffff, v25
	v_add_nc_u32_e32 v25, v25, v31
                                        ; implicit-def: $vgpr31
	v_cmpx_ne_u32_e64 v4, v5
	s_xor_b32 s16, exec_lo, s16
; %bb.6512:                             ;   in Loop: Header=BB6_6037 Depth=3
	v_cmp_lt_u32_e32 vcc_lo, 0xffffff, v25
	v_sub_nc_u32_e32 v4, v4, v5
	v_cndmask_b32_e64 v5, 0, 1, vcc_lo
	v_add_co_ci_u32_e64 v31, null, 0, v4, vcc_lo
	v_lshrrev_b32_e32 v25, v5, v25
; %bb.6513:                             ;   in Loop: Header=BB6_6037 Depth=3
	s_andn2_saveexec_b32 s16, s16
; %bb.6514:                             ;   in Loop: Header=BB6_6037 Depth=3
	v_bfe_u32 v31, v25, 23, 1
; %bb.6515:                             ;   in Loop: Header=BB6_6037 Depth=3
	s_or_b32 exec_lo, exec_lo, s16
	v_lshrrev_b32_e32 v4, 21, v25
	v_min_i32_e32 v5, 31, v31
	v_cmp_gt_i32_e32 vcc_lo, 32, v31
	v_and_b32_sdwa v1, v1, v60 dst_sel:DWORD dst_unused:UNUSED_PAD src0_sel:BYTE_3 src1_sel:DWORD
	v_lshlrev_b32_e32 v5, 2, v5
	v_cndmask_b32_e32 v4, 3, v4, vcc_lo
	v_and_b32_e32 v5, 0xfc, v5
	v_or_b32_e32 v25, v31, v4
	v_and_b32_e32 v4, 3, v4
	v_cmp_ne_u32_e32 vcc_lo, 0, v25
	v_or3_b32 v1, v1, v5, v4
	v_lshlrev_b32_e32 v1, 8, v1
	v_cndmask_b32_e32 v25, 0, v1, vcc_lo
.LBB6_6516:                             ;   in Loop: Header=BB6_6037 Depth=3
	s_or_b32 exec_lo, exec_lo, s22
.LBB6_6517:                             ;   in Loop: Header=BB6_6037 Depth=3
	s_or_b32 exec_lo, exec_lo, s19
	v_cmp_gt_i16_sdwa s16, v34, v59 src0_sel:BYTE_0 src1_sel:DWORD
	s_mov_b32 s19, 0
	s_and_saveexec_b32 s22, s16
	s_xor_b32 s16, exec_lo, s22
	s_cbranch_execz .LBB6_7411
; %bb.6518:                             ;   in Loop: Header=BB6_6037 Depth=3
	v_cmp_eq_u16_sdwa s23, v34, v60 src0_sel:BYTE_0 src1_sel:DWORD
	s_mov_b32 s19, -1
	s_and_saveexec_b32 s22, s23
; %bb.6519:                             ;   in Loop: Header=BB6_6037 Depth=3
	s_xor_b32 s19, exec_lo, -1
; %bb.6520:                             ;   in Loop: Header=BB6_6037 Depth=3
	s_or_b32 exec_lo, exec_lo, s22
	s_and_b32 s19, s19, exec_lo
	s_or_saveexec_b32 s16, s16
	v_mov_b32_e32 v1, 0x7f800001
	s_xor_b32 exec_lo, exec_lo, s16
	s_cbranch_execnz .LBB6_7412
.LBB6_6521:                             ;   in Loop: Header=BB6_6037 Depth=3
	s_or_b32 exec_lo, exec_lo, s16
	s_and_saveexec_b32 s16, s19
	s_cbranch_execz .LBB6_6523
.LBB6_6522:                             ;   in Loop: Header=BB6_6037 Depth=3
	v_and_b32_e32 v1, 3, v34
	v_bfe_u32 v4, v34, 2, 5
	v_ffbh_u32_e32 v5, v1
	v_cmp_eq_u32_e32 vcc_lo, 0, v4
	v_min_u32_e32 v5, 32, v5
	v_subrev_nc_u32_e32 v31, 29, v5
	v_sub_nc_u32_e32 v5, 30, v5
	v_lshlrev_b32_e32 v31, v31, v34
	v_cndmask_b32_e32 v4, v4, v5, vcc_lo
	v_lshlrev_b32_e32 v5, 24, v34
	v_and_b32_e32 v31, 3, v31
	v_lshl_add_u32 v4, v4, 23, 0x37800000
	v_and_b32_e32 v5, 0x80000000, v5
	v_cndmask_b32_e32 v1, v1, v31, vcc_lo
	v_lshlrev_b32_e32 v1, 21, v1
	v_or3_b32 v1, v5, v4, v1
.LBB6_6523:                             ;   in Loop: Header=BB6_6037 Depth=3
	s_or_b32 exec_lo, exec_lo, s16
	v_cmp_gt_i16_sdwa s16, v26, v59 src0_sel:BYTE_0 src1_sel:DWORD
	s_mov_b32 s19, 0
	s_and_saveexec_b32 s22, s16
	s_xor_b32 s16, exec_lo, s22
	s_cbranch_execz .LBB6_7413
; %bb.6524:                             ;   in Loop: Header=BB6_6037 Depth=3
	v_cmp_eq_u16_sdwa s23, v26, v60 src0_sel:BYTE_0 src1_sel:DWORD
	s_mov_b32 s19, -1
	s_and_saveexec_b32 s22, s23
; %bb.6525:                             ;   in Loop: Header=BB6_6037 Depth=3
	s_xor_b32 s19, exec_lo, -1
; %bb.6526:                             ;   in Loop: Header=BB6_6037 Depth=3
	s_or_b32 exec_lo, exec_lo, s22
	s_and_b32 s19, s19, exec_lo
	s_or_saveexec_b32 s16, s16
	v_mov_b32_e32 v4, 0x7f800001
	s_xor_b32 exec_lo, exec_lo, s16
	s_cbranch_execnz .LBB6_7414
.LBB6_6527:                             ;   in Loop: Header=BB6_6037 Depth=3
	s_or_b32 exec_lo, exec_lo, s16
	s_and_saveexec_b32 s16, s19
	s_cbranch_execz .LBB6_6529
.LBB6_6528:                             ;   in Loop: Header=BB6_6037 Depth=3
	v_and_b32_e32 v4, 3, v26
	v_bfe_u32 v5, v26, 2, 5
	v_ffbh_u32_e32 v31, v4
	v_cmp_eq_u32_e32 vcc_lo, 0, v5
	v_min_u32_e32 v31, 32, v31
	v_subrev_nc_u32_e32 v33, 29, v31
	v_sub_nc_u32_e32 v31, 30, v31
	v_lshlrev_b32_e32 v33, v33, v26
	v_cndmask_b32_e32 v5, v5, v31, vcc_lo
	v_lshlrev_b32_e32 v31, 24, v26
	v_and_b32_e32 v33, 3, v33
	v_lshl_add_u32 v5, v5, 23, 0x37800000
	v_and_b32_e32 v31, 0x80000000, v31
	v_cndmask_b32_e32 v4, v4, v33, vcc_lo
	v_lshlrev_b32_e32 v4, 21, v4
	v_or3_b32 v4, v31, v5, v4
.LBB6_6529:                             ;   in Loop: Header=BB6_6037 Depth=3
	s_or_b32 exec_lo, exec_lo, s16
	v_mul_f32_e32 v1, v1, v4
	v_mov_b32_e32 v33, 0x80
	s_mov_b32 s19, exec_lo
	v_and_b32_e32 v4, 0x7f800000, v1
	v_cmpx_ne_u32_e32 0x7f800000, v4
	s_cbranch_execz .LBB6_6537
; %bb.6530:                             ;   in Loop: Header=BB6_6037 Depth=3
	v_mov_b32_e32 v33, 0
	s_mov_b32 s22, exec_lo
	v_cmpx_ne_u32_e32 0, v1
	s_cbranch_execz .LBB6_6536
; %bb.6531:                             ;   in Loop: Header=BB6_6037 Depth=3
	v_bfe_u32 v5, v1, 23, 8
	v_and_b32_e32 v4, 0x7fffff, v1
	v_cmp_gt_u32_e64 s16, 0x71, v5
	v_sub_nc_u32_e32 v31, 0x70, v5
	v_cmp_eq_u32_e32 vcc_lo, 0, v5
	v_or_b32_e32 v33, 0x800000, v4
	v_cndmask_b32_e64 v31, 0, v31, s16
	v_cndmask_b32_e32 v4, v33, v4, vcc_lo
	v_cndmask_b32_e64 v31, v31, 0x6f, vcc_lo
	v_lshl_add_u32 v33, 0x200000, v31, -1
	v_lshlrev_b32_e64 v82, v31, 0x100000
	v_and_b32_e32 v33, v33, v4
	v_cmp_eq_u32_e64 s16, v33, v82
	v_lshrrev_b32_e32 v33, v31, v4
	v_add_nc_u32_e32 v4, 0xffffff91, v5
	v_lshrrev_b32_e32 v5, 23, v33
	v_cndmask_b32_e64 v4, v4, 0xffffff92, vcc_lo
	v_xor_b32_e32 v5, 1, v5
	v_add_nc_u32_e32 v4, v31, v4
	v_bfe_u32 v31, v33, 21, 1
	v_add_nc_u32_e32 v31, -1, v31
	v_cndmask_b32_e64 v31, 0, v31, s16
	s_mov_b32 s16, exec_lo
	v_add_nc_u32_e32 v31, v31, v33
	v_and_b32_e32 v31, 0x1fffff, v31
	v_add_nc_u32_e32 v31, v31, v33
                                        ; implicit-def: $vgpr33
	v_cmpx_ne_u32_e64 v4, v5
	s_xor_b32 s16, exec_lo, s16
; %bb.6532:                             ;   in Loop: Header=BB6_6037 Depth=3
	v_cmp_lt_u32_e32 vcc_lo, 0xffffff, v31
	v_sub_nc_u32_e32 v4, v4, v5
	v_cndmask_b32_e64 v5, 0, 1, vcc_lo
	v_add_co_ci_u32_e64 v33, null, 0, v4, vcc_lo
	v_lshrrev_b32_e32 v31, v5, v31
; %bb.6533:                             ;   in Loop: Header=BB6_6037 Depth=3
	s_andn2_saveexec_b32 s16, s16
; %bb.6534:                             ;   in Loop: Header=BB6_6037 Depth=3
	v_bfe_u32 v33, v31, 23, 1
; %bb.6535:                             ;   in Loop: Header=BB6_6037 Depth=3
	s_or_b32 exec_lo, exec_lo, s16
	v_lshrrev_b32_e32 v4, 21, v31
	v_min_i32_e32 v5, 31, v33
	v_cmp_gt_i32_e32 vcc_lo, 32, v33
	v_and_b32_sdwa v1, v1, v60 dst_sel:DWORD dst_unused:UNUSED_PAD src0_sel:BYTE_3 src1_sel:DWORD
	v_lshlrev_b32_e32 v5, 2, v5
	v_cndmask_b32_e32 v4, 3, v4, vcc_lo
	v_and_b32_e32 v5, 0xfc, v5
	v_or_b32_e32 v31, v33, v4
	v_and_b32_e32 v4, 3, v4
	v_cmp_ne_u32_e32 vcc_lo, 0, v31
	v_or3_b32 v1, v5, v1, v4
	v_cndmask_b32_e32 v33, 0, v1, vcc_lo
.LBB6_6536:                             ;   in Loop: Header=BB6_6037 Depth=3
	s_or_b32 exec_lo, exec_lo, s22
.LBB6_6537:                             ;   in Loop: Header=BB6_6037 Depth=3
	s_or_b32 exec_lo, exec_lo, s19
	v_cmp_gt_i16_sdwa s19, v34, v59 src0_sel:BYTE_1 src1_sel:DWORD
	s_mov_b32 s16, 0
	s_and_saveexec_b32 s22, s19
	s_xor_b32 s19, exec_lo, s22
	s_cbranch_execz .LBB6_7415
; %bb.6538:                             ;   in Loop: Header=BB6_6037 Depth=3
	v_cmp_eq_u16_sdwa s23, v34, v60 src0_sel:BYTE_1 src1_sel:DWORD
	s_mov_b32 s16, -1
	s_and_saveexec_b32 s22, s23
; %bb.6539:                             ;   in Loop: Header=BB6_6037 Depth=3
	s_xor_b32 s16, exec_lo, -1
; %bb.6540:                             ;   in Loop: Header=BB6_6037 Depth=3
	s_or_b32 exec_lo, exec_lo, s22
	s_and_b32 s16, s16, exec_lo
	s_or_saveexec_b32 s19, s19
	v_mov_b32_e32 v1, 0x7f800001
	s_xor_b32 exec_lo, exec_lo, s19
	s_cbranch_execnz .LBB6_7416
.LBB6_6541:                             ;   in Loop: Header=BB6_6037 Depth=3
	s_or_b32 exec_lo, exec_lo, s19
	s_and_saveexec_b32 s19, s16
	s_cbranch_execz .LBB6_6543
.LBB6_6542:                             ;   in Loop: Header=BB6_6037 Depth=3
	v_and_b32_sdwa v1, v61, v34 dst_sel:DWORD dst_unused:UNUSED_PAD src0_sel:DWORD src1_sel:BYTE_1
	v_and_b32_e32 v4, 3, v1
	v_bfe_u32 v82, v1, 2, 5
	v_ffbh_u32_e32 v5, v4
	v_cmp_eq_u32_e32 vcc_lo, 0, v82
	v_min_u32_e32 v5, 32, v5
	v_subrev_nc_u32_e32 v31, 29, v5
	v_sub_nc_u32_e32 v5, 30, v5
	v_lshlrev_b32_e32 v1, v31, v1
	v_lshlrev_b32_sdwa v31, v62, v34 dst_sel:DWORD dst_unused:UNUSED_PAD src0_sel:DWORD src1_sel:BYTE_1
	v_cndmask_b32_e32 v5, v82, v5, vcc_lo
	v_and_b32_e32 v1, 3, v1
	v_lshl_add_u32 v5, v5, 23, 0x37800000
	v_cndmask_b32_e32 v1, v4, v1, vcc_lo
	v_and_b32_e32 v4, 0x80000000, v31
	v_lshlrev_b32_e32 v1, 21, v1
	v_or3_b32 v1, v4, v5, v1
.LBB6_6543:                             ;   in Loop: Header=BB6_6037 Depth=3
	s_or_b32 exec_lo, exec_lo, s19
	v_cmp_gt_i16_sdwa s19, v26, v59 src0_sel:BYTE_1 src1_sel:DWORD
	s_mov_b32 s16, 0
	s_and_saveexec_b32 s22, s19
	s_xor_b32 s19, exec_lo, s22
	s_cbranch_execz .LBB6_7417
; %bb.6544:                             ;   in Loop: Header=BB6_6037 Depth=3
	v_cmp_eq_u16_sdwa s23, v26, v60 src0_sel:BYTE_1 src1_sel:DWORD
	s_mov_b32 s16, -1
	s_and_saveexec_b32 s22, s23
; %bb.6545:                             ;   in Loop: Header=BB6_6037 Depth=3
	s_xor_b32 s16, exec_lo, -1
; %bb.6546:                             ;   in Loop: Header=BB6_6037 Depth=3
	s_or_b32 exec_lo, exec_lo, s22
	s_and_b32 s16, s16, exec_lo
	s_or_saveexec_b32 s19, s19
	v_mov_b32_e32 v4, 0x7f800001
	s_xor_b32 exec_lo, exec_lo, s19
	s_cbranch_execnz .LBB6_7418
.LBB6_6547:                             ;   in Loop: Header=BB6_6037 Depth=3
	s_or_b32 exec_lo, exec_lo, s19
	s_and_saveexec_b32 s19, s16
	s_cbranch_execz .LBB6_6549
.LBB6_6548:                             ;   in Loop: Header=BB6_6037 Depth=3
	v_and_b32_sdwa v4, v61, v26 dst_sel:DWORD dst_unused:UNUSED_PAD src0_sel:DWORD src1_sel:BYTE_1
	v_and_b32_e32 v5, 3, v4
	v_bfe_u32 v83, v4, 2, 5
	v_ffbh_u32_e32 v31, v5
	v_cmp_eq_u32_e32 vcc_lo, 0, v83
	v_min_u32_e32 v31, 32, v31
	v_subrev_nc_u32_e32 v82, 29, v31
	v_sub_nc_u32_e32 v31, 30, v31
	v_lshlrev_b32_e32 v4, v82, v4
	v_lshlrev_b32_sdwa v82, v62, v26 dst_sel:DWORD dst_unused:UNUSED_PAD src0_sel:DWORD src1_sel:BYTE_1
	v_cndmask_b32_e32 v31, v83, v31, vcc_lo
	v_and_b32_e32 v4, 3, v4
	v_lshl_add_u32 v31, v31, 23, 0x37800000
	v_cndmask_b32_e32 v4, v5, v4, vcc_lo
	v_and_b32_e32 v5, 0x80000000, v82
	v_lshlrev_b32_e32 v4, 21, v4
	v_or3_b32 v4, v5, v31, v4
.LBB6_6549:                             ;   in Loop: Header=BB6_6037 Depth=3
	s_or_b32 exec_lo, exec_lo, s19
	v_mul_f32_e32 v1, v1, v4
	v_mov_b32_e32 v85, 0x8000
	s_mov_b32 s19, exec_lo
	v_and_b32_e32 v4, 0x7f800000, v1
	v_cmpx_ne_u32_e32 0x7f800000, v4
	s_cbranch_execz .LBB6_6557
; %bb.6550:                             ;   in Loop: Header=BB6_6037 Depth=3
	v_mov_b32_e32 v85, 0
	s_mov_b32 s22, exec_lo
	v_cmpx_ne_u32_e32 0, v1
	s_cbranch_execz .LBB6_6556
; %bb.6551:                             ;   in Loop: Header=BB6_6037 Depth=3
	v_bfe_u32 v5, v1, 23, 8
	v_and_b32_e32 v4, 0x7fffff, v1
	v_cmp_gt_u32_e64 s16, 0x71, v5
	v_sub_nc_u32_e32 v31, 0x70, v5
	v_cmp_eq_u32_e32 vcc_lo, 0, v5
	v_or_b32_e32 v82, 0x800000, v4
	v_cndmask_b32_e64 v31, 0, v31, s16
	v_cndmask_b32_e32 v4, v82, v4, vcc_lo
	v_cndmask_b32_e64 v31, v31, 0x6f, vcc_lo
	v_lshl_add_u32 v82, 0x200000, v31, -1
	v_lshlrev_b32_e64 v83, v31, 0x100000
	v_and_b32_e32 v82, v82, v4
	v_cmp_eq_u32_e64 s16, v82, v83
	v_lshrrev_b32_e32 v82, v31, v4
	v_add_nc_u32_e32 v4, 0xffffff91, v5
	v_lshrrev_b32_e32 v5, 23, v82
	v_cndmask_b32_e64 v4, v4, 0xffffff92, vcc_lo
	v_xor_b32_e32 v5, 1, v5
	v_add_nc_u32_e32 v4, v31, v4
	v_bfe_u32 v31, v82, 21, 1
	v_add_nc_u32_e32 v31, -1, v31
	v_cndmask_b32_e64 v31, 0, v31, s16
	s_mov_b32 s16, exec_lo
	v_add_nc_u32_e32 v31, v31, v82
	v_and_b32_e32 v31, 0x1fffff, v31
	v_add_nc_u32_e32 v31, v31, v82
                                        ; implicit-def: $vgpr82
	v_cmpx_ne_u32_e64 v4, v5
	s_xor_b32 s16, exec_lo, s16
; %bb.6552:                             ;   in Loop: Header=BB6_6037 Depth=3
	v_cmp_lt_u32_e32 vcc_lo, 0xffffff, v31
	v_sub_nc_u32_e32 v4, v4, v5
	v_cndmask_b32_e64 v5, 0, 1, vcc_lo
	v_add_co_ci_u32_e64 v82, null, 0, v4, vcc_lo
	v_lshrrev_b32_e32 v31, v5, v31
; %bb.6553:                             ;   in Loop: Header=BB6_6037 Depth=3
	s_andn2_saveexec_b32 s16, s16
; %bb.6554:                             ;   in Loop: Header=BB6_6037 Depth=3
	v_bfe_u32 v82, v31, 23, 1
; %bb.6555:                             ;   in Loop: Header=BB6_6037 Depth=3
	s_or_b32 exec_lo, exec_lo, s16
	v_lshrrev_b32_e32 v4, 21, v31
	v_min_i32_e32 v5, 31, v82
	v_cmp_gt_i32_e32 vcc_lo, 32, v82
	v_and_b32_sdwa v1, v1, v60 dst_sel:DWORD dst_unused:UNUSED_PAD src0_sel:BYTE_3 src1_sel:DWORD
	v_lshlrev_b32_e32 v5, 2, v5
	v_cndmask_b32_e32 v4, 3, v4, vcc_lo
	v_and_b32_e32 v5, 0xfc, v5
	v_or_b32_e32 v31, v82, v4
	v_and_b32_e32 v4, 3, v4
	v_cmp_ne_u32_e32 vcc_lo, 0, v31
	v_or3_b32 v1, v1, v5, v4
	v_lshlrev_b32_e32 v1, 8, v1
	v_cndmask_b32_e32 v85, 0, v1, vcc_lo
.LBB6_6556:                             ;   in Loop: Header=BB6_6037 Depth=3
	s_or_b32 exec_lo, exec_lo, s22
.LBB6_6557:                             ;   in Loop: Header=BB6_6037 Depth=3
	s_or_b32 exec_lo, exec_lo, s19
	v_and_b32_sdwa v4, v34, v63 dst_sel:DWORD dst_unused:UNUSED_PAD src0_sel:WORD_1 src1_sel:DWORD
	s_mov_b32 s19, 0
	s_mov_b32 s16, exec_lo
	v_cmpx_lt_i16_e32 0x7f, v4
	s_xor_b32 s16, exec_lo, s16
	s_cbranch_execz .LBB6_7419
; %bb.6558:                             ;   in Loop: Header=BB6_6037 Depth=3
	s_mov_b32 s19, -1
	s_mov_b32 s22, exec_lo
	v_cmpx_eq_u16_e32 0x80, v4
; %bb.6559:                             ;   in Loop: Header=BB6_6037 Depth=3
	s_xor_b32 s19, exec_lo, -1
; %bb.6560:                             ;   in Loop: Header=BB6_6037 Depth=3
	s_or_b32 exec_lo, exec_lo, s22
	s_and_b32 s19, s19, exec_lo
                                        ; implicit-def: $vgpr4
	s_or_saveexec_b32 s16, s16
	v_mov_b32_e32 v1, 0x7f800001
	s_xor_b32 exec_lo, exec_lo, s16
	s_cbranch_execnz .LBB6_7420
.LBB6_6561:                             ;   in Loop: Header=BB6_6037 Depth=3
	s_or_b32 exec_lo, exec_lo, s16
	s_and_saveexec_b32 s16, s19
	s_cbranch_execz .LBB6_6563
.LBB6_6562:                             ;   in Loop: Header=BB6_6037 Depth=3
	v_bfe_u32 v1, v34, 16, 2
	v_bfe_u32 v4, v34, 18, 5
	v_ffbh_u32_e32 v5, v1
	v_cmp_eq_u32_e32 vcc_lo, 0, v4
	v_min_u32_e32 v5, 32, v5
	v_subrev_nc_u32_e32 v31, 29, v5
	v_sub_nc_u32_e32 v5, 30, v5
	v_lshlrev_b32_sdwa v31, v31, v34 dst_sel:DWORD dst_unused:UNUSED_PAD src0_sel:DWORD src1_sel:WORD_1
	v_cndmask_b32_e32 v4, v4, v5, vcc_lo
	v_lshlrev_b32_e32 v5, 8, v34
	v_and_b32_e32 v31, 3, v31
	v_lshl_add_u32 v4, v4, 23, 0x37800000
	v_and_b32_e32 v5, 0x80000000, v5
	v_cndmask_b32_e32 v1, v1, v31, vcc_lo
	v_lshlrev_b32_e32 v1, 21, v1
	v_or3_b32 v1, v5, v4, v1
.LBB6_6563:                             ;   in Loop: Header=BB6_6037 Depth=3
	s_or_b32 exec_lo, exec_lo, s16
	v_and_b32_sdwa v5, v26, v63 dst_sel:DWORD dst_unused:UNUSED_PAD src0_sel:WORD_1 src1_sel:DWORD
	s_mov_b32 s19, 0
	s_mov_b32 s16, exec_lo
	v_cmpx_lt_i16_e32 0x7f, v5
	s_xor_b32 s16, exec_lo, s16
	s_cbranch_execz .LBB6_7421
; %bb.6564:                             ;   in Loop: Header=BB6_6037 Depth=3
	s_mov_b32 s19, -1
	s_mov_b32 s22, exec_lo
	v_cmpx_eq_u16_e32 0x80, v5
; %bb.6565:                             ;   in Loop: Header=BB6_6037 Depth=3
	s_xor_b32 s19, exec_lo, -1
; %bb.6566:                             ;   in Loop: Header=BB6_6037 Depth=3
	s_or_b32 exec_lo, exec_lo, s22
	s_and_b32 s19, s19, exec_lo
                                        ; implicit-def: $vgpr5
	s_or_saveexec_b32 s16, s16
	v_mov_b32_e32 v4, 0x7f800001
	s_xor_b32 exec_lo, exec_lo, s16
	s_cbranch_execnz .LBB6_7422
.LBB6_6567:                             ;   in Loop: Header=BB6_6037 Depth=3
	s_or_b32 exec_lo, exec_lo, s16
	s_and_saveexec_b32 s16, s19
	s_cbranch_execz .LBB6_6569
.LBB6_6568:                             ;   in Loop: Header=BB6_6037 Depth=3
	v_bfe_u32 v4, v26, 16, 2
	v_bfe_u32 v5, v26, 18, 5
	v_ffbh_u32_e32 v31, v4
	v_cmp_eq_u32_e32 vcc_lo, 0, v5
	v_min_u32_e32 v31, 32, v31
	v_subrev_nc_u32_e32 v82, 29, v31
	v_sub_nc_u32_e32 v31, 30, v31
	v_lshlrev_b32_sdwa v82, v82, v26 dst_sel:DWORD dst_unused:UNUSED_PAD src0_sel:DWORD src1_sel:WORD_1
	v_cndmask_b32_e32 v5, v5, v31, vcc_lo
	v_lshlrev_b32_e32 v31, 8, v26
	v_and_b32_e32 v82, 3, v82
	v_lshl_add_u32 v5, v5, 23, 0x37800000
	v_and_b32_e32 v31, 0x80000000, v31
	v_cndmask_b32_e32 v4, v4, v82, vcc_lo
	v_lshlrev_b32_e32 v4, 21, v4
	v_or3_b32 v4, v31, v5, v4
.LBB6_6569:                             ;   in Loop: Header=BB6_6037 Depth=3
	s_or_b32 exec_lo, exec_lo, s16
	v_mul_f32_e32 v1, v1, v4
	v_and_b32_e32 v4, 0x7f800000, v1
	v_cmp_ne_u32_e32 vcc_lo, 0x7f800000, v4
	v_mov_b32_e32 v4, 0x80
	s_and_saveexec_b32 s19, vcc_lo
	s_cbranch_execz .LBB6_6577
; %bb.6570:                             ;   in Loop: Header=BB6_6037 Depth=3
	v_mov_b32_e32 v4, 0
	s_mov_b32 s22, exec_lo
	v_cmpx_ne_u32_e32 0, v1
	s_cbranch_execz .LBB6_6576
; %bb.6571:                             ;   in Loop: Header=BB6_6037 Depth=3
	v_bfe_u32 v5, v1, 23, 8
	v_and_b32_e32 v4, 0x7fffff, v1
	v_cmp_gt_u32_e64 s16, 0x71, v5
	v_sub_nc_u32_e32 v31, 0x70, v5
	v_cmp_eq_u32_e32 vcc_lo, 0, v5
	v_or_b32_e32 v82, 0x800000, v4
	v_cndmask_b32_e64 v31, 0, v31, s16
	v_cndmask_b32_e32 v4, v82, v4, vcc_lo
	v_cndmask_b32_e64 v31, v31, 0x6f, vcc_lo
	v_lshl_add_u32 v82, 0x200000, v31, -1
	v_lshlrev_b32_e64 v83, v31, 0x100000
	v_and_b32_e32 v82, v82, v4
	v_cmp_eq_u32_e64 s16, v82, v83
	v_lshrrev_b32_e32 v82, v31, v4
	v_add_nc_u32_e32 v4, 0xffffff91, v5
	v_lshrrev_b32_e32 v5, 23, v82
	v_cndmask_b32_e64 v4, v4, 0xffffff92, vcc_lo
	v_xor_b32_e32 v5, 1, v5
	v_add_nc_u32_e32 v4, v31, v4
	v_bfe_u32 v31, v82, 21, 1
	v_add_nc_u32_e32 v31, -1, v31
	v_cndmask_b32_e64 v31, 0, v31, s16
	s_mov_b32 s16, exec_lo
	v_add_nc_u32_e32 v31, v31, v82
	v_and_b32_e32 v31, 0x1fffff, v31
	v_add_nc_u32_e32 v31, v31, v82
                                        ; implicit-def: $vgpr82
	v_cmpx_ne_u32_e64 v4, v5
	s_xor_b32 s16, exec_lo, s16
; %bb.6572:                             ;   in Loop: Header=BB6_6037 Depth=3
	v_cmp_lt_u32_e32 vcc_lo, 0xffffff, v31
	v_sub_nc_u32_e32 v4, v4, v5
	v_cndmask_b32_e64 v5, 0, 1, vcc_lo
	v_add_co_ci_u32_e64 v82, null, 0, v4, vcc_lo
	v_lshrrev_b32_e32 v31, v5, v31
; %bb.6573:                             ;   in Loop: Header=BB6_6037 Depth=3
	s_andn2_saveexec_b32 s16, s16
; %bb.6574:                             ;   in Loop: Header=BB6_6037 Depth=3
	v_bfe_u32 v82, v31, 23, 1
; %bb.6575:                             ;   in Loop: Header=BB6_6037 Depth=3
	s_or_b32 exec_lo, exec_lo, s16
	v_lshrrev_b32_e32 v4, 21, v31
	v_min_i32_e32 v5, 31, v82
	v_cmp_gt_i32_e32 vcc_lo, 32, v82
	v_and_b32_sdwa v1, v1, v60 dst_sel:DWORD dst_unused:UNUSED_PAD src0_sel:BYTE_3 src1_sel:DWORD
	v_lshlrev_b32_e32 v5, 2, v5
	v_cndmask_b32_e32 v4, 3, v4, vcc_lo
	v_and_b32_e32 v5, 0xfc, v5
	v_or_b32_e32 v31, v82, v4
	v_and_b32_e32 v4, 3, v4
	v_cmp_ne_u32_e32 vcc_lo, 0, v31
	v_or3_b32 v1, v5, v1, v4
	v_cndmask_b32_e32 v4, 0, v1, vcc_lo
.LBB6_6576:                             ;   in Loop: Header=BB6_6037 Depth=3
	s_or_b32 exec_lo, exec_lo, s22
.LBB6_6577:                             ;   in Loop: Header=BB6_6037 Depth=3
	s_or_b32 exec_lo, exec_lo, s19
	v_cmp_gt_i16_sdwa s19, v34, v59 src0_sel:BYTE_3 src1_sel:DWORD
	s_mov_b32 s16, 0
	s_and_saveexec_b32 s22, s19
	s_xor_b32 s19, exec_lo, s22
	s_cbranch_execz .LBB6_7423
; %bb.6578:                             ;   in Loop: Header=BB6_6037 Depth=3
	v_cmp_eq_u16_sdwa s23, v34, v60 src0_sel:BYTE_3 src1_sel:DWORD
	s_mov_b32 s16, -1
	s_and_saveexec_b32 s22, s23
; %bb.6579:                             ;   in Loop: Header=BB6_6037 Depth=3
	s_xor_b32 s16, exec_lo, -1
; %bb.6580:                             ;   in Loop: Header=BB6_6037 Depth=3
	s_or_b32 exec_lo, exec_lo, s22
	s_and_b32 s16, s16, exec_lo
	s_or_saveexec_b32 s19, s19
	v_mov_b32_e32 v1, 0x7f800001
	s_xor_b32 exec_lo, exec_lo, s19
	s_cbranch_execnz .LBB6_7424
.LBB6_6581:                             ;   in Loop: Header=BB6_6037 Depth=3
	s_or_b32 exec_lo, exec_lo, s19
	s_and_saveexec_b32 s19, s16
	s_cbranch_execz .LBB6_6583
.LBB6_6582:                             ;   in Loop: Header=BB6_6037 Depth=3
	v_bfe_u32 v1, v34, 24, 2
	v_bfe_u32 v82, v34, 26, 5
	v_ffbh_u32_e32 v5, v1
	v_cmp_eq_u32_e32 vcc_lo, 0, v82
	v_min_u32_e32 v5, 32, v5
	v_subrev_nc_u32_e32 v31, 29, v5
	v_sub_nc_u32_e32 v5, 30, v5
	v_lshlrev_b32_sdwa v31, v31, v34 dst_sel:DWORD dst_unused:UNUSED_PAD src0_sel:DWORD src1_sel:BYTE_3
	v_cndmask_b32_e32 v5, v82, v5, vcc_lo
	v_and_b32_e32 v31, 3, v31
	v_lshl_add_u32 v5, v5, 23, 0x37800000
	v_cndmask_b32_e32 v1, v1, v31, vcc_lo
	v_and_b32_e32 v31, 0x80000000, v34
	v_lshlrev_b32_e32 v1, 21, v1
	v_or3_b32 v1, v31, v5, v1
.LBB6_6583:                             ;   in Loop: Header=BB6_6037 Depth=3
	s_or_b32 exec_lo, exec_lo, s19
	v_cmp_gt_i16_sdwa s19, v26, v59 src0_sel:BYTE_3 src1_sel:DWORD
	s_mov_b32 s16, 0
	s_and_saveexec_b32 s22, s19
	s_xor_b32 s19, exec_lo, s22
	s_cbranch_execz .LBB6_7425
; %bb.6584:                             ;   in Loop: Header=BB6_6037 Depth=3
	v_cmp_eq_u16_sdwa s23, v26, v60 src0_sel:BYTE_3 src1_sel:DWORD
	s_mov_b32 s16, -1
	s_and_saveexec_b32 s22, s23
; %bb.6585:                             ;   in Loop: Header=BB6_6037 Depth=3
	s_xor_b32 s16, exec_lo, -1
; %bb.6586:                             ;   in Loop: Header=BB6_6037 Depth=3
	s_or_b32 exec_lo, exec_lo, s22
	s_and_b32 s16, s16, exec_lo
	s_or_saveexec_b32 s19, s19
	v_mov_b32_e32 v5, 0x7f800001
	s_xor_b32 exec_lo, exec_lo, s19
	s_cbranch_execnz .LBB6_7426
.LBB6_6587:                             ;   in Loop: Header=BB6_6037 Depth=3
	s_or_b32 exec_lo, exec_lo, s19
	s_and_saveexec_b32 s19, s16
	s_cbranch_execz .LBB6_6589
.LBB6_6588:                             ;   in Loop: Header=BB6_6037 Depth=3
	v_bfe_u32 v5, v26, 24, 2
	v_bfe_u32 v82, v26, 26, 5
	v_ffbh_u32_e32 v31, v5
	v_cmp_eq_u32_e32 vcc_lo, 0, v82
	v_min_u32_e32 v31, 32, v31
	v_subrev_nc_u32_e32 v34, 29, v31
	v_sub_nc_u32_e32 v31, 30, v31
	v_lshlrev_b32_sdwa v34, v34, v26 dst_sel:DWORD dst_unused:UNUSED_PAD src0_sel:DWORD src1_sel:BYTE_3
	v_cndmask_b32_e32 v31, v82, v31, vcc_lo
	v_and_b32_e32 v26, 0x80000000, v26
	v_and_b32_e32 v34, 3, v34
	v_lshl_add_u32 v31, v31, 23, 0x37800000
	v_cndmask_b32_e32 v5, v5, v34, vcc_lo
	v_lshlrev_b32_e32 v5, 21, v5
	v_or3_b32 v5, v26, v31, v5
.LBB6_6589:                             ;   in Loop: Header=BB6_6037 Depth=3
	s_or_b32 exec_lo, exec_lo, s19
	v_mul_f32_e32 v1, v1, v5
	v_and_b32_e32 v5, 0x7f800000, v1
	v_cmp_ne_u32_e32 vcc_lo, 0x7f800000, v5
	v_mov_b32_e32 v5, 0x8000
	s_and_saveexec_b32 s19, vcc_lo
	s_cbranch_execz .LBB6_6597
; %bb.6590:                             ;   in Loop: Header=BB6_6037 Depth=3
	v_mov_b32_e32 v5, 0
	s_mov_b32 s22, exec_lo
	v_cmpx_ne_u32_e32 0, v1
	s_cbranch_execz .LBB6_6596
; %bb.6591:                             ;   in Loop: Header=BB6_6037 Depth=3
	v_bfe_u32 v26, v1, 23, 8
	v_and_b32_e32 v5, 0x7fffff, v1
	v_cmp_gt_u32_e64 s16, 0x71, v26
	v_sub_nc_u32_e32 v31, 0x70, v26
	v_cmp_eq_u32_e32 vcc_lo, 0, v26
	v_or_b32_e32 v34, 0x800000, v5
	v_cndmask_b32_e64 v31, 0, v31, s16
	v_cndmask_b32_e32 v5, v34, v5, vcc_lo
	v_cndmask_b32_e64 v31, v31, 0x6f, vcc_lo
	v_lshl_add_u32 v34, 0x200000, v31, -1
	v_lshlrev_b32_e64 v82, v31, 0x100000
	v_and_b32_e32 v34, v34, v5
	v_cmp_eq_u32_e64 s16, v34, v82
	v_lshrrev_b32_e32 v34, v31, v5
	v_add_nc_u32_e32 v5, 0xffffff91, v26
	v_lshrrev_b32_e32 v26, 23, v34
	v_cndmask_b32_e64 v5, v5, 0xffffff92, vcc_lo
	v_xor_b32_e32 v26, 1, v26
	v_add_nc_u32_e32 v5, v31, v5
	v_bfe_u32 v31, v34, 21, 1
	v_add_nc_u32_e32 v31, -1, v31
	v_cndmask_b32_e64 v31, 0, v31, s16
	s_mov_b32 s16, exec_lo
	v_add_nc_u32_e32 v31, v31, v34
	v_and_b32_e32 v31, 0x1fffff, v31
	v_add_nc_u32_e32 v31, v31, v34
                                        ; implicit-def: $vgpr34
	v_cmpx_ne_u32_e64 v5, v26
	s_xor_b32 s16, exec_lo, s16
; %bb.6592:                             ;   in Loop: Header=BB6_6037 Depth=3
	v_cmp_lt_u32_e32 vcc_lo, 0xffffff, v31
	v_sub_nc_u32_e32 v5, v5, v26
	v_cndmask_b32_e64 v26, 0, 1, vcc_lo
	v_add_co_ci_u32_e64 v34, null, 0, v5, vcc_lo
	v_lshrrev_b32_e32 v31, v26, v31
; %bb.6593:                             ;   in Loop: Header=BB6_6037 Depth=3
	s_andn2_saveexec_b32 s16, s16
; %bb.6594:                             ;   in Loop: Header=BB6_6037 Depth=3
	v_bfe_u32 v34, v31, 23, 1
; %bb.6595:                             ;   in Loop: Header=BB6_6037 Depth=3
	s_or_b32 exec_lo, exec_lo, s16
	v_lshrrev_b32_e32 v5, 21, v31
	v_min_i32_e32 v26, 31, v34
	v_cmp_gt_i32_e32 vcc_lo, 32, v34
	v_and_b32_sdwa v1, v1, v60 dst_sel:DWORD dst_unused:UNUSED_PAD src0_sel:BYTE_3 src1_sel:DWORD
	v_lshlrev_b32_e32 v26, 2, v26
	v_cndmask_b32_e32 v5, 3, v5, vcc_lo
	v_and_b32_e32 v26, 0xfc, v26
	v_or_b32_e32 v31, v34, v5
	v_and_b32_e32 v5, 3, v5
	v_cmp_ne_u32_e32 vcc_lo, 0, v31
	v_or3_b32 v1, v1, v26, v5
	v_lshlrev_b32_e32 v1, 8, v1
	v_cndmask_b32_e32 v5, 0, v1, vcc_lo
.LBB6_6596:                             ;   in Loop: Header=BB6_6037 Depth=3
	s_or_b32 exec_lo, exec_lo, s22
.LBB6_6597:                             ;   in Loop: Header=BB6_6037 Depth=3
	s_or_b32 exec_lo, exec_lo, s19
	v_cmp_gt_i16_sdwa s16, v35, v59 src0_sel:BYTE_0 src1_sel:DWORD
	s_mov_b32 s19, 0
	s_and_saveexec_b32 s22, s16
	s_xor_b32 s16, exec_lo, s22
	s_cbranch_execz .LBB6_7427
; %bb.6598:                             ;   in Loop: Header=BB6_6037 Depth=3
	v_cmp_eq_u16_sdwa s23, v35, v60 src0_sel:BYTE_0 src1_sel:DWORD
	s_mov_b32 s19, -1
	s_and_saveexec_b32 s22, s23
; %bb.6599:                             ;   in Loop: Header=BB6_6037 Depth=3
	s_xor_b32 s19, exec_lo, -1
; %bb.6600:                             ;   in Loop: Header=BB6_6037 Depth=3
	s_or_b32 exec_lo, exec_lo, s22
	s_and_b32 s19, s19, exec_lo
	s_or_saveexec_b32 s16, s16
	v_mov_b32_e32 v1, 0x7f800001
	s_xor_b32 exec_lo, exec_lo, s16
	s_cbranch_execnz .LBB6_7428
.LBB6_6601:                             ;   in Loop: Header=BB6_6037 Depth=3
	s_or_b32 exec_lo, exec_lo, s16
	s_and_saveexec_b32 s16, s19
	s_cbranch_execz .LBB6_6603
.LBB6_6602:                             ;   in Loop: Header=BB6_6037 Depth=3
	v_and_b32_e32 v1, 3, v35
	v_bfe_u32 v26, v35, 2, 5
	v_ffbh_u32_e32 v31, v1
	v_cmp_eq_u32_e32 vcc_lo, 0, v26
	v_min_u32_e32 v31, 32, v31
	v_subrev_nc_u32_e32 v34, 29, v31
	v_sub_nc_u32_e32 v31, 30, v31
	v_lshlrev_b32_e32 v34, v34, v35
	v_cndmask_b32_e32 v26, v26, v31, vcc_lo
	v_lshlrev_b32_e32 v31, 24, v35
	v_and_b32_e32 v34, 3, v34
	v_lshl_add_u32 v26, v26, 23, 0x37800000
	v_and_b32_e32 v31, 0x80000000, v31
	v_cndmask_b32_e32 v1, v1, v34, vcc_lo
	v_lshlrev_b32_e32 v1, 21, v1
	v_or3_b32 v1, v31, v26, v1
.LBB6_6603:                             ;   in Loop: Header=BB6_6037 Depth=3
	s_or_b32 exec_lo, exec_lo, s16
	v_cmp_gt_i16_sdwa s16, v27, v59 src0_sel:BYTE_0 src1_sel:DWORD
	s_mov_b32 s19, 0
	s_and_saveexec_b32 s22, s16
	s_xor_b32 s16, exec_lo, s22
	s_cbranch_execz .LBB6_7429
; %bb.6604:                             ;   in Loop: Header=BB6_6037 Depth=3
	v_cmp_eq_u16_sdwa s23, v27, v60 src0_sel:BYTE_0 src1_sel:DWORD
	s_mov_b32 s19, -1
	s_and_saveexec_b32 s22, s23
; %bb.6605:                             ;   in Loop: Header=BB6_6037 Depth=3
	s_xor_b32 s19, exec_lo, -1
; %bb.6606:                             ;   in Loop: Header=BB6_6037 Depth=3
	s_or_b32 exec_lo, exec_lo, s22
	s_and_b32 s19, s19, exec_lo
	s_or_saveexec_b32 s16, s16
	v_mov_b32_e32 v26, 0x7f800001
	s_xor_b32 exec_lo, exec_lo, s16
	s_cbranch_execnz .LBB6_7430
.LBB6_6607:                             ;   in Loop: Header=BB6_6037 Depth=3
	s_or_b32 exec_lo, exec_lo, s16
	s_and_saveexec_b32 s16, s19
	s_cbranch_execz .LBB6_6609
.LBB6_6608:                             ;   in Loop: Header=BB6_6037 Depth=3
	v_and_b32_e32 v26, 3, v27
	v_bfe_u32 v31, v27, 2, 5
	v_ffbh_u32_e32 v34, v26
	v_cmp_eq_u32_e32 vcc_lo, 0, v31
	v_min_u32_e32 v34, 32, v34
	v_subrev_nc_u32_e32 v82, 29, v34
	v_sub_nc_u32_e32 v34, 30, v34
	v_lshlrev_b32_e32 v82, v82, v27
	v_cndmask_b32_e32 v31, v31, v34, vcc_lo
	v_lshlrev_b32_e32 v34, 24, v27
	v_and_b32_e32 v82, 3, v82
	v_lshl_add_u32 v31, v31, 23, 0x37800000
	v_and_b32_e32 v34, 0x80000000, v34
	v_cndmask_b32_e32 v26, v26, v82, vcc_lo
	v_lshlrev_b32_e32 v26, 21, v26
	v_or3_b32 v26, v34, v31, v26
.LBB6_6609:                             ;   in Loop: Header=BB6_6037 Depth=3
	s_or_b32 exec_lo, exec_lo, s16
	v_mul_f32_e32 v1, v1, v26
	v_and_b32_e32 v26, 0x7f800000, v1
	v_cmp_ne_u32_e32 vcc_lo, 0x7f800000, v26
	v_mov_b32_e32 v26, 0x80
	s_and_saveexec_b32 s19, vcc_lo
	s_cbranch_execz .LBB6_6617
; %bb.6610:                             ;   in Loop: Header=BB6_6037 Depth=3
	v_mov_b32_e32 v26, 0
	s_mov_b32 s22, exec_lo
	v_cmpx_ne_u32_e32 0, v1
	s_cbranch_execz .LBB6_6616
; %bb.6611:                             ;   in Loop: Header=BB6_6037 Depth=3
	v_bfe_u32 v31, v1, 23, 8
	v_and_b32_e32 v26, 0x7fffff, v1
	v_cmp_gt_u32_e64 s16, 0x71, v31
	v_sub_nc_u32_e32 v34, 0x70, v31
	v_cmp_eq_u32_e32 vcc_lo, 0, v31
	v_or_b32_e32 v82, 0x800000, v26
	v_cndmask_b32_e64 v34, 0, v34, s16
	v_cndmask_b32_e32 v26, v82, v26, vcc_lo
	v_cndmask_b32_e64 v34, v34, 0x6f, vcc_lo
	v_lshl_add_u32 v82, 0x200000, v34, -1
	v_lshlrev_b32_e64 v83, v34, 0x100000
	v_and_b32_e32 v82, v82, v26
	v_cmp_eq_u32_e64 s16, v82, v83
	v_lshrrev_b32_e32 v82, v34, v26
	v_add_nc_u32_e32 v26, 0xffffff91, v31
	v_lshrrev_b32_e32 v31, 23, v82
	v_cndmask_b32_e64 v26, v26, 0xffffff92, vcc_lo
	v_xor_b32_e32 v31, 1, v31
	v_add_nc_u32_e32 v26, v34, v26
	v_bfe_u32 v34, v82, 21, 1
	v_add_nc_u32_e32 v34, -1, v34
	v_cndmask_b32_e64 v34, 0, v34, s16
	s_mov_b32 s16, exec_lo
	v_add_nc_u32_e32 v34, v34, v82
	v_and_b32_e32 v34, 0x1fffff, v34
	v_add_nc_u32_e32 v34, v34, v82
                                        ; implicit-def: $vgpr82
	v_cmpx_ne_u32_e64 v26, v31
	s_xor_b32 s16, exec_lo, s16
; %bb.6612:                             ;   in Loop: Header=BB6_6037 Depth=3
	v_cmp_lt_u32_e32 vcc_lo, 0xffffff, v34
	v_sub_nc_u32_e32 v26, v26, v31
	v_cndmask_b32_e64 v31, 0, 1, vcc_lo
	v_add_co_ci_u32_e64 v82, null, 0, v26, vcc_lo
	v_lshrrev_b32_e32 v34, v31, v34
; %bb.6613:                             ;   in Loop: Header=BB6_6037 Depth=3
	s_andn2_saveexec_b32 s16, s16
; %bb.6614:                             ;   in Loop: Header=BB6_6037 Depth=3
	v_bfe_u32 v82, v34, 23, 1
; %bb.6615:                             ;   in Loop: Header=BB6_6037 Depth=3
	s_or_b32 exec_lo, exec_lo, s16
	v_lshrrev_b32_e32 v26, 21, v34
	v_min_i32_e32 v31, 31, v82
	v_cmp_gt_i32_e32 vcc_lo, 32, v82
	v_and_b32_sdwa v1, v1, v60 dst_sel:DWORD dst_unused:UNUSED_PAD src0_sel:BYTE_3 src1_sel:DWORD
	v_lshlrev_b32_e32 v31, 2, v31
	v_cndmask_b32_e32 v26, 3, v26, vcc_lo
	v_and_b32_e32 v31, 0xfc, v31
	v_or_b32_e32 v34, v82, v26
	v_and_b32_e32 v26, 3, v26
	v_cmp_ne_u32_e32 vcc_lo, 0, v34
	v_or3_b32 v1, v31, v1, v26
	v_cndmask_b32_e32 v26, 0, v1, vcc_lo
.LBB6_6616:                             ;   in Loop: Header=BB6_6037 Depth=3
	s_or_b32 exec_lo, exec_lo, s22
.LBB6_6617:                             ;   in Loop: Header=BB6_6037 Depth=3
	s_or_b32 exec_lo, exec_lo, s19
	v_cmp_gt_i16_sdwa s19, v35, v59 src0_sel:BYTE_1 src1_sel:DWORD
	s_mov_b32 s16, 0
	s_and_saveexec_b32 s22, s19
	s_xor_b32 s19, exec_lo, s22
	s_cbranch_execz .LBB6_7431
; %bb.6618:                             ;   in Loop: Header=BB6_6037 Depth=3
	v_cmp_eq_u16_sdwa s23, v35, v60 src0_sel:BYTE_1 src1_sel:DWORD
	s_mov_b32 s16, -1
	s_and_saveexec_b32 s22, s23
; %bb.6619:                             ;   in Loop: Header=BB6_6037 Depth=3
	s_xor_b32 s16, exec_lo, -1
; %bb.6620:                             ;   in Loop: Header=BB6_6037 Depth=3
	s_or_b32 exec_lo, exec_lo, s22
	s_and_b32 s16, s16, exec_lo
	s_or_saveexec_b32 s19, s19
	v_mov_b32_e32 v1, 0x7f800001
	s_xor_b32 exec_lo, exec_lo, s19
	s_cbranch_execnz .LBB6_7432
.LBB6_6621:                             ;   in Loop: Header=BB6_6037 Depth=3
	s_or_b32 exec_lo, exec_lo, s19
	s_and_saveexec_b32 s19, s16
	s_cbranch_execz .LBB6_6623
.LBB6_6622:                             ;   in Loop: Header=BB6_6037 Depth=3
	v_and_b32_sdwa v1, v61, v35 dst_sel:DWORD dst_unused:UNUSED_PAD src0_sel:DWORD src1_sel:BYTE_1
	v_and_b32_e32 v31, 3, v1
	v_bfe_u32 v83, v1, 2, 5
	v_ffbh_u32_e32 v34, v31
	v_cmp_eq_u32_e32 vcc_lo, 0, v83
	v_min_u32_e32 v34, 32, v34
	v_subrev_nc_u32_e32 v82, 29, v34
	v_sub_nc_u32_e32 v34, 30, v34
	v_lshlrev_b32_e32 v1, v82, v1
	v_lshlrev_b32_sdwa v82, v62, v35 dst_sel:DWORD dst_unused:UNUSED_PAD src0_sel:DWORD src1_sel:BYTE_1
	v_cndmask_b32_e32 v34, v83, v34, vcc_lo
	v_and_b32_e32 v1, 3, v1
	v_lshl_add_u32 v34, v34, 23, 0x37800000
	v_cndmask_b32_e32 v1, v31, v1, vcc_lo
	v_and_b32_e32 v31, 0x80000000, v82
	v_lshlrev_b32_e32 v1, 21, v1
	v_or3_b32 v1, v31, v34, v1
.LBB6_6623:                             ;   in Loop: Header=BB6_6037 Depth=3
	s_or_b32 exec_lo, exec_lo, s19
	v_cmp_gt_i16_sdwa s19, v27, v59 src0_sel:BYTE_1 src1_sel:DWORD
	s_mov_b32 s16, 0
	s_and_saveexec_b32 s22, s19
	s_xor_b32 s19, exec_lo, s22
	s_cbranch_execz .LBB6_7433
; %bb.6624:                             ;   in Loop: Header=BB6_6037 Depth=3
	v_cmp_eq_u16_sdwa s23, v27, v60 src0_sel:BYTE_1 src1_sel:DWORD
	s_mov_b32 s16, -1
	s_and_saveexec_b32 s22, s23
; %bb.6625:                             ;   in Loop: Header=BB6_6037 Depth=3
	s_xor_b32 s16, exec_lo, -1
; %bb.6626:                             ;   in Loop: Header=BB6_6037 Depth=3
	s_or_b32 exec_lo, exec_lo, s22
	s_and_b32 s16, s16, exec_lo
	s_or_saveexec_b32 s19, s19
	v_mov_b32_e32 v31, 0x7f800001
	s_xor_b32 exec_lo, exec_lo, s19
	s_cbranch_execnz .LBB6_7434
.LBB6_6627:                             ;   in Loop: Header=BB6_6037 Depth=3
	s_or_b32 exec_lo, exec_lo, s19
	s_and_saveexec_b32 s19, s16
	s_cbranch_execz .LBB6_6629
.LBB6_6628:                             ;   in Loop: Header=BB6_6037 Depth=3
	v_and_b32_sdwa v31, v61, v27 dst_sel:DWORD dst_unused:UNUSED_PAD src0_sel:DWORD src1_sel:BYTE_1
	v_and_b32_e32 v34, 3, v31
	v_bfe_u32 v86, v31, 2, 5
	v_ffbh_u32_e32 v82, v34
	v_cmp_eq_u32_e32 vcc_lo, 0, v86
	v_min_u32_e32 v82, 32, v82
	v_subrev_nc_u32_e32 v83, 29, v82
	v_sub_nc_u32_e32 v82, 30, v82
	v_lshlrev_b32_e32 v31, v83, v31
	v_lshlrev_b32_sdwa v83, v62, v27 dst_sel:DWORD dst_unused:UNUSED_PAD src0_sel:DWORD src1_sel:BYTE_1
	v_cndmask_b32_e32 v82, v86, v82, vcc_lo
	v_and_b32_e32 v31, 3, v31
	v_lshl_add_u32 v82, v82, 23, 0x37800000
	v_cndmask_b32_e32 v31, v34, v31, vcc_lo
	v_and_b32_e32 v34, 0x80000000, v83
	v_lshlrev_b32_e32 v31, 21, v31
	v_or3_b32 v31, v34, v82, v31
.LBB6_6629:                             ;   in Loop: Header=BB6_6037 Depth=3
	s_or_b32 exec_lo, exec_lo, s19
	v_mul_f32_e32 v1, v1, v31
	v_mov_b32_e32 v34, 0x8000
	s_mov_b32 s19, exec_lo
	v_and_b32_e32 v31, 0x7f800000, v1
	v_cmpx_ne_u32_e32 0x7f800000, v31
	s_cbranch_execz .LBB6_6637
; %bb.6630:                             ;   in Loop: Header=BB6_6037 Depth=3
	v_mov_b32_e32 v34, 0
	s_mov_b32 s22, exec_lo
	v_cmpx_ne_u32_e32 0, v1
	s_cbranch_execz .LBB6_6636
; %bb.6631:                             ;   in Loop: Header=BB6_6037 Depth=3
	v_bfe_u32 v34, v1, 23, 8
	v_and_b32_e32 v31, 0x7fffff, v1
	v_cmp_gt_u32_e64 s16, 0x71, v34
	v_sub_nc_u32_e32 v82, 0x70, v34
	v_cmp_eq_u32_e32 vcc_lo, 0, v34
	v_or_b32_e32 v83, 0x800000, v31
	v_cndmask_b32_e64 v82, 0, v82, s16
	v_cndmask_b32_e32 v31, v83, v31, vcc_lo
	v_cndmask_b32_e64 v82, v82, 0x6f, vcc_lo
	v_lshl_add_u32 v83, 0x200000, v82, -1
	v_lshlrev_b32_e64 v86, v82, 0x100000
	v_and_b32_e32 v83, v83, v31
	v_cmp_eq_u32_e64 s16, v83, v86
	v_lshrrev_b32_e32 v83, v82, v31
	v_add_nc_u32_e32 v31, 0xffffff91, v34
	v_lshrrev_b32_e32 v34, 23, v83
	v_cndmask_b32_e64 v31, v31, 0xffffff92, vcc_lo
	v_xor_b32_e32 v34, 1, v34
	v_add_nc_u32_e32 v31, v82, v31
	v_bfe_u32 v82, v83, 21, 1
	v_add_nc_u32_e32 v82, -1, v82
	v_cndmask_b32_e64 v82, 0, v82, s16
	s_mov_b32 s16, exec_lo
	v_add_nc_u32_e32 v82, v82, v83
	v_and_b32_e32 v82, 0x1fffff, v82
	v_add_nc_u32_e32 v82, v82, v83
                                        ; implicit-def: $vgpr83
	v_cmpx_ne_u32_e64 v31, v34
	s_xor_b32 s16, exec_lo, s16
; %bb.6632:                             ;   in Loop: Header=BB6_6037 Depth=3
	v_cmp_lt_u32_e32 vcc_lo, 0xffffff, v82
	v_sub_nc_u32_e32 v31, v31, v34
	v_cndmask_b32_e64 v34, 0, 1, vcc_lo
	v_add_co_ci_u32_e64 v83, null, 0, v31, vcc_lo
	v_lshrrev_b32_e32 v82, v34, v82
; %bb.6633:                             ;   in Loop: Header=BB6_6037 Depth=3
	s_andn2_saveexec_b32 s16, s16
; %bb.6634:                             ;   in Loop: Header=BB6_6037 Depth=3
	v_bfe_u32 v83, v82, 23, 1
; %bb.6635:                             ;   in Loop: Header=BB6_6037 Depth=3
	s_or_b32 exec_lo, exec_lo, s16
	v_lshrrev_b32_e32 v31, 21, v82
	v_min_i32_e32 v34, 31, v83
	v_cmp_gt_i32_e32 vcc_lo, 32, v83
	v_and_b32_sdwa v1, v1, v60 dst_sel:DWORD dst_unused:UNUSED_PAD src0_sel:BYTE_3 src1_sel:DWORD
	v_lshlrev_b32_e32 v34, 2, v34
	v_cndmask_b32_e32 v31, 3, v31, vcc_lo
	v_and_b32_e32 v34, 0xfc, v34
	v_or_b32_e32 v82, v83, v31
	v_and_b32_e32 v31, 3, v31
	v_cmp_ne_u32_e32 vcc_lo, 0, v82
	v_or3_b32 v1, v1, v34, v31
	v_lshlrev_b32_e32 v1, 8, v1
	v_cndmask_b32_e32 v34, 0, v1, vcc_lo
.LBB6_6636:                             ;   in Loop: Header=BB6_6037 Depth=3
	s_or_b32 exec_lo, exec_lo, s22
.LBB6_6637:                             ;   in Loop: Header=BB6_6037 Depth=3
	s_or_b32 exec_lo, exec_lo, s19
	v_and_b32_sdwa v31, v35, v63 dst_sel:DWORD dst_unused:UNUSED_PAD src0_sel:WORD_1 src1_sel:DWORD
	s_mov_b32 s19, 0
	s_mov_b32 s16, exec_lo
	v_cmpx_lt_i16_e32 0x7f, v31
	s_xor_b32 s16, exec_lo, s16
	s_cbranch_execz .LBB6_7435
; %bb.6638:                             ;   in Loop: Header=BB6_6037 Depth=3
	s_mov_b32 s19, -1
	s_mov_b32 s22, exec_lo
	v_cmpx_eq_u16_e32 0x80, v31
; %bb.6639:                             ;   in Loop: Header=BB6_6037 Depth=3
	s_xor_b32 s19, exec_lo, -1
; %bb.6640:                             ;   in Loop: Header=BB6_6037 Depth=3
	s_or_b32 exec_lo, exec_lo, s22
	s_and_b32 s19, s19, exec_lo
                                        ; implicit-def: $vgpr31
	s_or_saveexec_b32 s16, s16
	v_mov_b32_e32 v1, 0x7f800001
	s_xor_b32 exec_lo, exec_lo, s16
	s_cbranch_execnz .LBB6_7436
.LBB6_6641:                             ;   in Loop: Header=BB6_6037 Depth=3
	s_or_b32 exec_lo, exec_lo, s16
	s_and_saveexec_b32 s16, s19
	s_cbranch_execz .LBB6_6643
.LBB6_6642:                             ;   in Loop: Header=BB6_6037 Depth=3
	v_bfe_u32 v1, v35, 16, 2
	v_bfe_u32 v31, v35, 18, 5
	v_ffbh_u32_e32 v82, v1
	v_cmp_eq_u32_e32 vcc_lo, 0, v31
	v_min_u32_e32 v82, 32, v82
	v_subrev_nc_u32_e32 v83, 29, v82
	v_sub_nc_u32_e32 v82, 30, v82
	v_lshlrev_b32_sdwa v83, v83, v35 dst_sel:DWORD dst_unused:UNUSED_PAD src0_sel:DWORD src1_sel:WORD_1
	v_cndmask_b32_e32 v31, v31, v82, vcc_lo
	v_lshlrev_b32_e32 v82, 8, v35
	v_and_b32_e32 v83, 3, v83
	v_lshl_add_u32 v31, v31, 23, 0x37800000
	v_and_b32_e32 v82, 0x80000000, v82
	v_cndmask_b32_e32 v1, v1, v83, vcc_lo
	v_lshlrev_b32_e32 v1, 21, v1
	v_or3_b32 v1, v82, v31, v1
.LBB6_6643:                             ;   in Loop: Header=BB6_6037 Depth=3
	s_or_b32 exec_lo, exec_lo, s16
	v_and_b32_sdwa v82, v27, v63 dst_sel:DWORD dst_unused:UNUSED_PAD src0_sel:WORD_1 src1_sel:DWORD
	s_mov_b32 s19, 0
	s_mov_b32 s16, exec_lo
	v_cmpx_lt_i16_e32 0x7f, v82
	s_xor_b32 s16, exec_lo, s16
	s_cbranch_execz .LBB6_7437
; %bb.6644:                             ;   in Loop: Header=BB6_6037 Depth=3
	s_mov_b32 s19, -1
	s_mov_b32 s22, exec_lo
	v_cmpx_eq_u16_e32 0x80, v82
; %bb.6645:                             ;   in Loop: Header=BB6_6037 Depth=3
	s_xor_b32 s19, exec_lo, -1
; %bb.6646:                             ;   in Loop: Header=BB6_6037 Depth=3
	s_or_b32 exec_lo, exec_lo, s22
	s_and_b32 s19, s19, exec_lo
                                        ; implicit-def: $vgpr82
	s_or_saveexec_b32 s16, s16
	v_mov_b32_e32 v31, 0x7f800001
	s_xor_b32 exec_lo, exec_lo, s16
	s_cbranch_execnz .LBB6_7438
.LBB6_6647:                             ;   in Loop: Header=BB6_6037 Depth=3
	s_or_b32 exec_lo, exec_lo, s16
	s_and_saveexec_b32 s16, s19
	s_cbranch_execz .LBB6_6649
.LBB6_6648:                             ;   in Loop: Header=BB6_6037 Depth=3
	v_bfe_u32 v31, v27, 16, 2
	v_bfe_u32 v82, v27, 18, 5
	v_ffbh_u32_e32 v83, v31
	v_cmp_eq_u32_e32 vcc_lo, 0, v82
	v_min_u32_e32 v83, 32, v83
	v_subrev_nc_u32_e32 v86, 29, v83
	v_sub_nc_u32_e32 v83, 30, v83
	v_lshlrev_b32_sdwa v86, v86, v27 dst_sel:DWORD dst_unused:UNUSED_PAD src0_sel:DWORD src1_sel:WORD_1
	v_cndmask_b32_e32 v82, v82, v83, vcc_lo
	v_lshlrev_b32_e32 v83, 8, v27
	v_and_b32_e32 v86, 3, v86
	v_lshl_add_u32 v82, v82, 23, 0x37800000
	v_and_b32_e32 v83, 0x80000000, v83
	v_cndmask_b32_e32 v31, v31, v86, vcc_lo
	v_lshlrev_b32_e32 v31, 21, v31
	v_or3_b32 v31, v83, v82, v31
.LBB6_6649:                             ;   in Loop: Header=BB6_6037 Depth=3
	s_or_b32 exec_lo, exec_lo, s16
	v_mul_f32_e32 v1, v1, v31
	v_mov_b32_e32 v82, 0x80
	s_mov_b32 s19, exec_lo
	v_and_b32_e32 v31, 0x7f800000, v1
	v_cmpx_ne_u32_e32 0x7f800000, v31
	s_cbranch_execz .LBB6_6657
; %bb.6650:                             ;   in Loop: Header=BB6_6037 Depth=3
	v_mov_b32_e32 v82, 0
	s_mov_b32 s22, exec_lo
	v_cmpx_ne_u32_e32 0, v1
	s_cbranch_execz .LBB6_6656
; %bb.6651:                             ;   in Loop: Header=BB6_6037 Depth=3
	v_bfe_u32 v82, v1, 23, 8
	v_and_b32_e32 v31, 0x7fffff, v1
	v_cmp_gt_u32_e64 s16, 0x71, v82
	v_sub_nc_u32_e32 v83, 0x70, v82
	v_cmp_eq_u32_e32 vcc_lo, 0, v82
	v_or_b32_e32 v86, 0x800000, v31
	v_cndmask_b32_e64 v83, 0, v83, s16
	v_cndmask_b32_e32 v31, v86, v31, vcc_lo
	v_cndmask_b32_e64 v83, v83, 0x6f, vcc_lo
	v_lshl_add_u32 v86, 0x200000, v83, -1
	v_lshlrev_b32_e64 v87, v83, 0x100000
	v_and_b32_e32 v86, v86, v31
	v_cmp_eq_u32_e64 s16, v86, v87
	v_lshrrev_b32_e32 v86, v83, v31
	v_add_nc_u32_e32 v31, 0xffffff91, v82
	v_lshrrev_b32_e32 v82, 23, v86
	v_cndmask_b32_e64 v31, v31, 0xffffff92, vcc_lo
	v_xor_b32_e32 v82, 1, v82
	v_add_nc_u32_e32 v31, v83, v31
	v_bfe_u32 v83, v86, 21, 1
	v_add_nc_u32_e32 v83, -1, v83
	v_cndmask_b32_e64 v83, 0, v83, s16
	s_mov_b32 s16, exec_lo
	v_add_nc_u32_e32 v83, v83, v86
	v_and_b32_e32 v83, 0x1fffff, v83
	v_add_nc_u32_e32 v83, v83, v86
                                        ; implicit-def: $vgpr86
	v_cmpx_ne_u32_e64 v31, v82
	s_xor_b32 s16, exec_lo, s16
; %bb.6652:                             ;   in Loop: Header=BB6_6037 Depth=3
	v_cmp_lt_u32_e32 vcc_lo, 0xffffff, v83
	v_sub_nc_u32_e32 v31, v31, v82
	v_cndmask_b32_e64 v82, 0, 1, vcc_lo
	v_add_co_ci_u32_e64 v86, null, 0, v31, vcc_lo
	v_lshrrev_b32_e32 v83, v82, v83
; %bb.6653:                             ;   in Loop: Header=BB6_6037 Depth=3
	s_andn2_saveexec_b32 s16, s16
; %bb.6654:                             ;   in Loop: Header=BB6_6037 Depth=3
	v_bfe_u32 v86, v83, 23, 1
; %bb.6655:                             ;   in Loop: Header=BB6_6037 Depth=3
	s_or_b32 exec_lo, exec_lo, s16
	v_lshrrev_b32_e32 v31, 21, v83
	v_min_i32_e32 v82, 31, v86
	v_cmp_gt_i32_e32 vcc_lo, 32, v86
	v_and_b32_sdwa v1, v1, v60 dst_sel:DWORD dst_unused:UNUSED_PAD src0_sel:BYTE_3 src1_sel:DWORD
	v_lshlrev_b32_e32 v82, 2, v82
	v_cndmask_b32_e32 v31, 3, v31, vcc_lo
	v_and_b32_e32 v82, 0xfc, v82
	v_or_b32_e32 v83, v86, v31
	v_and_b32_e32 v31, 3, v31
	v_cmp_ne_u32_e32 vcc_lo, 0, v83
	v_or3_b32 v1, v82, v1, v31
	v_cndmask_b32_e32 v82, 0, v1, vcc_lo
.LBB6_6656:                             ;   in Loop: Header=BB6_6037 Depth=3
	s_or_b32 exec_lo, exec_lo, s22
.LBB6_6657:                             ;   in Loop: Header=BB6_6037 Depth=3
	s_or_b32 exec_lo, exec_lo, s19
	v_cmp_gt_i16_sdwa s19, v35, v59 src0_sel:BYTE_3 src1_sel:DWORD
	s_mov_b32 s16, 0
	s_and_saveexec_b32 s22, s19
	s_xor_b32 s19, exec_lo, s22
	s_cbranch_execz .LBB6_7439
; %bb.6658:                             ;   in Loop: Header=BB6_6037 Depth=3
	v_cmp_eq_u16_sdwa s23, v35, v60 src0_sel:BYTE_3 src1_sel:DWORD
	s_mov_b32 s16, -1
	s_and_saveexec_b32 s22, s23
; %bb.6659:                             ;   in Loop: Header=BB6_6037 Depth=3
	s_xor_b32 s16, exec_lo, -1
; %bb.6660:                             ;   in Loop: Header=BB6_6037 Depth=3
	s_or_b32 exec_lo, exec_lo, s22
	s_and_b32 s16, s16, exec_lo
	s_or_saveexec_b32 s19, s19
	v_mov_b32_e32 v1, 0x7f800001
	s_xor_b32 exec_lo, exec_lo, s19
	s_cbranch_execnz .LBB6_7440
.LBB6_6661:                             ;   in Loop: Header=BB6_6037 Depth=3
	s_or_b32 exec_lo, exec_lo, s19
	s_and_saveexec_b32 s19, s16
	s_cbranch_execz .LBB6_6663
.LBB6_6662:                             ;   in Loop: Header=BB6_6037 Depth=3
	v_bfe_u32 v1, v35, 24, 2
	v_bfe_u32 v86, v35, 26, 5
	v_ffbh_u32_e32 v31, v1
	v_cmp_eq_u32_e32 vcc_lo, 0, v86
	v_min_u32_e32 v31, 32, v31
	v_subrev_nc_u32_e32 v83, 29, v31
	v_sub_nc_u32_e32 v31, 30, v31
	v_lshlrev_b32_sdwa v83, v83, v35 dst_sel:DWORD dst_unused:UNUSED_PAD src0_sel:DWORD src1_sel:BYTE_3
	v_cndmask_b32_e32 v31, v86, v31, vcc_lo
	v_and_b32_e32 v35, 0x80000000, v35
	v_and_b32_e32 v83, 3, v83
	v_lshl_add_u32 v31, v31, 23, 0x37800000
	v_cndmask_b32_e32 v1, v1, v83, vcc_lo
	v_lshlrev_b32_e32 v1, 21, v1
	v_or3_b32 v1, v35, v31, v1
.LBB6_6663:                             ;   in Loop: Header=BB6_6037 Depth=3
	s_or_b32 exec_lo, exec_lo, s19
	v_cmp_gt_i16_sdwa s19, v27, v59 src0_sel:BYTE_3 src1_sel:DWORD
	s_mov_b32 s16, 0
	s_and_saveexec_b32 s22, s19
	s_xor_b32 s19, exec_lo, s22
	s_cbranch_execz .LBB6_7441
; %bb.6664:                             ;   in Loop: Header=BB6_6037 Depth=3
	v_cmp_eq_u16_sdwa s23, v27, v60 src0_sel:BYTE_3 src1_sel:DWORD
	s_mov_b32 s16, -1
	s_and_saveexec_b32 s22, s23
; %bb.6665:                             ;   in Loop: Header=BB6_6037 Depth=3
	s_xor_b32 s16, exec_lo, -1
; %bb.6666:                             ;   in Loop: Header=BB6_6037 Depth=3
	s_or_b32 exec_lo, exec_lo, s22
	s_and_b32 s16, s16, exec_lo
	s_or_saveexec_b32 s19, s19
	v_mov_b32_e32 v31, 0x7f800001
	s_xor_b32 exec_lo, exec_lo, s19
	s_cbranch_execnz .LBB6_7442
.LBB6_6667:                             ;   in Loop: Header=BB6_6037 Depth=3
	s_or_b32 exec_lo, exec_lo, s19
	s_and_saveexec_b32 s19, s16
	s_cbranch_execz .LBB6_6669
.LBB6_6668:                             ;   in Loop: Header=BB6_6037 Depth=3
	v_bfe_u32 v31, v27, 24, 2
	v_bfe_u32 v86, v27, 26, 5
	v_ffbh_u32_e32 v35, v31
	v_cmp_eq_u32_e32 vcc_lo, 0, v86
	v_min_u32_e32 v35, 32, v35
	v_subrev_nc_u32_e32 v83, 29, v35
	v_sub_nc_u32_e32 v35, 30, v35
	v_lshlrev_b32_sdwa v83, v83, v27 dst_sel:DWORD dst_unused:UNUSED_PAD src0_sel:DWORD src1_sel:BYTE_3
	v_cndmask_b32_e32 v35, v86, v35, vcc_lo
	v_and_b32_e32 v27, 0x80000000, v27
	v_and_b32_e32 v83, 3, v83
	v_lshl_add_u32 v35, v35, 23, 0x37800000
	v_cndmask_b32_e32 v31, v31, v83, vcc_lo
	v_lshlrev_b32_e32 v31, 21, v31
	v_or3_b32 v31, v27, v35, v31
.LBB6_6669:                             ;   in Loop: Header=BB6_6037 Depth=3
	s_or_b32 exec_lo, exec_lo, s19
	v_mul_f32_e32 v1, v1, v31
	v_and_b32_e32 v27, 0x7f800000, v1
	v_cmp_ne_u32_e32 vcc_lo, 0x7f800000, v27
	v_mov_b32_e32 v27, 0x8000
	s_and_saveexec_b32 s19, vcc_lo
	s_cbranch_execz .LBB6_6677
; %bb.6670:                             ;   in Loop: Header=BB6_6037 Depth=3
	v_mov_b32_e32 v27, 0
	s_mov_b32 s22, exec_lo
	v_cmpx_ne_u32_e32 0, v1
	s_cbranch_execz .LBB6_6676
; %bb.6671:                             ;   in Loop: Header=BB6_6037 Depth=3
	v_bfe_u32 v31, v1, 23, 8
	v_and_b32_e32 v27, 0x7fffff, v1
	v_cmp_gt_u32_e64 s16, 0x71, v31
	v_sub_nc_u32_e32 v35, 0x70, v31
	v_cmp_eq_u32_e32 vcc_lo, 0, v31
	v_or_b32_e32 v83, 0x800000, v27
	v_cndmask_b32_e64 v35, 0, v35, s16
	v_cndmask_b32_e32 v27, v83, v27, vcc_lo
	v_cndmask_b32_e64 v35, v35, 0x6f, vcc_lo
	v_lshl_add_u32 v83, 0x200000, v35, -1
	v_lshlrev_b32_e64 v86, v35, 0x100000
	v_and_b32_e32 v83, v83, v27
	v_cmp_eq_u32_e64 s16, v83, v86
	v_lshrrev_b32_e32 v83, v35, v27
	v_add_nc_u32_e32 v27, 0xffffff91, v31
	v_lshrrev_b32_e32 v31, 23, v83
	v_cndmask_b32_e64 v27, v27, 0xffffff92, vcc_lo
	v_xor_b32_e32 v31, 1, v31
	v_add_nc_u32_e32 v27, v35, v27
	v_bfe_u32 v35, v83, 21, 1
	v_add_nc_u32_e32 v35, -1, v35
	v_cndmask_b32_e64 v35, 0, v35, s16
	s_mov_b32 s16, exec_lo
	v_add_nc_u32_e32 v35, v35, v83
	v_and_b32_e32 v35, 0x1fffff, v35
	v_add_nc_u32_e32 v35, v35, v83
                                        ; implicit-def: $vgpr83
	v_cmpx_ne_u32_e64 v27, v31
	s_xor_b32 s16, exec_lo, s16
; %bb.6672:                             ;   in Loop: Header=BB6_6037 Depth=3
	v_cmp_lt_u32_e32 vcc_lo, 0xffffff, v35
	v_sub_nc_u32_e32 v27, v27, v31
	v_cndmask_b32_e64 v31, 0, 1, vcc_lo
	v_add_co_ci_u32_e64 v83, null, 0, v27, vcc_lo
	v_lshrrev_b32_e32 v35, v31, v35
; %bb.6673:                             ;   in Loop: Header=BB6_6037 Depth=3
	s_andn2_saveexec_b32 s16, s16
; %bb.6674:                             ;   in Loop: Header=BB6_6037 Depth=3
	v_bfe_u32 v83, v35, 23, 1
; %bb.6675:                             ;   in Loop: Header=BB6_6037 Depth=3
	s_or_b32 exec_lo, exec_lo, s16
	v_lshrrev_b32_e32 v27, 21, v35
	v_min_i32_e32 v31, 31, v83
	v_cmp_gt_i32_e32 vcc_lo, 32, v83
	v_and_b32_sdwa v1, v1, v60 dst_sel:DWORD dst_unused:UNUSED_PAD src0_sel:BYTE_3 src1_sel:DWORD
	v_lshlrev_b32_e32 v31, 2, v31
	v_cndmask_b32_e32 v27, 3, v27, vcc_lo
	v_and_b32_e32 v31, 0xfc, v31
	v_or_b32_e32 v35, v83, v27
	v_and_b32_e32 v27, 3, v27
	v_cmp_ne_u32_e32 vcc_lo, 0, v35
	v_or3_b32 v1, v1, v31, v27
	v_lshlrev_b32_e32 v1, 8, v1
	v_cndmask_b32_e32 v27, 0, v1, vcc_lo
.LBB6_6676:                             ;   in Loop: Header=BB6_6037 Depth=3
	s_or_b32 exec_lo, exec_lo, s22
.LBB6_6677:                             ;   in Loop: Header=BB6_6037 Depth=3
	s_or_b32 exec_lo, exec_lo, s19
	v_cmp_gt_i16_sdwa s16, v20, v59 src0_sel:BYTE_0 src1_sel:DWORD
	s_mov_b32 s19, 0
	s_and_saveexec_b32 s22, s16
	s_xor_b32 s16, exec_lo, s22
	s_cbranch_execz .LBB6_7443
; %bb.6678:                             ;   in Loop: Header=BB6_6037 Depth=3
	v_cmp_eq_u16_sdwa s23, v20, v60 src0_sel:BYTE_0 src1_sel:DWORD
	s_mov_b32 s19, -1
	s_and_saveexec_b32 s22, s23
; %bb.6679:                             ;   in Loop: Header=BB6_6037 Depth=3
	s_xor_b32 s19, exec_lo, -1
; %bb.6680:                             ;   in Loop: Header=BB6_6037 Depth=3
	s_or_b32 exec_lo, exec_lo, s22
	s_and_b32 s19, s19, exec_lo
	s_or_saveexec_b32 s16, s16
	v_mov_b32_e32 v1, 0x7f800001
	s_xor_b32 exec_lo, exec_lo, s16
	s_cbranch_execnz .LBB6_7444
.LBB6_6681:                             ;   in Loop: Header=BB6_6037 Depth=3
	s_or_b32 exec_lo, exec_lo, s16
	s_and_saveexec_b32 s16, s19
	s_cbranch_execz .LBB6_6683
.LBB6_6682:                             ;   in Loop: Header=BB6_6037 Depth=3
	v_and_b32_e32 v1, 3, v20
	v_bfe_u32 v31, v20, 2, 5
	v_ffbh_u32_e32 v35, v1
	v_cmp_eq_u32_e32 vcc_lo, 0, v31
	v_min_u32_e32 v35, 32, v35
	v_subrev_nc_u32_e32 v83, 29, v35
	v_sub_nc_u32_e32 v35, 30, v35
	v_lshlrev_b32_e32 v83, v83, v20
	v_cndmask_b32_e32 v31, v31, v35, vcc_lo
	v_lshlrev_b32_e32 v35, 24, v20
	v_and_b32_e32 v83, 3, v83
	v_lshl_add_u32 v31, v31, 23, 0x37800000
	v_and_b32_e32 v35, 0x80000000, v35
	v_cndmask_b32_e32 v1, v1, v83, vcc_lo
	v_lshlrev_b32_e32 v1, 21, v1
	v_or3_b32 v1, v35, v31, v1
.LBB6_6683:                             ;   in Loop: Header=BB6_6037 Depth=3
	s_or_b32 exec_lo, exec_lo, s16
	s_waitcnt vmcnt(1)
	v_cmp_gt_i16_sdwa s16, v16, v59 src0_sel:BYTE_0 src1_sel:DWORD
	s_mov_b32 s19, 0
	s_and_saveexec_b32 s22, s16
	s_xor_b32 s16, exec_lo, s22
	s_cbranch_execz .LBB6_7445
; %bb.6684:                             ;   in Loop: Header=BB6_6037 Depth=3
	v_cmp_eq_u16_sdwa s23, v16, v60 src0_sel:BYTE_0 src1_sel:DWORD
	s_mov_b32 s19, -1
	s_and_saveexec_b32 s22, s23
; %bb.6685:                             ;   in Loop: Header=BB6_6037 Depth=3
	s_xor_b32 s19, exec_lo, -1
; %bb.6686:                             ;   in Loop: Header=BB6_6037 Depth=3
	s_or_b32 exec_lo, exec_lo, s22
	s_and_b32 s19, s19, exec_lo
	s_or_saveexec_b32 s16, s16
	v_mov_b32_e32 v31, 0x7f800001
	s_xor_b32 exec_lo, exec_lo, s16
	s_cbranch_execnz .LBB6_7446
.LBB6_6687:                             ;   in Loop: Header=BB6_6037 Depth=3
	s_or_b32 exec_lo, exec_lo, s16
	s_and_saveexec_b32 s16, s19
	s_cbranch_execz .LBB6_6689
.LBB6_6688:                             ;   in Loop: Header=BB6_6037 Depth=3
	v_and_b32_e32 v31, 3, v16
	v_bfe_u32 v35, v16, 2, 5
	v_ffbh_u32_e32 v83, v31
	v_cmp_eq_u32_e32 vcc_lo, 0, v35
	v_min_u32_e32 v83, 32, v83
	v_subrev_nc_u32_e32 v86, 29, v83
	v_sub_nc_u32_e32 v83, 30, v83
	v_lshlrev_b32_e32 v86, v86, v16
	v_cndmask_b32_e32 v35, v35, v83, vcc_lo
	v_lshlrev_b32_e32 v83, 24, v16
	v_and_b32_e32 v86, 3, v86
	v_lshl_add_u32 v35, v35, 23, 0x37800000
	v_and_b32_e32 v83, 0x80000000, v83
	v_cndmask_b32_e32 v31, v31, v86, vcc_lo
	v_lshlrev_b32_e32 v31, 21, v31
	v_or3_b32 v31, v83, v35, v31
.LBB6_6689:                             ;   in Loop: Header=BB6_6037 Depth=3
	s_or_b32 exec_lo, exec_lo, s16
	v_mul_f32_e32 v1, v1, v31
	v_mov_b32_e32 v35, 0x80
	s_mov_b32 s19, exec_lo
	v_and_b32_e32 v31, 0x7f800000, v1
	v_cmpx_ne_u32_e32 0x7f800000, v31
	s_cbranch_execz .LBB6_6697
; %bb.6690:                             ;   in Loop: Header=BB6_6037 Depth=3
	v_mov_b32_e32 v35, 0
	s_mov_b32 s22, exec_lo
	v_cmpx_ne_u32_e32 0, v1
	s_cbranch_execz .LBB6_6696
; %bb.6691:                             ;   in Loop: Header=BB6_6037 Depth=3
	v_bfe_u32 v35, v1, 23, 8
	v_and_b32_e32 v31, 0x7fffff, v1
	v_cmp_gt_u32_e64 s16, 0x71, v35
	v_sub_nc_u32_e32 v83, 0x70, v35
	v_cmp_eq_u32_e32 vcc_lo, 0, v35
	v_or_b32_e32 v86, 0x800000, v31
	v_cndmask_b32_e64 v83, 0, v83, s16
	v_cndmask_b32_e32 v31, v86, v31, vcc_lo
	v_cndmask_b32_e64 v83, v83, 0x6f, vcc_lo
	v_lshl_add_u32 v86, 0x200000, v83, -1
	v_lshlrev_b32_e64 v87, v83, 0x100000
	v_and_b32_e32 v86, v86, v31
	v_cmp_eq_u32_e64 s16, v86, v87
	v_lshrrev_b32_e32 v86, v83, v31
	v_add_nc_u32_e32 v31, 0xffffff91, v35
	v_lshrrev_b32_e32 v35, 23, v86
	v_cndmask_b32_e64 v31, v31, 0xffffff92, vcc_lo
	v_xor_b32_e32 v35, 1, v35
	v_add_nc_u32_e32 v31, v83, v31
	v_bfe_u32 v83, v86, 21, 1
	v_add_nc_u32_e32 v83, -1, v83
	v_cndmask_b32_e64 v83, 0, v83, s16
	s_mov_b32 s16, exec_lo
	v_add_nc_u32_e32 v83, v83, v86
	v_and_b32_e32 v83, 0x1fffff, v83
	v_add_nc_u32_e32 v83, v83, v86
                                        ; implicit-def: $vgpr86
	v_cmpx_ne_u32_e64 v31, v35
	s_xor_b32 s16, exec_lo, s16
; %bb.6692:                             ;   in Loop: Header=BB6_6037 Depth=3
	v_cmp_lt_u32_e32 vcc_lo, 0xffffff, v83
	v_sub_nc_u32_e32 v31, v31, v35
	v_cndmask_b32_e64 v35, 0, 1, vcc_lo
	v_add_co_ci_u32_e64 v86, null, 0, v31, vcc_lo
	v_lshrrev_b32_e32 v83, v35, v83
; %bb.6693:                             ;   in Loop: Header=BB6_6037 Depth=3
	s_andn2_saveexec_b32 s16, s16
; %bb.6694:                             ;   in Loop: Header=BB6_6037 Depth=3
	v_bfe_u32 v86, v83, 23, 1
; %bb.6695:                             ;   in Loop: Header=BB6_6037 Depth=3
	s_or_b32 exec_lo, exec_lo, s16
	v_lshrrev_b32_e32 v31, 21, v83
	v_min_i32_e32 v35, 31, v86
	v_cmp_gt_i32_e32 vcc_lo, 32, v86
	v_and_b32_sdwa v1, v1, v60 dst_sel:DWORD dst_unused:UNUSED_PAD src0_sel:BYTE_3 src1_sel:DWORD
	v_lshlrev_b32_e32 v35, 2, v35
	v_cndmask_b32_e32 v31, 3, v31, vcc_lo
	v_and_b32_e32 v35, 0xfc, v35
	v_or_b32_e32 v83, v86, v31
	v_and_b32_e32 v31, 3, v31
	v_cmp_ne_u32_e32 vcc_lo, 0, v83
	v_or3_b32 v1, v35, v1, v31
	v_cndmask_b32_e32 v35, 0, v1, vcc_lo
.LBB6_6696:                             ;   in Loop: Header=BB6_6037 Depth=3
	s_or_b32 exec_lo, exec_lo, s22
.LBB6_6697:                             ;   in Loop: Header=BB6_6037 Depth=3
	s_or_b32 exec_lo, exec_lo, s19
	v_cmp_gt_i16_sdwa s19, v20, v59 src0_sel:BYTE_1 src1_sel:DWORD
	s_mov_b32 s16, 0
	s_and_saveexec_b32 s22, s19
	s_xor_b32 s19, exec_lo, s22
	s_cbranch_execz .LBB6_7447
; %bb.6698:                             ;   in Loop: Header=BB6_6037 Depth=3
	v_cmp_eq_u16_sdwa s23, v20, v60 src0_sel:BYTE_1 src1_sel:DWORD
	s_mov_b32 s16, -1
	s_and_saveexec_b32 s22, s23
; %bb.6699:                             ;   in Loop: Header=BB6_6037 Depth=3
	s_xor_b32 s16, exec_lo, -1
; %bb.6700:                             ;   in Loop: Header=BB6_6037 Depth=3
	s_or_b32 exec_lo, exec_lo, s22
	s_and_b32 s16, s16, exec_lo
	s_or_saveexec_b32 s19, s19
	v_mov_b32_e32 v1, 0x7f800001
	s_xor_b32 exec_lo, exec_lo, s19
	s_cbranch_execnz .LBB6_7448
.LBB6_6701:                             ;   in Loop: Header=BB6_6037 Depth=3
	s_or_b32 exec_lo, exec_lo, s19
	s_and_saveexec_b32 s19, s16
	s_cbranch_execz .LBB6_6703
.LBB6_6702:                             ;   in Loop: Header=BB6_6037 Depth=3
	v_and_b32_sdwa v1, v61, v20 dst_sel:DWORD dst_unused:UNUSED_PAD src0_sel:DWORD src1_sel:BYTE_1
	v_and_b32_e32 v31, 3, v1
	v_bfe_u32 v87, v1, 2, 5
	v_ffbh_u32_e32 v83, v31
	v_cmp_eq_u32_e32 vcc_lo, 0, v87
	v_min_u32_e32 v83, 32, v83
	v_subrev_nc_u32_e32 v86, 29, v83
	v_sub_nc_u32_e32 v83, 30, v83
	v_lshlrev_b32_e32 v1, v86, v1
	v_lshlrev_b32_sdwa v86, v62, v20 dst_sel:DWORD dst_unused:UNUSED_PAD src0_sel:DWORD src1_sel:BYTE_1
	v_cndmask_b32_e32 v83, v87, v83, vcc_lo
	v_and_b32_e32 v1, 3, v1
	v_lshl_add_u32 v83, v83, 23, 0x37800000
	v_cndmask_b32_e32 v1, v31, v1, vcc_lo
	v_and_b32_e32 v31, 0x80000000, v86
	v_lshlrev_b32_e32 v1, 21, v1
	v_or3_b32 v1, v31, v83, v1
.LBB6_6703:                             ;   in Loop: Header=BB6_6037 Depth=3
	s_or_b32 exec_lo, exec_lo, s19
	v_cmp_gt_i16_sdwa s19, v16, v59 src0_sel:BYTE_1 src1_sel:DWORD
	s_mov_b32 s16, 0
	s_and_saveexec_b32 s22, s19
	s_xor_b32 s19, exec_lo, s22
	s_cbranch_execz .LBB6_7449
; %bb.6704:                             ;   in Loop: Header=BB6_6037 Depth=3
	v_cmp_eq_u16_sdwa s23, v16, v60 src0_sel:BYTE_1 src1_sel:DWORD
	s_mov_b32 s16, -1
	s_and_saveexec_b32 s22, s23
; %bb.6705:                             ;   in Loop: Header=BB6_6037 Depth=3
	s_xor_b32 s16, exec_lo, -1
; %bb.6706:                             ;   in Loop: Header=BB6_6037 Depth=3
	s_or_b32 exec_lo, exec_lo, s22
	s_and_b32 s16, s16, exec_lo
	s_or_saveexec_b32 s19, s19
	v_mov_b32_e32 v31, 0x7f800001
	s_xor_b32 exec_lo, exec_lo, s19
	s_cbranch_execnz .LBB6_7450
.LBB6_6707:                             ;   in Loop: Header=BB6_6037 Depth=3
	s_or_b32 exec_lo, exec_lo, s19
	s_and_saveexec_b32 s19, s16
	s_cbranch_execz .LBB6_6709
.LBB6_6708:                             ;   in Loop: Header=BB6_6037 Depth=3
	v_and_b32_sdwa v31, v61, v16 dst_sel:DWORD dst_unused:UNUSED_PAD src0_sel:DWORD src1_sel:BYTE_1
	v_and_b32_e32 v83, 3, v31
	v_bfe_u32 v98, v31, 2, 5
	v_ffbh_u32_e32 v86, v83
	v_cmp_eq_u32_e32 vcc_lo, 0, v98
	v_min_u32_e32 v86, 32, v86
	v_subrev_nc_u32_e32 v87, 29, v86
	v_sub_nc_u32_e32 v86, 30, v86
	v_lshlrev_b32_e32 v31, v87, v31
	v_lshlrev_b32_sdwa v87, v62, v16 dst_sel:DWORD dst_unused:UNUSED_PAD src0_sel:DWORD src1_sel:BYTE_1
	v_cndmask_b32_e32 v86, v98, v86, vcc_lo
	v_and_b32_e32 v31, 3, v31
	v_lshl_add_u32 v86, v86, 23, 0x37800000
	v_cndmask_b32_e32 v31, v83, v31, vcc_lo
	v_and_b32_e32 v83, 0x80000000, v87
	v_lshlrev_b32_e32 v31, 21, v31
	v_or3_b32 v31, v83, v86, v31
.LBB6_6709:                             ;   in Loop: Header=BB6_6037 Depth=3
	s_or_b32 exec_lo, exec_lo, s19
	v_mul_f32_e32 v1, v1, v31
	v_mov_b32_e32 v83, 0x8000
	s_mov_b32 s19, exec_lo
	v_and_b32_e32 v31, 0x7f800000, v1
	v_cmpx_ne_u32_e32 0x7f800000, v31
	s_cbranch_execz .LBB6_6717
; %bb.6710:                             ;   in Loop: Header=BB6_6037 Depth=3
	v_mov_b32_e32 v83, 0
	s_mov_b32 s22, exec_lo
	v_cmpx_ne_u32_e32 0, v1
	s_cbranch_execz .LBB6_6716
; %bb.6711:                             ;   in Loop: Header=BB6_6037 Depth=3
	v_bfe_u32 v83, v1, 23, 8
	v_and_b32_e32 v31, 0x7fffff, v1
	v_cmp_gt_u32_e64 s16, 0x71, v83
	v_sub_nc_u32_e32 v86, 0x70, v83
	v_cmp_eq_u32_e32 vcc_lo, 0, v83
	v_or_b32_e32 v87, 0x800000, v31
	v_cndmask_b32_e64 v86, 0, v86, s16
	v_cndmask_b32_e32 v31, v87, v31, vcc_lo
	v_cndmask_b32_e64 v86, v86, 0x6f, vcc_lo
	v_lshl_add_u32 v87, 0x200000, v86, -1
	v_lshlrev_b32_e64 v98, v86, 0x100000
	v_and_b32_e32 v87, v87, v31
	v_cmp_eq_u32_e64 s16, v87, v98
	v_lshrrev_b32_e32 v87, v86, v31
	v_add_nc_u32_e32 v31, 0xffffff91, v83
	v_lshrrev_b32_e32 v83, 23, v87
	v_cndmask_b32_e64 v31, v31, 0xffffff92, vcc_lo
	v_xor_b32_e32 v83, 1, v83
	v_add_nc_u32_e32 v31, v86, v31
	v_bfe_u32 v86, v87, 21, 1
	v_add_nc_u32_e32 v86, -1, v86
	v_cndmask_b32_e64 v86, 0, v86, s16
	s_mov_b32 s16, exec_lo
	v_add_nc_u32_e32 v86, v86, v87
	v_and_b32_e32 v86, 0x1fffff, v86
	v_add_nc_u32_e32 v86, v86, v87
                                        ; implicit-def: $vgpr87
	v_cmpx_ne_u32_e64 v31, v83
	s_xor_b32 s16, exec_lo, s16
; %bb.6712:                             ;   in Loop: Header=BB6_6037 Depth=3
	v_cmp_lt_u32_e32 vcc_lo, 0xffffff, v86
	v_sub_nc_u32_e32 v31, v31, v83
	v_cndmask_b32_e64 v83, 0, 1, vcc_lo
	v_add_co_ci_u32_e64 v87, null, 0, v31, vcc_lo
	v_lshrrev_b32_e32 v86, v83, v86
; %bb.6713:                             ;   in Loop: Header=BB6_6037 Depth=3
	s_andn2_saveexec_b32 s16, s16
; %bb.6714:                             ;   in Loop: Header=BB6_6037 Depth=3
	v_bfe_u32 v87, v86, 23, 1
; %bb.6715:                             ;   in Loop: Header=BB6_6037 Depth=3
	s_or_b32 exec_lo, exec_lo, s16
	v_lshrrev_b32_e32 v31, 21, v86
	v_min_i32_e32 v83, 31, v87
	v_cmp_gt_i32_e32 vcc_lo, 32, v87
	v_and_b32_sdwa v1, v1, v60 dst_sel:DWORD dst_unused:UNUSED_PAD src0_sel:BYTE_3 src1_sel:DWORD
	v_lshlrev_b32_e32 v83, 2, v83
	v_cndmask_b32_e32 v31, 3, v31, vcc_lo
	v_and_b32_e32 v83, 0xfc, v83
	v_or_b32_e32 v86, v87, v31
	v_and_b32_e32 v31, 3, v31
	v_cmp_ne_u32_e32 vcc_lo, 0, v86
	v_or3_b32 v1, v1, v83, v31
	v_lshlrev_b32_e32 v1, 8, v1
	v_cndmask_b32_e32 v83, 0, v1, vcc_lo
.LBB6_6716:                             ;   in Loop: Header=BB6_6037 Depth=3
	s_or_b32 exec_lo, exec_lo, s22
.LBB6_6717:                             ;   in Loop: Header=BB6_6037 Depth=3
	s_or_b32 exec_lo, exec_lo, s19
	v_and_b32_sdwa v31, v20, v63 dst_sel:DWORD dst_unused:UNUSED_PAD src0_sel:WORD_1 src1_sel:DWORD
	s_mov_b32 s19, 0
	s_mov_b32 s16, exec_lo
	v_cmpx_lt_i16_e32 0x7f, v31
	s_xor_b32 s16, exec_lo, s16
	s_cbranch_execz .LBB6_7451
; %bb.6718:                             ;   in Loop: Header=BB6_6037 Depth=3
	s_mov_b32 s19, -1
	s_mov_b32 s22, exec_lo
	v_cmpx_eq_u16_e32 0x80, v31
; %bb.6719:                             ;   in Loop: Header=BB6_6037 Depth=3
	s_xor_b32 s19, exec_lo, -1
; %bb.6720:                             ;   in Loop: Header=BB6_6037 Depth=3
	s_or_b32 exec_lo, exec_lo, s22
	s_and_b32 s19, s19, exec_lo
                                        ; implicit-def: $vgpr31
	s_or_saveexec_b32 s16, s16
	v_mov_b32_e32 v1, 0x7f800001
	s_xor_b32 exec_lo, exec_lo, s16
	s_cbranch_execnz .LBB6_7452
.LBB6_6721:                             ;   in Loop: Header=BB6_6037 Depth=3
	s_or_b32 exec_lo, exec_lo, s16
	s_and_saveexec_b32 s16, s19
	s_cbranch_execz .LBB6_6723
.LBB6_6722:                             ;   in Loop: Header=BB6_6037 Depth=3
	v_bfe_u32 v1, v20, 16, 2
	v_bfe_u32 v31, v20, 18, 5
	v_ffbh_u32_e32 v86, v1
	v_cmp_eq_u32_e32 vcc_lo, 0, v31
	v_min_u32_e32 v86, 32, v86
	v_subrev_nc_u32_e32 v87, 29, v86
	v_sub_nc_u32_e32 v86, 30, v86
	v_lshlrev_b32_sdwa v87, v87, v20 dst_sel:DWORD dst_unused:UNUSED_PAD src0_sel:DWORD src1_sel:WORD_1
	v_cndmask_b32_e32 v31, v31, v86, vcc_lo
	v_lshlrev_b32_e32 v86, 8, v20
	v_and_b32_e32 v87, 3, v87
	v_lshl_add_u32 v31, v31, 23, 0x37800000
	v_and_b32_e32 v86, 0x80000000, v86
	v_cndmask_b32_e32 v1, v1, v87, vcc_lo
	v_lshlrev_b32_e32 v1, 21, v1
	v_or3_b32 v1, v86, v31, v1
.LBB6_6723:                             ;   in Loop: Header=BB6_6037 Depth=3
	s_or_b32 exec_lo, exec_lo, s16
	v_and_b32_sdwa v86, v16, v63 dst_sel:DWORD dst_unused:UNUSED_PAD src0_sel:WORD_1 src1_sel:DWORD
	s_mov_b32 s19, 0
	s_mov_b32 s16, exec_lo
	v_cmpx_lt_i16_e32 0x7f, v86
	s_xor_b32 s16, exec_lo, s16
	s_cbranch_execz .LBB6_7453
; %bb.6724:                             ;   in Loop: Header=BB6_6037 Depth=3
	s_mov_b32 s19, -1
	s_mov_b32 s22, exec_lo
	v_cmpx_eq_u16_e32 0x80, v86
; %bb.6725:                             ;   in Loop: Header=BB6_6037 Depth=3
	s_xor_b32 s19, exec_lo, -1
; %bb.6726:                             ;   in Loop: Header=BB6_6037 Depth=3
	s_or_b32 exec_lo, exec_lo, s22
	s_and_b32 s19, s19, exec_lo
                                        ; implicit-def: $vgpr86
	s_or_saveexec_b32 s16, s16
	v_mov_b32_e32 v31, 0x7f800001
	s_xor_b32 exec_lo, exec_lo, s16
	s_cbranch_execnz .LBB6_7454
.LBB6_6727:                             ;   in Loop: Header=BB6_6037 Depth=3
	s_or_b32 exec_lo, exec_lo, s16
	s_and_saveexec_b32 s16, s19
	s_cbranch_execz .LBB6_6729
.LBB6_6728:                             ;   in Loop: Header=BB6_6037 Depth=3
	v_bfe_u32 v31, v16, 16, 2
	v_bfe_u32 v86, v16, 18, 5
	v_ffbh_u32_e32 v87, v31
	v_cmp_eq_u32_e32 vcc_lo, 0, v86
	v_min_u32_e32 v87, 32, v87
	v_subrev_nc_u32_e32 v98, 29, v87
	v_sub_nc_u32_e32 v87, 30, v87
	v_lshlrev_b32_sdwa v98, v98, v16 dst_sel:DWORD dst_unused:UNUSED_PAD src0_sel:DWORD src1_sel:WORD_1
	v_cndmask_b32_e32 v86, v86, v87, vcc_lo
	v_lshlrev_b32_e32 v87, 8, v16
	v_and_b32_e32 v98, 3, v98
	v_lshl_add_u32 v86, v86, 23, 0x37800000
	v_and_b32_e32 v87, 0x80000000, v87
	v_cndmask_b32_e32 v31, v31, v98, vcc_lo
	v_lshlrev_b32_e32 v31, 21, v31
	v_or3_b32 v31, v87, v86, v31
.LBB6_6729:                             ;   in Loop: Header=BB6_6037 Depth=3
	s_or_b32 exec_lo, exec_lo, s16
	v_mul_f32_e32 v1, v1, v31
	v_and_b32_e32 v31, 0x7f800000, v1
	v_cmp_ne_u32_e32 vcc_lo, 0x7f800000, v31
	v_mov_b32_e32 v31, 0x80
	s_and_saveexec_b32 s19, vcc_lo
	s_cbranch_execz .LBB6_6737
; %bb.6730:                             ;   in Loop: Header=BB6_6037 Depth=3
	v_mov_b32_e32 v31, 0
	s_mov_b32 s22, exec_lo
	v_cmpx_ne_u32_e32 0, v1
	s_cbranch_execz .LBB6_6736
; %bb.6731:                             ;   in Loop: Header=BB6_6037 Depth=3
	v_bfe_u32 v86, v1, 23, 8
	v_and_b32_e32 v31, 0x7fffff, v1
	v_cmp_gt_u32_e64 s16, 0x71, v86
	v_sub_nc_u32_e32 v87, 0x70, v86
	v_cmp_eq_u32_e32 vcc_lo, 0, v86
	v_or_b32_e32 v98, 0x800000, v31
	v_cndmask_b32_e64 v87, 0, v87, s16
	v_cndmask_b32_e32 v31, v98, v31, vcc_lo
	v_cndmask_b32_e64 v87, v87, 0x6f, vcc_lo
	v_lshl_add_u32 v98, 0x200000, v87, -1
	v_lshlrev_b32_e64 v99, v87, 0x100000
	v_and_b32_e32 v98, v98, v31
	v_cmp_eq_u32_e64 s16, v98, v99
	v_lshrrev_b32_e32 v98, v87, v31
	v_add_nc_u32_e32 v31, 0xffffff91, v86
	v_lshrrev_b32_e32 v86, 23, v98
	v_cndmask_b32_e64 v31, v31, 0xffffff92, vcc_lo
	v_xor_b32_e32 v86, 1, v86
	v_add_nc_u32_e32 v31, v87, v31
	v_bfe_u32 v87, v98, 21, 1
	v_add_nc_u32_e32 v87, -1, v87
	v_cndmask_b32_e64 v87, 0, v87, s16
	s_mov_b32 s16, exec_lo
	v_add_nc_u32_e32 v87, v87, v98
	v_and_b32_e32 v87, 0x1fffff, v87
	v_add_nc_u32_e32 v87, v87, v98
                                        ; implicit-def: $vgpr98
	v_cmpx_ne_u32_e64 v31, v86
	s_xor_b32 s16, exec_lo, s16
; %bb.6732:                             ;   in Loop: Header=BB6_6037 Depth=3
	v_cmp_lt_u32_e32 vcc_lo, 0xffffff, v87
	v_sub_nc_u32_e32 v31, v31, v86
	v_cndmask_b32_e64 v86, 0, 1, vcc_lo
	v_add_co_ci_u32_e64 v98, null, 0, v31, vcc_lo
	v_lshrrev_b32_e32 v87, v86, v87
; %bb.6733:                             ;   in Loop: Header=BB6_6037 Depth=3
	s_andn2_saveexec_b32 s16, s16
; %bb.6734:                             ;   in Loop: Header=BB6_6037 Depth=3
	v_bfe_u32 v98, v87, 23, 1
; %bb.6735:                             ;   in Loop: Header=BB6_6037 Depth=3
	s_or_b32 exec_lo, exec_lo, s16
	v_lshrrev_b32_e32 v31, 21, v87
	v_min_i32_e32 v86, 31, v98
	v_cmp_gt_i32_e32 vcc_lo, 32, v98
	v_and_b32_sdwa v1, v1, v60 dst_sel:DWORD dst_unused:UNUSED_PAD src0_sel:BYTE_3 src1_sel:DWORD
	v_lshlrev_b32_e32 v86, 2, v86
	v_cndmask_b32_e32 v31, 3, v31, vcc_lo
	v_and_b32_e32 v86, 0xfc, v86
	v_or_b32_e32 v87, v98, v31
	v_and_b32_e32 v31, 3, v31
	v_cmp_ne_u32_e32 vcc_lo, 0, v87
	v_or3_b32 v1, v86, v1, v31
	v_cndmask_b32_e32 v31, 0, v1, vcc_lo
.LBB6_6736:                             ;   in Loop: Header=BB6_6037 Depth=3
	s_or_b32 exec_lo, exec_lo, s22
.LBB6_6737:                             ;   in Loop: Header=BB6_6037 Depth=3
	s_or_b32 exec_lo, exec_lo, s19
	v_cmp_gt_i16_sdwa s19, v20, v59 src0_sel:BYTE_3 src1_sel:DWORD
	s_mov_b32 s16, 0
	s_and_saveexec_b32 s22, s19
	s_xor_b32 s19, exec_lo, s22
	s_cbranch_execz .LBB6_7455
; %bb.6738:                             ;   in Loop: Header=BB6_6037 Depth=3
	v_cmp_eq_u16_sdwa s23, v20, v60 src0_sel:BYTE_3 src1_sel:DWORD
	s_mov_b32 s16, -1
	s_and_saveexec_b32 s22, s23
; %bb.6739:                             ;   in Loop: Header=BB6_6037 Depth=3
	s_xor_b32 s16, exec_lo, -1
; %bb.6740:                             ;   in Loop: Header=BB6_6037 Depth=3
	s_or_b32 exec_lo, exec_lo, s22
	s_and_b32 s16, s16, exec_lo
	s_or_saveexec_b32 s19, s19
	v_mov_b32_e32 v1, 0x7f800001
	s_xor_b32 exec_lo, exec_lo, s19
	s_cbranch_execnz .LBB6_7456
.LBB6_6741:                             ;   in Loop: Header=BB6_6037 Depth=3
	s_or_b32 exec_lo, exec_lo, s19
	s_and_saveexec_b32 s19, s16
	s_cbranch_execz .LBB6_6743
.LBB6_6742:                             ;   in Loop: Header=BB6_6037 Depth=3
	v_bfe_u32 v1, v20, 24, 2
	v_bfe_u32 v98, v20, 26, 5
	v_ffbh_u32_e32 v86, v1
	v_cmp_eq_u32_e32 vcc_lo, 0, v98
	v_min_u32_e32 v86, 32, v86
	v_subrev_nc_u32_e32 v87, 29, v86
	v_sub_nc_u32_e32 v86, 30, v86
	v_lshlrev_b32_sdwa v87, v87, v20 dst_sel:DWORD dst_unused:UNUSED_PAD src0_sel:DWORD src1_sel:BYTE_3
	v_cndmask_b32_e32 v86, v98, v86, vcc_lo
	v_and_b32_e32 v20, 0x80000000, v20
	v_and_b32_e32 v87, 3, v87
	v_lshl_add_u32 v86, v86, 23, 0x37800000
	v_cndmask_b32_e32 v1, v1, v87, vcc_lo
	v_lshlrev_b32_e32 v1, 21, v1
	v_or3_b32 v1, v20, v86, v1
.LBB6_6743:                             ;   in Loop: Header=BB6_6037 Depth=3
	s_or_b32 exec_lo, exec_lo, s19
	v_cmp_gt_i16_sdwa s19, v16, v59 src0_sel:BYTE_3 src1_sel:DWORD
	s_mov_b32 s16, 0
	s_and_saveexec_b32 s22, s19
	s_xor_b32 s19, exec_lo, s22
	s_cbranch_execz .LBB6_7457
; %bb.6744:                             ;   in Loop: Header=BB6_6037 Depth=3
	v_cmp_eq_u16_sdwa s23, v16, v60 src0_sel:BYTE_3 src1_sel:DWORD
	s_mov_b32 s16, -1
	s_and_saveexec_b32 s22, s23
; %bb.6745:                             ;   in Loop: Header=BB6_6037 Depth=3
	s_xor_b32 s16, exec_lo, -1
; %bb.6746:                             ;   in Loop: Header=BB6_6037 Depth=3
	s_or_b32 exec_lo, exec_lo, s22
	s_and_b32 s16, s16, exec_lo
	s_or_saveexec_b32 s19, s19
	v_mov_b32_e32 v20, 0x7f800001
	s_xor_b32 exec_lo, exec_lo, s19
	s_cbranch_execnz .LBB6_7458
.LBB6_6747:                             ;   in Loop: Header=BB6_6037 Depth=3
	s_or_b32 exec_lo, exec_lo, s19
	s_and_saveexec_b32 s19, s16
	s_cbranch_execz .LBB6_6749
.LBB6_6748:                             ;   in Loop: Header=BB6_6037 Depth=3
	v_bfe_u32 v20, v16, 24, 2
	v_bfe_u32 v98, v16, 26, 5
	v_ffbh_u32_e32 v86, v20
	v_cmp_eq_u32_e32 vcc_lo, 0, v98
	v_min_u32_e32 v86, 32, v86
	v_subrev_nc_u32_e32 v87, 29, v86
	v_sub_nc_u32_e32 v86, 30, v86
	v_lshlrev_b32_sdwa v87, v87, v16 dst_sel:DWORD dst_unused:UNUSED_PAD src0_sel:DWORD src1_sel:BYTE_3
	v_cndmask_b32_e32 v86, v98, v86, vcc_lo
	v_and_b32_e32 v16, 0x80000000, v16
	v_and_b32_e32 v87, 3, v87
	v_lshl_add_u32 v86, v86, 23, 0x37800000
	v_cndmask_b32_e32 v20, v20, v87, vcc_lo
	v_lshlrev_b32_e32 v20, 21, v20
	v_or3_b32 v20, v16, v86, v20
.LBB6_6749:                             ;   in Loop: Header=BB6_6037 Depth=3
	s_or_b32 exec_lo, exec_lo, s19
	v_mul_f32_e32 v16, v1, v20
	v_and_b32_e32 v1, 0x7f800000, v16
	v_cmp_ne_u32_e32 vcc_lo, 0x7f800000, v1
	v_mov_b32_e32 v1, 0x8000
	s_and_saveexec_b32 s19, vcc_lo
	s_cbranch_execz .LBB6_6757
; %bb.6750:                             ;   in Loop: Header=BB6_6037 Depth=3
	v_mov_b32_e32 v1, 0
	s_mov_b32 s22, exec_lo
	v_cmpx_ne_u32_e32 0, v16
	s_cbranch_execz .LBB6_6756
; %bb.6751:                             ;   in Loop: Header=BB6_6037 Depth=3
	v_bfe_u32 v20, v16, 23, 8
	v_and_b32_e32 v1, 0x7fffff, v16
	v_cmp_gt_u32_e64 s16, 0x71, v20
	v_sub_nc_u32_e32 v86, 0x70, v20
	v_cmp_eq_u32_e32 vcc_lo, 0, v20
	v_or_b32_e32 v87, 0x800000, v1
	v_cndmask_b32_e64 v86, 0, v86, s16
	v_cndmask_b32_e32 v1, v87, v1, vcc_lo
	v_cndmask_b32_e64 v86, v86, 0x6f, vcc_lo
	v_lshl_add_u32 v87, 0x200000, v86, -1
	v_lshlrev_b32_e64 v98, v86, 0x100000
	v_and_b32_e32 v87, v87, v1
	v_cmp_eq_u32_e64 s16, v87, v98
	v_lshrrev_b32_e32 v87, v86, v1
	v_add_nc_u32_e32 v1, 0xffffff91, v20
	v_lshrrev_b32_e32 v20, 23, v87
	v_cndmask_b32_e64 v1, v1, 0xffffff92, vcc_lo
	v_xor_b32_e32 v20, 1, v20
	v_add_nc_u32_e32 v1, v86, v1
	v_bfe_u32 v86, v87, 21, 1
	v_add_nc_u32_e32 v86, -1, v86
	v_cndmask_b32_e64 v86, 0, v86, s16
	s_mov_b32 s16, exec_lo
	v_add_nc_u32_e32 v86, v86, v87
	v_and_b32_e32 v86, 0x1fffff, v86
	v_add_nc_u32_e32 v86, v86, v87
                                        ; implicit-def: $vgpr87
	v_cmpx_ne_u32_e64 v1, v20
	s_xor_b32 s16, exec_lo, s16
; %bb.6752:                             ;   in Loop: Header=BB6_6037 Depth=3
	v_cmp_lt_u32_e32 vcc_lo, 0xffffff, v86
	v_sub_nc_u32_e32 v1, v1, v20
	v_cndmask_b32_e64 v20, 0, 1, vcc_lo
	v_add_co_ci_u32_e64 v87, null, 0, v1, vcc_lo
	v_lshrrev_b32_e32 v86, v20, v86
; %bb.6753:                             ;   in Loop: Header=BB6_6037 Depth=3
	s_andn2_saveexec_b32 s16, s16
; %bb.6754:                             ;   in Loop: Header=BB6_6037 Depth=3
	v_bfe_u32 v87, v86, 23, 1
; %bb.6755:                             ;   in Loop: Header=BB6_6037 Depth=3
	s_or_b32 exec_lo, exec_lo, s16
	v_and_b32_sdwa v1, v16, v60 dst_sel:DWORD dst_unused:UNUSED_PAD src0_sel:BYTE_3 src1_sel:DWORD
	v_lshrrev_b32_e32 v16, 21, v86
	v_min_i32_e32 v20, 31, v87
	v_cmp_gt_i32_e32 vcc_lo, 32, v87
	v_lshlrev_b32_e32 v20, 2, v20
	v_cndmask_b32_e32 v16, 3, v16, vcc_lo
	v_and_b32_e32 v20, 0xfc, v20
	v_or_b32_e32 v86, v87, v16
	v_and_b32_e32 v16, 3, v16
	v_cmp_ne_u32_e32 vcc_lo, 0, v86
	v_or3_b32 v1, v1, v20, v16
	v_lshlrev_b32_e32 v1, 8, v1
	v_cndmask_b32_e32 v1, 0, v1, vcc_lo
.LBB6_6756:                             ;   in Loop: Header=BB6_6037 Depth=3
	s_or_b32 exec_lo, exec_lo, s22
.LBB6_6757:                             ;   in Loop: Header=BB6_6037 Depth=3
	s_or_b32 exec_lo, exec_lo, s19
	v_cmp_gt_i16_sdwa s16, v21, v59 src0_sel:BYTE_0 src1_sel:DWORD
	s_mov_b32 s19, 0
	s_and_saveexec_b32 s22, s16
	s_xor_b32 s16, exec_lo, s22
	s_cbranch_execz .LBB6_7459
; %bb.6758:                             ;   in Loop: Header=BB6_6037 Depth=3
	v_cmp_eq_u16_sdwa s23, v21, v60 src0_sel:BYTE_0 src1_sel:DWORD
	s_mov_b32 s19, -1
	s_and_saveexec_b32 s22, s23
; %bb.6759:                             ;   in Loop: Header=BB6_6037 Depth=3
	s_xor_b32 s19, exec_lo, -1
; %bb.6760:                             ;   in Loop: Header=BB6_6037 Depth=3
	s_or_b32 exec_lo, exec_lo, s22
	s_and_b32 s19, s19, exec_lo
	s_or_saveexec_b32 s16, s16
	v_mov_b32_e32 v16, 0x7f800001
	s_xor_b32 exec_lo, exec_lo, s16
	s_cbranch_execnz .LBB6_7460
.LBB6_6761:                             ;   in Loop: Header=BB6_6037 Depth=3
	s_or_b32 exec_lo, exec_lo, s16
	s_and_saveexec_b32 s16, s19
	s_cbranch_execz .LBB6_6763
.LBB6_6762:                             ;   in Loop: Header=BB6_6037 Depth=3
	v_and_b32_e32 v16, 3, v21
	v_bfe_u32 v20, v21, 2, 5
	v_ffbh_u32_e32 v86, v16
	v_cmp_eq_u32_e32 vcc_lo, 0, v20
	v_min_u32_e32 v86, 32, v86
	v_subrev_nc_u32_e32 v87, 29, v86
	v_sub_nc_u32_e32 v86, 30, v86
	v_lshlrev_b32_e32 v87, v87, v21
	v_cndmask_b32_e32 v20, v20, v86, vcc_lo
	v_lshlrev_b32_e32 v86, 24, v21
	v_and_b32_e32 v87, 3, v87
	v_lshl_add_u32 v20, v20, 23, 0x37800000
	v_and_b32_e32 v86, 0x80000000, v86
	v_cndmask_b32_e32 v16, v16, v87, vcc_lo
	v_lshlrev_b32_e32 v16, 21, v16
	v_or3_b32 v16, v86, v20, v16
.LBB6_6763:                             ;   in Loop: Header=BB6_6037 Depth=3
	s_or_b32 exec_lo, exec_lo, s16
	v_cmp_gt_i16_sdwa s16, v17, v59 src0_sel:BYTE_0 src1_sel:DWORD
	s_mov_b32 s19, 0
	s_and_saveexec_b32 s22, s16
	s_xor_b32 s16, exec_lo, s22
	s_cbranch_execz .LBB6_7461
; %bb.6764:                             ;   in Loop: Header=BB6_6037 Depth=3
	v_cmp_eq_u16_sdwa s23, v17, v60 src0_sel:BYTE_0 src1_sel:DWORD
	s_mov_b32 s19, -1
	s_and_saveexec_b32 s22, s23
; %bb.6765:                             ;   in Loop: Header=BB6_6037 Depth=3
	s_xor_b32 s19, exec_lo, -1
; %bb.6766:                             ;   in Loop: Header=BB6_6037 Depth=3
	s_or_b32 exec_lo, exec_lo, s22
	s_and_b32 s19, s19, exec_lo
	s_or_saveexec_b32 s16, s16
	v_mov_b32_e32 v20, 0x7f800001
	s_xor_b32 exec_lo, exec_lo, s16
	s_cbranch_execnz .LBB6_7462
.LBB6_6767:                             ;   in Loop: Header=BB6_6037 Depth=3
	s_or_b32 exec_lo, exec_lo, s16
	s_and_saveexec_b32 s16, s19
	s_cbranch_execz .LBB6_6769
.LBB6_6768:                             ;   in Loop: Header=BB6_6037 Depth=3
	v_and_b32_e32 v20, 3, v17
	v_bfe_u32 v86, v17, 2, 5
	v_ffbh_u32_e32 v87, v20
	v_cmp_eq_u32_e32 vcc_lo, 0, v86
	v_min_u32_e32 v87, 32, v87
	v_subrev_nc_u32_e32 v98, 29, v87
	v_sub_nc_u32_e32 v87, 30, v87
	v_lshlrev_b32_e32 v98, v98, v17
	v_cndmask_b32_e32 v86, v86, v87, vcc_lo
	v_lshlrev_b32_e32 v87, 24, v17
	v_and_b32_e32 v98, 3, v98
	v_lshl_add_u32 v86, v86, 23, 0x37800000
	v_and_b32_e32 v87, 0x80000000, v87
	v_cndmask_b32_e32 v20, v20, v98, vcc_lo
	v_lshlrev_b32_e32 v20, 21, v20
	v_or3_b32 v20, v87, v86, v20
.LBB6_6769:                             ;   in Loop: Header=BB6_6037 Depth=3
	s_or_b32 exec_lo, exec_lo, s16
	v_mul_f32_e32 v20, v16, v20
	v_and_b32_e32 v16, 0x7f800000, v20
	v_cmp_ne_u32_e32 vcc_lo, 0x7f800000, v16
	v_mov_b32_e32 v16, 0x80
	s_and_saveexec_b32 s19, vcc_lo
	s_cbranch_execz .LBB6_6777
; %bb.6770:                             ;   in Loop: Header=BB6_6037 Depth=3
	v_mov_b32_e32 v16, 0
	s_mov_b32 s22, exec_lo
	v_cmpx_ne_u32_e32 0, v20
	s_cbranch_execz .LBB6_6776
; %bb.6771:                             ;   in Loop: Header=BB6_6037 Depth=3
	v_bfe_u32 v86, v20, 23, 8
	v_and_b32_e32 v16, 0x7fffff, v20
	v_cmp_gt_u32_e64 s16, 0x71, v86
	v_sub_nc_u32_e32 v87, 0x70, v86
	v_cmp_eq_u32_e32 vcc_lo, 0, v86
	v_or_b32_e32 v98, 0x800000, v16
	v_cndmask_b32_e64 v87, 0, v87, s16
	v_cndmask_b32_e32 v16, v98, v16, vcc_lo
	v_cndmask_b32_e64 v87, v87, 0x6f, vcc_lo
	v_lshl_add_u32 v98, 0x200000, v87, -1
	v_lshlrev_b32_e64 v99, v87, 0x100000
	v_and_b32_e32 v98, v98, v16
	v_cmp_eq_u32_e64 s16, v98, v99
	v_lshrrev_b32_e32 v98, v87, v16
	v_add_nc_u32_e32 v16, 0xffffff91, v86
	v_lshrrev_b32_e32 v86, 23, v98
	v_cndmask_b32_e64 v16, v16, 0xffffff92, vcc_lo
	v_xor_b32_e32 v86, 1, v86
	v_add_nc_u32_e32 v16, v87, v16
	v_bfe_u32 v87, v98, 21, 1
	v_add_nc_u32_e32 v87, -1, v87
	v_cndmask_b32_e64 v87, 0, v87, s16
	s_mov_b32 s16, exec_lo
	v_add_nc_u32_e32 v87, v87, v98
	v_and_b32_e32 v87, 0x1fffff, v87
	v_add_nc_u32_e32 v87, v87, v98
                                        ; implicit-def: $vgpr98
	v_cmpx_ne_u32_e64 v16, v86
	s_xor_b32 s16, exec_lo, s16
; %bb.6772:                             ;   in Loop: Header=BB6_6037 Depth=3
	v_cmp_lt_u32_e32 vcc_lo, 0xffffff, v87
	v_sub_nc_u32_e32 v16, v16, v86
	v_cndmask_b32_e64 v86, 0, 1, vcc_lo
	v_add_co_ci_u32_e64 v98, null, 0, v16, vcc_lo
	v_lshrrev_b32_e32 v87, v86, v87
; %bb.6773:                             ;   in Loop: Header=BB6_6037 Depth=3
	s_andn2_saveexec_b32 s16, s16
; %bb.6774:                             ;   in Loop: Header=BB6_6037 Depth=3
	v_bfe_u32 v98, v87, 23, 1
; %bb.6775:                             ;   in Loop: Header=BB6_6037 Depth=3
	s_or_b32 exec_lo, exec_lo, s16
	v_and_b32_sdwa v16, v20, v60 dst_sel:DWORD dst_unused:UNUSED_PAD src0_sel:BYTE_3 src1_sel:DWORD
	v_lshrrev_b32_e32 v20, 21, v87
	v_min_i32_e32 v86, 31, v98
	v_cmp_gt_i32_e32 vcc_lo, 32, v98
	v_lshlrev_b32_e32 v86, 2, v86
	v_cndmask_b32_e32 v20, 3, v20, vcc_lo
	v_and_b32_e32 v86, 0xfc, v86
	v_or_b32_e32 v87, v98, v20
	v_and_b32_e32 v20, 3, v20
	v_cmp_ne_u32_e32 vcc_lo, 0, v87
	v_or3_b32 v16, v86, v16, v20
	v_cndmask_b32_e32 v16, 0, v16, vcc_lo
.LBB6_6776:                             ;   in Loop: Header=BB6_6037 Depth=3
	s_or_b32 exec_lo, exec_lo, s22
.LBB6_6777:                             ;   in Loop: Header=BB6_6037 Depth=3
	s_or_b32 exec_lo, exec_lo, s19
	v_cmp_gt_i16_sdwa s19, v21, v59 src0_sel:BYTE_1 src1_sel:DWORD
	s_mov_b32 s16, 0
	s_and_saveexec_b32 s22, s19
	s_xor_b32 s19, exec_lo, s22
	s_cbranch_execz .LBB6_7463
; %bb.6778:                             ;   in Loop: Header=BB6_6037 Depth=3
	v_cmp_eq_u16_sdwa s23, v21, v60 src0_sel:BYTE_1 src1_sel:DWORD
	s_mov_b32 s16, -1
	s_and_saveexec_b32 s22, s23
; %bb.6779:                             ;   in Loop: Header=BB6_6037 Depth=3
	s_xor_b32 s16, exec_lo, -1
; %bb.6780:                             ;   in Loop: Header=BB6_6037 Depth=3
	s_or_b32 exec_lo, exec_lo, s22
	s_and_b32 s16, s16, exec_lo
	s_or_saveexec_b32 s19, s19
	v_mov_b32_e32 v20, 0x7f800001
	s_xor_b32 exec_lo, exec_lo, s19
	s_cbranch_execnz .LBB6_7464
.LBB6_6781:                             ;   in Loop: Header=BB6_6037 Depth=3
	s_or_b32 exec_lo, exec_lo, s19
	s_and_saveexec_b32 s19, s16
	s_cbranch_execz .LBB6_6783
.LBB6_6782:                             ;   in Loop: Header=BB6_6037 Depth=3
	v_and_b32_sdwa v20, v61, v21 dst_sel:DWORD dst_unused:UNUSED_PAD src0_sel:DWORD src1_sel:BYTE_1
	v_and_b32_e32 v86, 3, v20
	v_bfe_u32 v99, v20, 2, 5
	v_ffbh_u32_e32 v87, v86
	v_cmp_eq_u32_e32 vcc_lo, 0, v99
	v_min_u32_e32 v87, 32, v87
	v_subrev_nc_u32_e32 v98, 29, v87
	v_sub_nc_u32_e32 v87, 30, v87
	v_lshlrev_b32_e32 v20, v98, v20
	v_lshlrev_b32_sdwa v98, v62, v21 dst_sel:DWORD dst_unused:UNUSED_PAD src0_sel:DWORD src1_sel:BYTE_1
	v_cndmask_b32_e32 v87, v99, v87, vcc_lo
	v_and_b32_e32 v20, 3, v20
	v_lshl_add_u32 v87, v87, 23, 0x37800000
	v_cndmask_b32_e32 v20, v86, v20, vcc_lo
	v_and_b32_e32 v86, 0x80000000, v98
	v_lshlrev_b32_e32 v20, 21, v20
	v_or3_b32 v20, v86, v87, v20
.LBB6_6783:                             ;   in Loop: Header=BB6_6037 Depth=3
	s_or_b32 exec_lo, exec_lo, s19
	v_cmp_gt_i16_sdwa s19, v17, v59 src0_sel:BYTE_1 src1_sel:DWORD
	s_mov_b32 s16, 0
	s_and_saveexec_b32 s22, s19
	s_xor_b32 s19, exec_lo, s22
	s_cbranch_execz .LBB6_7465
; %bb.6784:                             ;   in Loop: Header=BB6_6037 Depth=3
	v_cmp_eq_u16_sdwa s23, v17, v60 src0_sel:BYTE_1 src1_sel:DWORD
	s_mov_b32 s16, -1
	s_and_saveexec_b32 s22, s23
; %bb.6785:                             ;   in Loop: Header=BB6_6037 Depth=3
	s_xor_b32 s16, exec_lo, -1
; %bb.6786:                             ;   in Loop: Header=BB6_6037 Depth=3
	s_or_b32 exec_lo, exec_lo, s22
	s_and_b32 s16, s16, exec_lo
	s_or_saveexec_b32 s19, s19
	v_mov_b32_e32 v86, 0x7f800001
	s_xor_b32 exec_lo, exec_lo, s19
	s_cbranch_execnz .LBB6_7466
.LBB6_6787:                             ;   in Loop: Header=BB6_6037 Depth=3
	s_or_b32 exec_lo, exec_lo, s19
	s_and_saveexec_b32 s19, s16
	s_cbranch_execz .LBB6_6789
.LBB6_6788:                             ;   in Loop: Header=BB6_6037 Depth=3
	v_and_b32_sdwa v86, v61, v17 dst_sel:DWORD dst_unused:UNUSED_PAD src0_sel:DWORD src1_sel:BYTE_1
	v_and_b32_e32 v87, 3, v86
	v_bfe_u32 v112, v86, 2, 5
	v_ffbh_u32_e32 v98, v87
	v_cmp_eq_u32_e32 vcc_lo, 0, v112
	v_min_u32_e32 v98, 32, v98
	v_subrev_nc_u32_e32 v99, 29, v98
	v_sub_nc_u32_e32 v98, 30, v98
	v_lshlrev_b32_e32 v86, v99, v86
	v_lshlrev_b32_sdwa v99, v62, v17 dst_sel:DWORD dst_unused:UNUSED_PAD src0_sel:DWORD src1_sel:BYTE_1
	v_cndmask_b32_e32 v98, v112, v98, vcc_lo
	v_and_b32_e32 v86, 3, v86
	v_lshl_add_u32 v98, v98, 23, 0x37800000
	v_cndmask_b32_e32 v86, v87, v86, vcc_lo
	v_and_b32_e32 v87, 0x80000000, v99
	v_lshlrev_b32_e32 v86, 21, v86
	v_or3_b32 v86, v87, v98, v86
.LBB6_6789:                             ;   in Loop: Header=BB6_6037 Depth=3
	s_or_b32 exec_lo, exec_lo, s19
	v_mul_f32_e32 v98, v20, v86
	v_and_b32_e32 v20, 0x7f800000, v98
	v_cmp_ne_u32_e32 vcc_lo, 0x7f800000, v20
	v_mov_b32_e32 v20, 0x8000
	s_and_saveexec_b32 s19, vcc_lo
	s_cbranch_execz .LBB6_6797
; %bb.6790:                             ;   in Loop: Header=BB6_6037 Depth=3
	v_mov_b32_e32 v20, 0
	s_mov_b32 s22, exec_lo
	v_cmpx_ne_u32_e32 0, v98
	s_cbranch_execz .LBB6_6796
; %bb.6791:                             ;   in Loop: Header=BB6_6037 Depth=3
	v_bfe_u32 v86, v98, 23, 8
	v_and_b32_e32 v20, 0x7fffff, v98
	v_cmp_gt_u32_e64 s16, 0x71, v86
	v_sub_nc_u32_e32 v87, 0x70, v86
	v_cmp_eq_u32_e32 vcc_lo, 0, v86
	v_or_b32_e32 v99, 0x800000, v20
	v_cndmask_b32_e64 v87, 0, v87, s16
	v_cndmask_b32_e32 v20, v99, v20, vcc_lo
	v_cndmask_b32_e64 v87, v87, 0x6f, vcc_lo
	v_lshl_add_u32 v99, 0x200000, v87, -1
	v_lshlrev_b32_e64 v112, v87, 0x100000
	v_and_b32_e32 v99, v99, v20
	v_cmp_eq_u32_e64 s16, v99, v112
	v_lshrrev_b32_e32 v99, v87, v20
	v_add_nc_u32_e32 v20, 0xffffff91, v86
	v_lshrrev_b32_e32 v86, 23, v99
	v_cndmask_b32_e64 v20, v20, 0xffffff92, vcc_lo
	v_xor_b32_e32 v86, 1, v86
	v_add_nc_u32_e32 v20, v87, v20
	v_bfe_u32 v87, v99, 21, 1
	v_add_nc_u32_e32 v87, -1, v87
	v_cndmask_b32_e64 v87, 0, v87, s16
	s_mov_b32 s16, exec_lo
	v_add_nc_u32_e32 v87, v87, v99
	v_and_b32_e32 v87, 0x1fffff, v87
	v_add_nc_u32_e32 v87, v87, v99
                                        ; implicit-def: $vgpr99
	v_cmpx_ne_u32_e64 v20, v86
	s_xor_b32 s16, exec_lo, s16
; %bb.6792:                             ;   in Loop: Header=BB6_6037 Depth=3
	v_cmp_lt_u32_e32 vcc_lo, 0xffffff, v87
	v_sub_nc_u32_e32 v20, v20, v86
	v_cndmask_b32_e64 v86, 0, 1, vcc_lo
	v_add_co_ci_u32_e64 v99, null, 0, v20, vcc_lo
	v_lshrrev_b32_e32 v87, v86, v87
; %bb.6793:                             ;   in Loop: Header=BB6_6037 Depth=3
	s_andn2_saveexec_b32 s16, s16
; %bb.6794:                             ;   in Loop: Header=BB6_6037 Depth=3
	v_bfe_u32 v99, v87, 23, 1
; %bb.6795:                             ;   in Loop: Header=BB6_6037 Depth=3
	s_or_b32 exec_lo, exec_lo, s16
	v_lshrrev_b32_e32 v86, 21, v87
	v_min_i32_e32 v87, 31, v99
	v_cmp_gt_i32_e32 vcc_lo, 32, v99
	v_and_b32_sdwa v20, v98, v60 dst_sel:DWORD dst_unused:UNUSED_PAD src0_sel:BYTE_3 src1_sel:DWORD
	v_lshlrev_b32_e32 v87, 2, v87
	v_cndmask_b32_e32 v86, 3, v86, vcc_lo
	v_and_b32_e32 v87, 0xfc, v87
	v_or_b32_e32 v98, v99, v86
	v_and_b32_e32 v86, 3, v86
	v_cmp_ne_u32_e32 vcc_lo, 0, v98
	v_or3_b32 v20, v20, v87, v86
	v_lshlrev_b32_e32 v20, 8, v20
	v_cndmask_b32_e32 v20, 0, v20, vcc_lo
.LBB6_6796:                             ;   in Loop: Header=BB6_6037 Depth=3
	s_or_b32 exec_lo, exec_lo, s22
.LBB6_6797:                             ;   in Loop: Header=BB6_6037 Depth=3
	s_or_b32 exec_lo, exec_lo, s19
	v_and_b32_sdwa v87, v21, v63 dst_sel:DWORD dst_unused:UNUSED_PAD src0_sel:WORD_1 src1_sel:DWORD
	s_mov_b32 s19, 0
	s_mov_b32 s16, exec_lo
	v_cmpx_lt_i16_e32 0x7f, v87
	s_xor_b32 s16, exec_lo, s16
	s_cbranch_execz .LBB6_7467
; %bb.6798:                             ;   in Loop: Header=BB6_6037 Depth=3
	s_mov_b32 s19, -1
	s_mov_b32 s22, exec_lo
	v_cmpx_eq_u16_e32 0x80, v87
; %bb.6799:                             ;   in Loop: Header=BB6_6037 Depth=3
	s_xor_b32 s19, exec_lo, -1
; %bb.6800:                             ;   in Loop: Header=BB6_6037 Depth=3
	s_or_b32 exec_lo, exec_lo, s22
	s_and_b32 s19, s19, exec_lo
                                        ; implicit-def: $vgpr87
	s_or_saveexec_b32 s16, s16
	v_mov_b32_e32 v86, 0x7f800001
	s_xor_b32 exec_lo, exec_lo, s16
	s_cbranch_execnz .LBB6_7468
.LBB6_6801:                             ;   in Loop: Header=BB6_6037 Depth=3
	s_or_b32 exec_lo, exec_lo, s16
	s_and_saveexec_b32 s16, s19
	s_cbranch_execz .LBB6_6803
.LBB6_6802:                             ;   in Loop: Header=BB6_6037 Depth=3
	v_bfe_u32 v86, v21, 16, 2
	v_bfe_u32 v87, v21, 18, 5
	v_ffbh_u32_e32 v98, v86
	v_cmp_eq_u32_e32 vcc_lo, 0, v87
	v_min_u32_e32 v98, 32, v98
	v_subrev_nc_u32_e32 v99, 29, v98
	v_sub_nc_u32_e32 v98, 30, v98
	v_lshlrev_b32_sdwa v99, v99, v21 dst_sel:DWORD dst_unused:UNUSED_PAD src0_sel:DWORD src1_sel:WORD_1
	v_cndmask_b32_e32 v87, v87, v98, vcc_lo
	v_lshlrev_b32_e32 v98, 8, v21
	v_and_b32_e32 v99, 3, v99
	v_lshl_add_u32 v87, v87, 23, 0x37800000
	v_and_b32_e32 v98, 0x80000000, v98
	v_cndmask_b32_e32 v86, v86, v99, vcc_lo
	v_lshlrev_b32_e32 v86, 21, v86
	v_or3_b32 v86, v98, v87, v86
.LBB6_6803:                             ;   in Loop: Header=BB6_6037 Depth=3
	s_or_b32 exec_lo, exec_lo, s16
	v_and_b32_sdwa v98, v17, v63 dst_sel:DWORD dst_unused:UNUSED_PAD src0_sel:WORD_1 src1_sel:DWORD
	s_mov_b32 s19, 0
	s_mov_b32 s16, exec_lo
	v_cmpx_lt_i16_e32 0x7f, v98
	s_xor_b32 s16, exec_lo, s16
	s_cbranch_execz .LBB6_7469
; %bb.6804:                             ;   in Loop: Header=BB6_6037 Depth=3
	s_mov_b32 s19, -1
	s_mov_b32 s22, exec_lo
	v_cmpx_eq_u16_e32 0x80, v98
; %bb.6805:                             ;   in Loop: Header=BB6_6037 Depth=3
	s_xor_b32 s19, exec_lo, -1
; %bb.6806:                             ;   in Loop: Header=BB6_6037 Depth=3
	s_or_b32 exec_lo, exec_lo, s22
	s_and_b32 s19, s19, exec_lo
                                        ; implicit-def: $vgpr98
	s_or_saveexec_b32 s16, s16
	v_mov_b32_e32 v87, 0x7f800001
	s_xor_b32 exec_lo, exec_lo, s16
	s_cbranch_execnz .LBB6_7470
.LBB6_6807:                             ;   in Loop: Header=BB6_6037 Depth=3
	s_or_b32 exec_lo, exec_lo, s16
	s_and_saveexec_b32 s16, s19
	s_cbranch_execz .LBB6_6809
.LBB6_6808:                             ;   in Loop: Header=BB6_6037 Depth=3
	v_bfe_u32 v87, v17, 16, 2
	v_bfe_u32 v98, v17, 18, 5
	v_ffbh_u32_e32 v99, v87
	v_cmp_eq_u32_e32 vcc_lo, 0, v98
	v_min_u32_e32 v99, 32, v99
	v_subrev_nc_u32_e32 v112, 29, v99
	v_sub_nc_u32_e32 v99, 30, v99
	v_lshlrev_b32_sdwa v112, v112, v17 dst_sel:DWORD dst_unused:UNUSED_PAD src0_sel:DWORD src1_sel:WORD_1
	v_cndmask_b32_e32 v98, v98, v99, vcc_lo
	v_lshlrev_b32_e32 v99, 8, v17
	v_and_b32_e32 v112, 3, v112
	v_lshl_add_u32 v98, v98, 23, 0x37800000
	v_and_b32_e32 v99, 0x80000000, v99
	v_cndmask_b32_e32 v87, v87, v112, vcc_lo
	v_lshlrev_b32_e32 v87, 21, v87
	v_or3_b32 v87, v99, v98, v87
.LBB6_6809:                             ;   in Loop: Header=BB6_6037 Depth=3
	s_or_b32 exec_lo, exec_lo, s16
	v_mul_f32_e32 v98, v86, v87
	v_mov_b32_e32 v124, 0x80
	s_mov_b32 s19, exec_lo
	v_and_b32_e32 v86, 0x7f800000, v98
	v_cmpx_ne_u32_e32 0x7f800000, v86
	s_cbranch_execz .LBB6_6817
; %bb.6810:                             ;   in Loop: Header=BB6_6037 Depth=3
	v_mov_b32_e32 v124, 0
	s_mov_b32 s22, exec_lo
	v_cmpx_ne_u32_e32 0, v98
	s_cbranch_execz .LBB6_6816
; %bb.6811:                             ;   in Loop: Header=BB6_6037 Depth=3
	v_bfe_u32 v87, v98, 23, 8
	v_and_b32_e32 v86, 0x7fffff, v98
	v_cmp_gt_u32_e64 s16, 0x71, v87
	v_sub_nc_u32_e32 v99, 0x70, v87
	v_cmp_eq_u32_e32 vcc_lo, 0, v87
	v_or_b32_e32 v112, 0x800000, v86
	v_cndmask_b32_e64 v99, 0, v99, s16
	v_cndmask_b32_e32 v86, v112, v86, vcc_lo
	v_cndmask_b32_e64 v99, v99, 0x6f, vcc_lo
	v_lshl_add_u32 v112, 0x200000, v99, -1
	v_lshlrev_b32_e64 v113, v99, 0x100000
	v_and_b32_e32 v112, v112, v86
	v_cmp_eq_u32_e64 s16, v112, v113
	v_lshrrev_b32_e32 v112, v99, v86
	v_add_nc_u32_e32 v86, 0xffffff91, v87
	v_lshrrev_b32_e32 v87, 23, v112
	v_cndmask_b32_e64 v86, v86, 0xffffff92, vcc_lo
	v_xor_b32_e32 v87, 1, v87
	v_add_nc_u32_e32 v86, v99, v86
	v_bfe_u32 v99, v112, 21, 1
	v_add_nc_u32_e32 v99, -1, v99
	v_cndmask_b32_e64 v99, 0, v99, s16
	s_mov_b32 s16, exec_lo
	v_add_nc_u32_e32 v99, v99, v112
	v_and_b32_e32 v99, 0x1fffff, v99
	v_add_nc_u32_e32 v99, v99, v112
                                        ; implicit-def: $vgpr112
	v_cmpx_ne_u32_e64 v86, v87
	s_xor_b32 s16, exec_lo, s16
; %bb.6812:                             ;   in Loop: Header=BB6_6037 Depth=3
	v_cmp_lt_u32_e32 vcc_lo, 0xffffff, v99
	v_sub_nc_u32_e32 v86, v86, v87
	v_cndmask_b32_e64 v87, 0, 1, vcc_lo
	v_add_co_ci_u32_e64 v112, null, 0, v86, vcc_lo
	v_lshrrev_b32_e32 v99, v87, v99
; %bb.6813:                             ;   in Loop: Header=BB6_6037 Depth=3
	s_andn2_saveexec_b32 s16, s16
; %bb.6814:                             ;   in Loop: Header=BB6_6037 Depth=3
	v_bfe_u32 v112, v99, 23, 1
; %bb.6815:                             ;   in Loop: Header=BB6_6037 Depth=3
	s_or_b32 exec_lo, exec_lo, s16
	v_and_b32_sdwa v86, v98, v60 dst_sel:DWORD dst_unused:UNUSED_PAD src0_sel:BYTE_3 src1_sel:DWORD
	v_lshrrev_b32_e32 v87, 21, v99
	v_min_i32_e32 v98, 31, v112
	v_cmp_gt_i32_e32 vcc_lo, 32, v112
	v_lshlrev_b32_e32 v98, 2, v98
	v_cndmask_b32_e32 v87, 3, v87, vcc_lo
	v_and_b32_e32 v98, 0xfc, v98
	v_or_b32_e32 v99, v112, v87
	v_and_b32_e32 v87, 3, v87
	v_cmp_ne_u32_e32 vcc_lo, 0, v99
	v_or3_b32 v86, v98, v86, v87
	v_cndmask_b32_e32 v124, 0, v86, vcc_lo
.LBB6_6816:                             ;   in Loop: Header=BB6_6037 Depth=3
	s_or_b32 exec_lo, exec_lo, s22
.LBB6_6817:                             ;   in Loop: Header=BB6_6037 Depth=3
	s_or_b32 exec_lo, exec_lo, s19
	v_cmp_gt_i16_sdwa s19, v21, v59 src0_sel:BYTE_3 src1_sel:DWORD
	s_mov_b32 s16, 0
	s_and_saveexec_b32 s22, s19
	s_xor_b32 s19, exec_lo, s22
	s_cbranch_execz .LBB6_7471
; %bb.6818:                             ;   in Loop: Header=BB6_6037 Depth=3
	v_cmp_eq_u16_sdwa s23, v21, v60 src0_sel:BYTE_3 src1_sel:DWORD
	s_mov_b32 s16, -1
	s_and_saveexec_b32 s22, s23
; %bb.6819:                             ;   in Loop: Header=BB6_6037 Depth=3
	s_xor_b32 s16, exec_lo, -1
; %bb.6820:                             ;   in Loop: Header=BB6_6037 Depth=3
	s_or_b32 exec_lo, exec_lo, s22
	s_and_b32 s16, s16, exec_lo
	s_or_saveexec_b32 s19, s19
	v_mov_b32_e32 v86, 0x7f800001
	s_xor_b32 exec_lo, exec_lo, s19
	s_cbranch_execnz .LBB6_7472
.LBB6_6821:                             ;   in Loop: Header=BB6_6037 Depth=3
	s_or_b32 exec_lo, exec_lo, s19
	s_and_saveexec_b32 s19, s16
	s_cbranch_execz .LBB6_6823
.LBB6_6822:                             ;   in Loop: Header=BB6_6037 Depth=3
	v_bfe_u32 v86, v21, 24, 2
	v_bfe_u32 v99, v21, 26, 5
	v_ffbh_u32_e32 v87, v86
	v_cmp_eq_u32_e32 vcc_lo, 0, v99
	v_min_u32_e32 v87, 32, v87
	v_subrev_nc_u32_e32 v98, 29, v87
	v_sub_nc_u32_e32 v87, 30, v87
	v_lshlrev_b32_sdwa v98, v98, v21 dst_sel:DWORD dst_unused:UNUSED_PAD src0_sel:DWORD src1_sel:BYTE_3
	v_cndmask_b32_e32 v87, v99, v87, vcc_lo
	v_and_b32_e32 v21, 0x80000000, v21
	v_and_b32_e32 v98, 3, v98
	v_lshl_add_u32 v87, v87, 23, 0x37800000
	v_cndmask_b32_e32 v86, v86, v98, vcc_lo
	v_lshlrev_b32_e32 v86, 21, v86
	v_or3_b32 v86, v21, v87, v86
.LBB6_6823:                             ;   in Loop: Header=BB6_6037 Depth=3
	s_or_b32 exec_lo, exec_lo, s19
	v_cmp_gt_i16_sdwa s19, v17, v59 src0_sel:BYTE_3 src1_sel:DWORD
	s_mov_b32 s16, 0
	s_and_saveexec_b32 s22, s19
	s_xor_b32 s19, exec_lo, s22
	s_cbranch_execz .LBB6_7473
; %bb.6824:                             ;   in Loop: Header=BB6_6037 Depth=3
	v_cmp_eq_u16_sdwa s23, v17, v60 src0_sel:BYTE_3 src1_sel:DWORD
	s_mov_b32 s16, -1
	s_and_saveexec_b32 s22, s23
; %bb.6825:                             ;   in Loop: Header=BB6_6037 Depth=3
	s_xor_b32 s16, exec_lo, -1
; %bb.6826:                             ;   in Loop: Header=BB6_6037 Depth=3
	s_or_b32 exec_lo, exec_lo, s22
	s_and_b32 s16, s16, exec_lo
	s_or_saveexec_b32 s19, s19
	v_mov_b32_e32 v21, 0x7f800001
	s_xor_b32 exec_lo, exec_lo, s19
	s_cbranch_execnz .LBB6_7474
.LBB6_6827:                             ;   in Loop: Header=BB6_6037 Depth=3
	s_or_b32 exec_lo, exec_lo, s19
	s_and_saveexec_b32 s19, s16
	s_cbranch_execz .LBB6_6829
.LBB6_6828:                             ;   in Loop: Header=BB6_6037 Depth=3
	v_bfe_u32 v21, v17, 24, 2
	v_bfe_u32 v99, v17, 26, 5
	v_ffbh_u32_e32 v87, v21
	v_cmp_eq_u32_e32 vcc_lo, 0, v99
	v_min_u32_e32 v87, 32, v87
	v_subrev_nc_u32_e32 v98, 29, v87
	v_sub_nc_u32_e32 v87, 30, v87
	v_lshlrev_b32_sdwa v98, v98, v17 dst_sel:DWORD dst_unused:UNUSED_PAD src0_sel:DWORD src1_sel:BYTE_3
	v_cndmask_b32_e32 v87, v99, v87, vcc_lo
	v_and_b32_e32 v17, 0x80000000, v17
	v_and_b32_e32 v98, 3, v98
	v_lshl_add_u32 v87, v87, 23, 0x37800000
	v_cndmask_b32_e32 v21, v21, v98, vcc_lo
	v_lshlrev_b32_e32 v21, 21, v21
	v_or3_b32 v21, v17, v87, v21
.LBB6_6829:                             ;   in Loop: Header=BB6_6037 Depth=3
	s_or_b32 exec_lo, exec_lo, s19
	v_mul_f32_e32 v21, v86, v21
	v_and_b32_e32 v17, 0x7f800000, v21
	v_cmp_ne_u32_e32 vcc_lo, 0x7f800000, v17
	v_mov_b32_e32 v17, 0x8000
	s_and_saveexec_b32 s19, vcc_lo
	s_cbranch_execz .LBB6_6837
; %bb.6830:                             ;   in Loop: Header=BB6_6037 Depth=3
	v_mov_b32_e32 v17, 0
	s_mov_b32 s22, exec_lo
	v_cmpx_ne_u32_e32 0, v21
	s_cbranch_execz .LBB6_6836
; %bb.6831:                             ;   in Loop: Header=BB6_6037 Depth=3
	v_bfe_u32 v86, v21, 23, 8
	v_and_b32_e32 v17, 0x7fffff, v21
	v_cmp_gt_u32_e64 s16, 0x71, v86
	v_sub_nc_u32_e32 v87, 0x70, v86
	v_cmp_eq_u32_e32 vcc_lo, 0, v86
	v_or_b32_e32 v98, 0x800000, v17
	v_cndmask_b32_e64 v87, 0, v87, s16
	v_cndmask_b32_e32 v17, v98, v17, vcc_lo
	v_cndmask_b32_e64 v87, v87, 0x6f, vcc_lo
	v_lshl_add_u32 v98, 0x200000, v87, -1
	v_lshlrev_b32_e64 v99, v87, 0x100000
	v_and_b32_e32 v98, v98, v17
	v_cmp_eq_u32_e64 s16, v98, v99
	v_lshrrev_b32_e32 v98, v87, v17
	v_add_nc_u32_e32 v17, 0xffffff91, v86
	v_lshrrev_b32_e32 v86, 23, v98
	v_cndmask_b32_e64 v17, v17, 0xffffff92, vcc_lo
	v_xor_b32_e32 v86, 1, v86
	v_add_nc_u32_e32 v17, v87, v17
	v_bfe_u32 v87, v98, 21, 1
	v_add_nc_u32_e32 v87, -1, v87
	v_cndmask_b32_e64 v87, 0, v87, s16
	s_mov_b32 s16, exec_lo
	v_add_nc_u32_e32 v87, v87, v98
	v_and_b32_e32 v87, 0x1fffff, v87
	v_add_nc_u32_e32 v87, v87, v98
                                        ; implicit-def: $vgpr98
	v_cmpx_ne_u32_e64 v17, v86
	s_xor_b32 s16, exec_lo, s16
; %bb.6832:                             ;   in Loop: Header=BB6_6037 Depth=3
	v_cmp_lt_u32_e32 vcc_lo, 0xffffff, v87
	v_sub_nc_u32_e32 v17, v17, v86
	v_cndmask_b32_e64 v86, 0, 1, vcc_lo
	v_add_co_ci_u32_e64 v98, null, 0, v17, vcc_lo
	v_lshrrev_b32_e32 v87, v86, v87
; %bb.6833:                             ;   in Loop: Header=BB6_6037 Depth=3
	s_andn2_saveexec_b32 s16, s16
; %bb.6834:                             ;   in Loop: Header=BB6_6037 Depth=3
	v_bfe_u32 v98, v87, 23, 1
; %bb.6835:                             ;   in Loop: Header=BB6_6037 Depth=3
	s_or_b32 exec_lo, exec_lo, s16
	v_and_b32_sdwa v17, v21, v60 dst_sel:DWORD dst_unused:UNUSED_PAD src0_sel:BYTE_3 src1_sel:DWORD
	v_lshrrev_b32_e32 v21, 21, v87
	v_min_i32_e32 v86, 31, v98
	v_cmp_gt_i32_e32 vcc_lo, 32, v98
	v_lshlrev_b32_e32 v86, 2, v86
	v_cndmask_b32_e32 v21, 3, v21, vcc_lo
	v_and_b32_e32 v86, 0xfc, v86
	v_or_b32_e32 v87, v98, v21
	v_and_b32_e32 v21, 3, v21
	v_cmp_ne_u32_e32 vcc_lo, 0, v87
	v_or3_b32 v17, v17, v86, v21
	v_lshlrev_b32_e32 v17, 8, v17
	v_cndmask_b32_e32 v17, 0, v17, vcc_lo
.LBB6_6836:                             ;   in Loop: Header=BB6_6037 Depth=3
	s_or_b32 exec_lo, exec_lo, s22
.LBB6_6837:                             ;   in Loop: Header=BB6_6037 Depth=3
	s_or_b32 exec_lo, exec_lo, s19
	v_cmp_gt_i16_sdwa s16, v22, v59 src0_sel:BYTE_0 src1_sel:DWORD
	s_mov_b32 s19, 0
	s_and_saveexec_b32 s22, s16
	s_xor_b32 s16, exec_lo, s22
	s_cbranch_execz .LBB6_7475
; %bb.6838:                             ;   in Loop: Header=BB6_6037 Depth=3
	v_cmp_eq_u16_sdwa s23, v22, v60 src0_sel:BYTE_0 src1_sel:DWORD
	s_mov_b32 s19, -1
	s_and_saveexec_b32 s22, s23
; %bb.6839:                             ;   in Loop: Header=BB6_6037 Depth=3
	s_xor_b32 s19, exec_lo, -1
; %bb.6840:                             ;   in Loop: Header=BB6_6037 Depth=3
	s_or_b32 exec_lo, exec_lo, s22
	s_and_b32 s19, s19, exec_lo
	s_or_saveexec_b32 s16, s16
	v_mov_b32_e32 v21, 0x7f800001
	s_xor_b32 exec_lo, exec_lo, s16
	s_cbranch_execnz .LBB6_7476
.LBB6_6841:                             ;   in Loop: Header=BB6_6037 Depth=3
	s_or_b32 exec_lo, exec_lo, s16
	s_and_saveexec_b32 s16, s19
	s_cbranch_execz .LBB6_6843
.LBB6_6842:                             ;   in Loop: Header=BB6_6037 Depth=3
	v_and_b32_e32 v21, 3, v22
	v_bfe_u32 v86, v22, 2, 5
	v_ffbh_u32_e32 v87, v21
	v_cmp_eq_u32_e32 vcc_lo, 0, v86
	v_min_u32_e32 v87, 32, v87
	v_subrev_nc_u32_e32 v98, 29, v87
	v_sub_nc_u32_e32 v87, 30, v87
	v_lshlrev_b32_e32 v98, v98, v22
	v_cndmask_b32_e32 v86, v86, v87, vcc_lo
	v_lshlrev_b32_e32 v87, 24, v22
	v_and_b32_e32 v98, 3, v98
	v_lshl_add_u32 v86, v86, 23, 0x37800000
	v_and_b32_e32 v87, 0x80000000, v87
	v_cndmask_b32_e32 v21, v21, v98, vcc_lo
	v_lshlrev_b32_e32 v21, 21, v21
	v_or3_b32 v21, v87, v86, v21
.LBB6_6843:                             ;   in Loop: Header=BB6_6037 Depth=3
	s_or_b32 exec_lo, exec_lo, s16
	v_cmp_gt_i16_sdwa s16, v18, v59 src0_sel:BYTE_0 src1_sel:DWORD
	s_mov_b32 s19, 0
	s_and_saveexec_b32 s22, s16
	s_xor_b32 s16, exec_lo, s22
	s_cbranch_execz .LBB6_7477
; %bb.6844:                             ;   in Loop: Header=BB6_6037 Depth=3
	v_cmp_eq_u16_sdwa s23, v18, v60 src0_sel:BYTE_0 src1_sel:DWORD
	s_mov_b32 s19, -1
	s_and_saveexec_b32 s22, s23
; %bb.6845:                             ;   in Loop: Header=BB6_6037 Depth=3
	s_xor_b32 s19, exec_lo, -1
; %bb.6846:                             ;   in Loop: Header=BB6_6037 Depth=3
	s_or_b32 exec_lo, exec_lo, s22
	s_and_b32 s19, s19, exec_lo
	s_or_saveexec_b32 s16, s16
	v_mov_b32_e32 v86, 0x7f800001
	s_xor_b32 exec_lo, exec_lo, s16
	s_cbranch_execnz .LBB6_7478
.LBB6_6847:                             ;   in Loop: Header=BB6_6037 Depth=3
	s_or_b32 exec_lo, exec_lo, s16
	s_and_saveexec_b32 s16, s19
	s_cbranch_execz .LBB6_6849
.LBB6_6848:                             ;   in Loop: Header=BB6_6037 Depth=3
	v_and_b32_e32 v86, 3, v18
	v_bfe_u32 v87, v18, 2, 5
	v_ffbh_u32_e32 v98, v86
	v_cmp_eq_u32_e32 vcc_lo, 0, v87
	v_min_u32_e32 v98, 32, v98
	v_subrev_nc_u32_e32 v99, 29, v98
	v_sub_nc_u32_e32 v98, 30, v98
	v_lshlrev_b32_e32 v99, v99, v18
	v_cndmask_b32_e32 v87, v87, v98, vcc_lo
	v_lshlrev_b32_e32 v98, 24, v18
	v_and_b32_e32 v99, 3, v99
	v_lshl_add_u32 v87, v87, 23, 0x37800000
	v_and_b32_e32 v98, 0x80000000, v98
	v_cndmask_b32_e32 v86, v86, v99, vcc_lo
	v_lshlrev_b32_e32 v86, 21, v86
	v_or3_b32 v86, v98, v87, v86
.LBB6_6849:                             ;   in Loop: Header=BB6_6037 Depth=3
	s_or_b32 exec_lo, exec_lo, s16
	v_mul_f32_e32 v98, v21, v86
	v_and_b32_e32 v21, 0x7f800000, v98
	v_cmp_ne_u32_e32 vcc_lo, 0x7f800000, v21
	v_mov_b32_e32 v21, 0x80
	s_and_saveexec_b32 s19, vcc_lo
	s_cbranch_execz .LBB6_6857
; %bb.6850:                             ;   in Loop: Header=BB6_6037 Depth=3
	v_mov_b32_e32 v21, 0
	s_mov_b32 s22, exec_lo
	v_cmpx_ne_u32_e32 0, v98
	s_cbranch_execz .LBB6_6856
; %bb.6851:                             ;   in Loop: Header=BB6_6037 Depth=3
	v_bfe_u32 v86, v98, 23, 8
	v_and_b32_e32 v21, 0x7fffff, v98
	v_cmp_gt_u32_e64 s16, 0x71, v86
	v_sub_nc_u32_e32 v87, 0x70, v86
	v_cmp_eq_u32_e32 vcc_lo, 0, v86
	v_or_b32_e32 v99, 0x800000, v21
	v_cndmask_b32_e64 v87, 0, v87, s16
	v_cndmask_b32_e32 v21, v99, v21, vcc_lo
	v_cndmask_b32_e64 v87, v87, 0x6f, vcc_lo
	v_lshl_add_u32 v99, 0x200000, v87, -1
	v_lshlrev_b32_e64 v112, v87, 0x100000
	v_and_b32_e32 v99, v99, v21
	v_cmp_eq_u32_e64 s16, v99, v112
	v_lshrrev_b32_e32 v99, v87, v21
	v_add_nc_u32_e32 v21, 0xffffff91, v86
	v_lshrrev_b32_e32 v86, 23, v99
	v_cndmask_b32_e64 v21, v21, 0xffffff92, vcc_lo
	v_xor_b32_e32 v86, 1, v86
	v_add_nc_u32_e32 v21, v87, v21
	v_bfe_u32 v87, v99, 21, 1
	v_add_nc_u32_e32 v87, -1, v87
	v_cndmask_b32_e64 v87, 0, v87, s16
	s_mov_b32 s16, exec_lo
	v_add_nc_u32_e32 v87, v87, v99
	v_and_b32_e32 v87, 0x1fffff, v87
	v_add_nc_u32_e32 v87, v87, v99
                                        ; implicit-def: $vgpr99
	v_cmpx_ne_u32_e64 v21, v86
	s_xor_b32 s16, exec_lo, s16
; %bb.6852:                             ;   in Loop: Header=BB6_6037 Depth=3
	v_cmp_lt_u32_e32 vcc_lo, 0xffffff, v87
	v_sub_nc_u32_e32 v21, v21, v86
	v_cndmask_b32_e64 v86, 0, 1, vcc_lo
	v_add_co_ci_u32_e64 v99, null, 0, v21, vcc_lo
	v_lshrrev_b32_e32 v87, v86, v87
; %bb.6853:                             ;   in Loop: Header=BB6_6037 Depth=3
	s_andn2_saveexec_b32 s16, s16
; %bb.6854:                             ;   in Loop: Header=BB6_6037 Depth=3
	v_bfe_u32 v99, v87, 23, 1
; %bb.6855:                             ;   in Loop: Header=BB6_6037 Depth=3
	s_or_b32 exec_lo, exec_lo, s16
	v_lshrrev_b32_e32 v86, 21, v87
	v_min_i32_e32 v87, 31, v99
	v_cmp_gt_i32_e32 vcc_lo, 32, v99
	v_and_b32_sdwa v21, v98, v60 dst_sel:DWORD dst_unused:UNUSED_PAD src0_sel:BYTE_3 src1_sel:DWORD
	v_lshlrev_b32_e32 v87, 2, v87
	v_cndmask_b32_e32 v86, 3, v86, vcc_lo
	v_and_b32_e32 v87, 0xfc, v87
	v_or_b32_e32 v98, v99, v86
	v_and_b32_e32 v86, 3, v86
	v_cmp_ne_u32_e32 vcc_lo, 0, v98
	v_or3_b32 v21, v87, v21, v86
	v_cndmask_b32_e32 v21, 0, v21, vcc_lo
.LBB6_6856:                             ;   in Loop: Header=BB6_6037 Depth=3
	s_or_b32 exec_lo, exec_lo, s22
.LBB6_6857:                             ;   in Loop: Header=BB6_6037 Depth=3
	s_or_b32 exec_lo, exec_lo, s19
	v_cmp_gt_i16_sdwa s19, v22, v59 src0_sel:BYTE_1 src1_sel:DWORD
	s_mov_b32 s16, 0
	s_and_saveexec_b32 s22, s19
	s_xor_b32 s19, exec_lo, s22
	s_cbranch_execz .LBB6_7479
; %bb.6858:                             ;   in Loop: Header=BB6_6037 Depth=3
	v_cmp_eq_u16_sdwa s23, v22, v60 src0_sel:BYTE_1 src1_sel:DWORD
	s_mov_b32 s16, -1
	s_and_saveexec_b32 s22, s23
; %bb.6859:                             ;   in Loop: Header=BB6_6037 Depth=3
	s_xor_b32 s16, exec_lo, -1
; %bb.6860:                             ;   in Loop: Header=BB6_6037 Depth=3
	s_or_b32 exec_lo, exec_lo, s22
	s_and_b32 s16, s16, exec_lo
	s_or_saveexec_b32 s19, s19
	v_mov_b32_e32 v86, 0x7f800001
	s_xor_b32 exec_lo, exec_lo, s19
	s_cbranch_execnz .LBB6_7480
.LBB6_6861:                             ;   in Loop: Header=BB6_6037 Depth=3
	s_or_b32 exec_lo, exec_lo, s19
	s_and_saveexec_b32 s19, s16
	s_cbranch_execz .LBB6_6863
.LBB6_6862:                             ;   in Loop: Header=BB6_6037 Depth=3
	v_and_b32_sdwa v86, v61, v22 dst_sel:DWORD dst_unused:UNUSED_PAD src0_sel:DWORD src1_sel:BYTE_1
	v_and_b32_e32 v87, 3, v86
	v_bfe_u32 v112, v86, 2, 5
	v_ffbh_u32_e32 v98, v87
	v_cmp_eq_u32_e32 vcc_lo, 0, v112
	v_min_u32_e32 v98, 32, v98
	v_subrev_nc_u32_e32 v99, 29, v98
	v_sub_nc_u32_e32 v98, 30, v98
	v_lshlrev_b32_e32 v86, v99, v86
	v_lshlrev_b32_sdwa v99, v62, v22 dst_sel:DWORD dst_unused:UNUSED_PAD src0_sel:DWORD src1_sel:BYTE_1
	v_cndmask_b32_e32 v98, v112, v98, vcc_lo
	v_and_b32_e32 v86, 3, v86
	v_lshl_add_u32 v98, v98, 23, 0x37800000
	v_cndmask_b32_e32 v86, v87, v86, vcc_lo
	v_and_b32_e32 v87, 0x80000000, v99
	v_lshlrev_b32_e32 v86, 21, v86
	v_or3_b32 v86, v87, v98, v86
.LBB6_6863:                             ;   in Loop: Header=BB6_6037 Depth=3
	s_or_b32 exec_lo, exec_lo, s19
	v_cmp_gt_i16_sdwa s19, v18, v59 src0_sel:BYTE_1 src1_sel:DWORD
	s_mov_b32 s16, 0
	s_and_saveexec_b32 s22, s19
	s_xor_b32 s19, exec_lo, s22
	s_cbranch_execz .LBB6_7481
; %bb.6864:                             ;   in Loop: Header=BB6_6037 Depth=3
	v_cmp_eq_u16_sdwa s23, v18, v60 src0_sel:BYTE_1 src1_sel:DWORD
	s_mov_b32 s16, -1
	s_and_saveexec_b32 s22, s23
; %bb.6865:                             ;   in Loop: Header=BB6_6037 Depth=3
	s_xor_b32 s16, exec_lo, -1
; %bb.6866:                             ;   in Loop: Header=BB6_6037 Depth=3
	s_or_b32 exec_lo, exec_lo, s22
	s_and_b32 s16, s16, exec_lo
	s_or_saveexec_b32 s19, s19
	v_mov_b32_e32 v87, 0x7f800001
	s_xor_b32 exec_lo, exec_lo, s19
	s_cbranch_execnz .LBB6_7482
.LBB6_6867:                             ;   in Loop: Header=BB6_6037 Depth=3
	s_or_b32 exec_lo, exec_lo, s19
	s_and_saveexec_b32 s19, s16
	s_cbranch_execz .LBB6_6869
.LBB6_6868:                             ;   in Loop: Header=BB6_6037 Depth=3
	v_and_b32_sdwa v87, v61, v18 dst_sel:DWORD dst_unused:UNUSED_PAD src0_sel:DWORD src1_sel:BYTE_1
	v_and_b32_e32 v98, 3, v87
	v_bfe_u32 v113, v87, 2, 5
	v_ffbh_u32_e32 v99, v98
	v_cmp_eq_u32_e32 vcc_lo, 0, v113
	v_min_u32_e32 v99, 32, v99
	v_subrev_nc_u32_e32 v112, 29, v99
	v_sub_nc_u32_e32 v99, 30, v99
	v_lshlrev_b32_e32 v87, v112, v87
	v_lshlrev_b32_sdwa v112, v62, v18 dst_sel:DWORD dst_unused:UNUSED_PAD src0_sel:DWORD src1_sel:BYTE_1
	v_cndmask_b32_e32 v99, v113, v99, vcc_lo
	v_and_b32_e32 v87, 3, v87
	v_lshl_add_u32 v99, v99, 23, 0x37800000
	v_cndmask_b32_e32 v87, v98, v87, vcc_lo
	v_and_b32_e32 v98, 0x80000000, v112
	v_lshlrev_b32_e32 v87, 21, v87
	v_or3_b32 v87, v98, v99, v87
.LBB6_6869:                             ;   in Loop: Header=BB6_6037 Depth=3
	s_or_b32 exec_lo, exec_lo, s19
	v_mul_f32_e32 v98, v86, v87
	v_mov_b32_e32 v110, 0x8000
	s_mov_b32 s19, exec_lo
	v_and_b32_e32 v86, 0x7f800000, v98
	v_cmpx_ne_u32_e32 0x7f800000, v86
	s_cbranch_execz .LBB6_6877
; %bb.6870:                             ;   in Loop: Header=BB6_6037 Depth=3
	v_mov_b32_e32 v110, 0
	s_mov_b32 s22, exec_lo
	v_cmpx_ne_u32_e32 0, v98
	s_cbranch_execz .LBB6_6876
; %bb.6871:                             ;   in Loop: Header=BB6_6037 Depth=3
	v_bfe_u32 v87, v98, 23, 8
	v_and_b32_e32 v86, 0x7fffff, v98
	v_cmp_gt_u32_e64 s16, 0x71, v87
	v_sub_nc_u32_e32 v99, 0x70, v87
	v_cmp_eq_u32_e32 vcc_lo, 0, v87
	v_or_b32_e32 v112, 0x800000, v86
	v_cndmask_b32_e64 v99, 0, v99, s16
	v_cndmask_b32_e32 v86, v112, v86, vcc_lo
	v_cndmask_b32_e64 v99, v99, 0x6f, vcc_lo
	v_lshl_add_u32 v112, 0x200000, v99, -1
	v_lshlrev_b32_e64 v113, v99, 0x100000
	v_and_b32_e32 v112, v112, v86
	v_cmp_eq_u32_e64 s16, v112, v113
	v_lshrrev_b32_e32 v112, v99, v86
	v_add_nc_u32_e32 v86, 0xffffff91, v87
	v_lshrrev_b32_e32 v87, 23, v112
	v_cndmask_b32_e64 v86, v86, 0xffffff92, vcc_lo
	v_xor_b32_e32 v87, 1, v87
	v_add_nc_u32_e32 v86, v99, v86
	v_bfe_u32 v99, v112, 21, 1
	v_add_nc_u32_e32 v99, -1, v99
	v_cndmask_b32_e64 v99, 0, v99, s16
	s_mov_b32 s16, exec_lo
	v_add_nc_u32_e32 v99, v99, v112
	v_and_b32_e32 v99, 0x1fffff, v99
	v_add_nc_u32_e32 v99, v99, v112
                                        ; implicit-def: $vgpr112
	v_cmpx_ne_u32_e64 v86, v87
	s_xor_b32 s16, exec_lo, s16
; %bb.6872:                             ;   in Loop: Header=BB6_6037 Depth=3
	v_cmp_lt_u32_e32 vcc_lo, 0xffffff, v99
	v_sub_nc_u32_e32 v86, v86, v87
	v_cndmask_b32_e64 v87, 0, 1, vcc_lo
	v_add_co_ci_u32_e64 v112, null, 0, v86, vcc_lo
	v_lshrrev_b32_e32 v99, v87, v99
; %bb.6873:                             ;   in Loop: Header=BB6_6037 Depth=3
	s_andn2_saveexec_b32 s16, s16
; %bb.6874:                             ;   in Loop: Header=BB6_6037 Depth=3
	v_bfe_u32 v112, v99, 23, 1
; %bb.6875:                             ;   in Loop: Header=BB6_6037 Depth=3
	s_or_b32 exec_lo, exec_lo, s16
	v_and_b32_sdwa v86, v98, v60 dst_sel:DWORD dst_unused:UNUSED_PAD src0_sel:BYTE_3 src1_sel:DWORD
	v_lshrrev_b32_e32 v87, 21, v99
	v_min_i32_e32 v98, 31, v112
	v_cmp_gt_i32_e32 vcc_lo, 32, v112
	v_lshlrev_b32_e32 v98, 2, v98
	v_cndmask_b32_e32 v87, 3, v87, vcc_lo
	v_and_b32_e32 v98, 0xfc, v98
	v_or_b32_e32 v99, v112, v87
	v_and_b32_e32 v87, 3, v87
	v_cmp_ne_u32_e32 vcc_lo, 0, v99
	v_or3_b32 v86, v86, v98, v87
	v_lshlrev_b32_e32 v86, 8, v86
	v_cndmask_b32_e32 v110, 0, v86, vcc_lo
.LBB6_6876:                             ;   in Loop: Header=BB6_6037 Depth=3
	s_or_b32 exec_lo, exec_lo, s22
.LBB6_6877:                             ;   in Loop: Header=BB6_6037 Depth=3
	s_or_b32 exec_lo, exec_lo, s19
	v_and_b32_sdwa v87, v22, v63 dst_sel:DWORD dst_unused:UNUSED_PAD src0_sel:WORD_1 src1_sel:DWORD
	s_mov_b32 s19, 0
	s_mov_b32 s16, exec_lo
	v_cmpx_lt_i16_e32 0x7f, v87
	s_xor_b32 s16, exec_lo, s16
	s_cbranch_execz .LBB6_7483
; %bb.6878:                             ;   in Loop: Header=BB6_6037 Depth=3
	s_mov_b32 s19, -1
	s_mov_b32 s22, exec_lo
	v_cmpx_eq_u16_e32 0x80, v87
; %bb.6879:                             ;   in Loop: Header=BB6_6037 Depth=3
	s_xor_b32 s19, exec_lo, -1
; %bb.6880:                             ;   in Loop: Header=BB6_6037 Depth=3
	s_or_b32 exec_lo, exec_lo, s22
	s_and_b32 s19, s19, exec_lo
                                        ; implicit-def: $vgpr87
	s_or_saveexec_b32 s16, s16
	v_mov_b32_e32 v86, 0x7f800001
	s_xor_b32 exec_lo, exec_lo, s16
	s_cbranch_execnz .LBB6_7484
.LBB6_6881:                             ;   in Loop: Header=BB6_6037 Depth=3
	s_or_b32 exec_lo, exec_lo, s16
	s_and_saveexec_b32 s16, s19
	s_cbranch_execz .LBB6_6883
.LBB6_6882:                             ;   in Loop: Header=BB6_6037 Depth=3
	v_bfe_u32 v86, v22, 16, 2
	v_bfe_u32 v87, v22, 18, 5
	v_ffbh_u32_e32 v98, v86
	v_cmp_eq_u32_e32 vcc_lo, 0, v87
	v_min_u32_e32 v98, 32, v98
	v_subrev_nc_u32_e32 v99, 29, v98
	v_sub_nc_u32_e32 v98, 30, v98
	v_lshlrev_b32_sdwa v99, v99, v22 dst_sel:DWORD dst_unused:UNUSED_PAD src0_sel:DWORD src1_sel:WORD_1
	v_cndmask_b32_e32 v87, v87, v98, vcc_lo
	v_lshlrev_b32_e32 v98, 8, v22
	v_and_b32_e32 v99, 3, v99
	v_lshl_add_u32 v87, v87, 23, 0x37800000
	v_and_b32_e32 v98, 0x80000000, v98
	v_cndmask_b32_e32 v86, v86, v99, vcc_lo
	v_lshlrev_b32_e32 v86, 21, v86
	v_or3_b32 v86, v98, v87, v86
.LBB6_6883:                             ;   in Loop: Header=BB6_6037 Depth=3
	s_or_b32 exec_lo, exec_lo, s16
	v_and_b32_sdwa v98, v18, v63 dst_sel:DWORD dst_unused:UNUSED_PAD src0_sel:WORD_1 src1_sel:DWORD
	s_mov_b32 s19, 0
	s_mov_b32 s16, exec_lo
	v_cmpx_lt_i16_e32 0x7f, v98
	s_xor_b32 s16, exec_lo, s16
	s_cbranch_execz .LBB6_7485
; %bb.6884:                             ;   in Loop: Header=BB6_6037 Depth=3
	s_mov_b32 s19, -1
	s_mov_b32 s22, exec_lo
	v_cmpx_eq_u16_e32 0x80, v98
; %bb.6885:                             ;   in Loop: Header=BB6_6037 Depth=3
	s_xor_b32 s19, exec_lo, -1
; %bb.6886:                             ;   in Loop: Header=BB6_6037 Depth=3
	s_or_b32 exec_lo, exec_lo, s22
	s_and_b32 s19, s19, exec_lo
                                        ; implicit-def: $vgpr98
	s_or_saveexec_b32 s16, s16
	v_mov_b32_e32 v87, 0x7f800001
	s_xor_b32 exec_lo, exec_lo, s16
	s_cbranch_execnz .LBB6_7486
.LBB6_6887:                             ;   in Loop: Header=BB6_6037 Depth=3
	s_or_b32 exec_lo, exec_lo, s16
	s_and_saveexec_b32 s16, s19
	s_cbranch_execz .LBB6_6889
.LBB6_6888:                             ;   in Loop: Header=BB6_6037 Depth=3
	v_bfe_u32 v87, v18, 16, 2
	v_bfe_u32 v98, v18, 18, 5
	v_ffbh_u32_e32 v99, v87
	v_cmp_eq_u32_e32 vcc_lo, 0, v98
	v_min_u32_e32 v99, 32, v99
	v_subrev_nc_u32_e32 v112, 29, v99
	v_sub_nc_u32_e32 v99, 30, v99
	v_lshlrev_b32_sdwa v112, v112, v18 dst_sel:DWORD dst_unused:UNUSED_PAD src0_sel:DWORD src1_sel:WORD_1
	v_cndmask_b32_e32 v98, v98, v99, vcc_lo
	v_lshlrev_b32_e32 v99, 8, v18
	v_and_b32_e32 v112, 3, v112
	v_lshl_add_u32 v98, v98, 23, 0x37800000
	v_and_b32_e32 v99, 0x80000000, v99
	v_cndmask_b32_e32 v87, v87, v112, vcc_lo
	v_lshlrev_b32_e32 v87, 21, v87
	v_or3_b32 v87, v99, v98, v87
.LBB6_6889:                             ;   in Loop: Header=BB6_6037 Depth=3
	s_or_b32 exec_lo, exec_lo, s16
	v_mul_f32_e32 v98, v86, v87
	v_mov_b32_e32 v111, 0x80
	s_mov_b32 s19, exec_lo
	v_and_b32_e32 v86, 0x7f800000, v98
	v_cmpx_ne_u32_e32 0x7f800000, v86
	s_cbranch_execz .LBB6_6897
; %bb.6890:                             ;   in Loop: Header=BB6_6037 Depth=3
	v_mov_b32_e32 v111, 0
	s_mov_b32 s22, exec_lo
	v_cmpx_ne_u32_e32 0, v98
	s_cbranch_execz .LBB6_6896
; %bb.6891:                             ;   in Loop: Header=BB6_6037 Depth=3
	v_bfe_u32 v87, v98, 23, 8
	v_and_b32_e32 v86, 0x7fffff, v98
	v_cmp_gt_u32_e64 s16, 0x71, v87
	v_sub_nc_u32_e32 v99, 0x70, v87
	v_cmp_eq_u32_e32 vcc_lo, 0, v87
	v_or_b32_e32 v112, 0x800000, v86
	v_cndmask_b32_e64 v99, 0, v99, s16
	v_cndmask_b32_e32 v86, v112, v86, vcc_lo
	v_cndmask_b32_e64 v99, v99, 0x6f, vcc_lo
	v_lshl_add_u32 v112, 0x200000, v99, -1
	v_lshlrev_b32_e64 v113, v99, 0x100000
	v_and_b32_e32 v112, v112, v86
	v_cmp_eq_u32_e64 s16, v112, v113
	v_lshrrev_b32_e32 v112, v99, v86
	v_add_nc_u32_e32 v86, 0xffffff91, v87
	v_lshrrev_b32_e32 v87, 23, v112
	v_cndmask_b32_e64 v86, v86, 0xffffff92, vcc_lo
	v_xor_b32_e32 v87, 1, v87
	v_add_nc_u32_e32 v86, v99, v86
	v_bfe_u32 v99, v112, 21, 1
	v_add_nc_u32_e32 v99, -1, v99
	v_cndmask_b32_e64 v99, 0, v99, s16
	s_mov_b32 s16, exec_lo
	v_add_nc_u32_e32 v99, v99, v112
	v_and_b32_e32 v99, 0x1fffff, v99
	v_add_nc_u32_e32 v99, v99, v112
                                        ; implicit-def: $vgpr112
	v_cmpx_ne_u32_e64 v86, v87
	s_xor_b32 s16, exec_lo, s16
; %bb.6892:                             ;   in Loop: Header=BB6_6037 Depth=3
	v_cmp_lt_u32_e32 vcc_lo, 0xffffff, v99
	v_sub_nc_u32_e32 v86, v86, v87
	v_cndmask_b32_e64 v87, 0, 1, vcc_lo
	v_add_co_ci_u32_e64 v112, null, 0, v86, vcc_lo
	v_lshrrev_b32_e32 v99, v87, v99
; %bb.6893:                             ;   in Loop: Header=BB6_6037 Depth=3
	s_andn2_saveexec_b32 s16, s16
; %bb.6894:                             ;   in Loop: Header=BB6_6037 Depth=3
	v_bfe_u32 v112, v99, 23, 1
; %bb.6895:                             ;   in Loop: Header=BB6_6037 Depth=3
	s_or_b32 exec_lo, exec_lo, s16
	v_and_b32_sdwa v86, v98, v60 dst_sel:DWORD dst_unused:UNUSED_PAD src0_sel:BYTE_3 src1_sel:DWORD
	v_lshrrev_b32_e32 v87, 21, v99
	v_min_i32_e32 v98, 31, v112
	v_cmp_gt_i32_e32 vcc_lo, 32, v112
	v_lshlrev_b32_e32 v98, 2, v98
	v_cndmask_b32_e32 v87, 3, v87, vcc_lo
	v_and_b32_e32 v98, 0xfc, v98
	v_or_b32_e32 v99, v112, v87
	v_and_b32_e32 v87, 3, v87
	v_cmp_ne_u32_e32 vcc_lo, 0, v99
	v_or3_b32 v86, v98, v86, v87
	v_cndmask_b32_e32 v111, 0, v86, vcc_lo
.LBB6_6896:                             ;   in Loop: Header=BB6_6037 Depth=3
	s_or_b32 exec_lo, exec_lo, s22
.LBB6_6897:                             ;   in Loop: Header=BB6_6037 Depth=3
	s_or_b32 exec_lo, exec_lo, s19
	v_cmp_gt_i16_sdwa s19, v22, v59 src0_sel:BYTE_3 src1_sel:DWORD
	s_mov_b32 s16, 0
	s_and_saveexec_b32 s22, s19
	s_xor_b32 s19, exec_lo, s22
	s_cbranch_execz .LBB6_7487
; %bb.6898:                             ;   in Loop: Header=BB6_6037 Depth=3
	v_cmp_eq_u16_sdwa s23, v22, v60 src0_sel:BYTE_3 src1_sel:DWORD
	s_mov_b32 s16, -1
	s_and_saveexec_b32 s22, s23
; %bb.6899:                             ;   in Loop: Header=BB6_6037 Depth=3
	s_xor_b32 s16, exec_lo, -1
; %bb.6900:                             ;   in Loop: Header=BB6_6037 Depth=3
	s_or_b32 exec_lo, exec_lo, s22
	s_and_b32 s16, s16, exec_lo
	s_or_saveexec_b32 s19, s19
	v_mov_b32_e32 v86, 0x7f800001
	s_xor_b32 exec_lo, exec_lo, s19
	s_cbranch_execnz .LBB6_7488
.LBB6_6901:                             ;   in Loop: Header=BB6_6037 Depth=3
	s_or_b32 exec_lo, exec_lo, s19
	s_and_saveexec_b32 s19, s16
	s_cbranch_execz .LBB6_6903
.LBB6_6902:                             ;   in Loop: Header=BB6_6037 Depth=3
	v_bfe_u32 v86, v22, 24, 2
	v_bfe_u32 v99, v22, 26, 5
	v_ffbh_u32_e32 v87, v86
	v_cmp_eq_u32_e32 vcc_lo, 0, v99
	v_min_u32_e32 v87, 32, v87
	v_subrev_nc_u32_e32 v98, 29, v87
	v_sub_nc_u32_e32 v87, 30, v87
	v_lshlrev_b32_sdwa v98, v98, v22 dst_sel:DWORD dst_unused:UNUSED_PAD src0_sel:DWORD src1_sel:BYTE_3
	v_cndmask_b32_e32 v87, v99, v87, vcc_lo
	v_and_b32_e32 v22, 0x80000000, v22
	v_and_b32_e32 v98, 3, v98
	v_lshl_add_u32 v87, v87, 23, 0x37800000
	v_cndmask_b32_e32 v86, v86, v98, vcc_lo
	v_lshlrev_b32_e32 v86, 21, v86
	v_or3_b32 v86, v22, v87, v86
.LBB6_6903:                             ;   in Loop: Header=BB6_6037 Depth=3
	s_or_b32 exec_lo, exec_lo, s19
	v_cmp_gt_i16_sdwa s19, v18, v59 src0_sel:BYTE_3 src1_sel:DWORD
	s_mov_b32 s16, 0
	s_and_saveexec_b32 s22, s19
	s_xor_b32 s19, exec_lo, s22
	s_cbranch_execz .LBB6_7489
; %bb.6904:                             ;   in Loop: Header=BB6_6037 Depth=3
	v_cmp_eq_u16_sdwa s23, v18, v60 src0_sel:BYTE_3 src1_sel:DWORD
	s_mov_b32 s16, -1
	s_and_saveexec_b32 s22, s23
; %bb.6905:                             ;   in Loop: Header=BB6_6037 Depth=3
	s_xor_b32 s16, exec_lo, -1
; %bb.6906:                             ;   in Loop: Header=BB6_6037 Depth=3
	s_or_b32 exec_lo, exec_lo, s22
	s_and_b32 s16, s16, exec_lo
	s_or_saveexec_b32 s19, s19
	v_mov_b32_e32 v22, 0x7f800001
	s_xor_b32 exec_lo, exec_lo, s19
	s_cbranch_execnz .LBB6_7490
.LBB6_6907:                             ;   in Loop: Header=BB6_6037 Depth=3
	s_or_b32 exec_lo, exec_lo, s19
	s_and_saveexec_b32 s19, s16
	s_cbranch_execz .LBB6_6909
.LBB6_6908:                             ;   in Loop: Header=BB6_6037 Depth=3
	v_bfe_u32 v22, v18, 24, 2
	v_bfe_u32 v99, v18, 26, 5
	v_ffbh_u32_e32 v87, v22
	v_cmp_eq_u32_e32 vcc_lo, 0, v99
	v_min_u32_e32 v87, 32, v87
	v_subrev_nc_u32_e32 v98, 29, v87
	v_sub_nc_u32_e32 v87, 30, v87
	v_lshlrev_b32_sdwa v98, v98, v18 dst_sel:DWORD dst_unused:UNUSED_PAD src0_sel:DWORD src1_sel:BYTE_3
	v_cndmask_b32_e32 v87, v99, v87, vcc_lo
	v_and_b32_e32 v18, 0x80000000, v18
	v_and_b32_e32 v98, 3, v98
	v_lshl_add_u32 v87, v87, 23, 0x37800000
	v_cndmask_b32_e32 v22, v22, v98, vcc_lo
	v_lshlrev_b32_e32 v22, 21, v22
	v_or3_b32 v22, v18, v87, v22
.LBB6_6909:                             ;   in Loop: Header=BB6_6037 Depth=3
	s_or_b32 exec_lo, exec_lo, s19
	v_mul_f32_e32 v22, v86, v22
	v_and_b32_e32 v18, 0x7f800000, v22
	v_cmp_ne_u32_e32 vcc_lo, 0x7f800000, v18
	v_mov_b32_e32 v18, 0x8000
	s_and_saveexec_b32 s19, vcc_lo
	s_cbranch_execz .LBB6_6917
; %bb.6910:                             ;   in Loop: Header=BB6_6037 Depth=3
	v_mov_b32_e32 v18, 0
	s_mov_b32 s22, exec_lo
	v_cmpx_ne_u32_e32 0, v22
	s_cbranch_execz .LBB6_6916
; %bb.6911:                             ;   in Loop: Header=BB6_6037 Depth=3
	v_bfe_u32 v86, v22, 23, 8
	v_and_b32_e32 v18, 0x7fffff, v22
	v_cmp_gt_u32_e64 s16, 0x71, v86
	v_sub_nc_u32_e32 v87, 0x70, v86
	v_cmp_eq_u32_e32 vcc_lo, 0, v86
	v_or_b32_e32 v98, 0x800000, v18
	v_cndmask_b32_e64 v87, 0, v87, s16
	v_cndmask_b32_e32 v18, v98, v18, vcc_lo
	v_cndmask_b32_e64 v87, v87, 0x6f, vcc_lo
	v_lshl_add_u32 v98, 0x200000, v87, -1
	v_lshlrev_b32_e64 v99, v87, 0x100000
	v_and_b32_e32 v98, v98, v18
	v_cmp_eq_u32_e64 s16, v98, v99
	v_lshrrev_b32_e32 v98, v87, v18
	v_add_nc_u32_e32 v18, 0xffffff91, v86
	v_lshrrev_b32_e32 v86, 23, v98
	v_cndmask_b32_e64 v18, v18, 0xffffff92, vcc_lo
	v_xor_b32_e32 v86, 1, v86
	v_add_nc_u32_e32 v18, v87, v18
	v_bfe_u32 v87, v98, 21, 1
	v_add_nc_u32_e32 v87, -1, v87
	v_cndmask_b32_e64 v87, 0, v87, s16
	s_mov_b32 s16, exec_lo
	v_add_nc_u32_e32 v87, v87, v98
	v_and_b32_e32 v87, 0x1fffff, v87
	v_add_nc_u32_e32 v87, v87, v98
                                        ; implicit-def: $vgpr98
	v_cmpx_ne_u32_e64 v18, v86
	s_xor_b32 s16, exec_lo, s16
; %bb.6912:                             ;   in Loop: Header=BB6_6037 Depth=3
	v_cmp_lt_u32_e32 vcc_lo, 0xffffff, v87
	v_sub_nc_u32_e32 v18, v18, v86
	v_cndmask_b32_e64 v86, 0, 1, vcc_lo
	v_add_co_ci_u32_e64 v98, null, 0, v18, vcc_lo
	v_lshrrev_b32_e32 v87, v86, v87
; %bb.6913:                             ;   in Loop: Header=BB6_6037 Depth=3
	s_andn2_saveexec_b32 s16, s16
; %bb.6914:                             ;   in Loop: Header=BB6_6037 Depth=3
	v_bfe_u32 v98, v87, 23, 1
; %bb.6915:                             ;   in Loop: Header=BB6_6037 Depth=3
	s_or_b32 exec_lo, exec_lo, s16
	v_and_b32_sdwa v18, v22, v60 dst_sel:DWORD dst_unused:UNUSED_PAD src0_sel:BYTE_3 src1_sel:DWORD
	v_lshrrev_b32_e32 v22, 21, v87
	v_min_i32_e32 v86, 31, v98
	v_cmp_gt_i32_e32 vcc_lo, 32, v98
	v_lshlrev_b32_e32 v86, 2, v86
	v_cndmask_b32_e32 v22, 3, v22, vcc_lo
	v_and_b32_e32 v86, 0xfc, v86
	v_or_b32_e32 v87, v98, v22
	v_and_b32_e32 v22, 3, v22
	v_cmp_ne_u32_e32 vcc_lo, 0, v87
	v_or3_b32 v18, v18, v86, v22
	v_lshlrev_b32_e32 v18, 8, v18
	v_cndmask_b32_e32 v18, 0, v18, vcc_lo
.LBB6_6916:                             ;   in Loop: Header=BB6_6037 Depth=3
	s_or_b32 exec_lo, exec_lo, s22
.LBB6_6917:                             ;   in Loop: Header=BB6_6037 Depth=3
	s_or_b32 exec_lo, exec_lo, s19
	v_cmp_gt_i16_sdwa s16, v23, v59 src0_sel:BYTE_0 src1_sel:DWORD
	s_mov_b32 s19, 0
	s_and_saveexec_b32 s22, s16
	s_xor_b32 s16, exec_lo, s22
	s_cbranch_execz .LBB6_7491
; %bb.6918:                             ;   in Loop: Header=BB6_6037 Depth=3
	v_cmp_eq_u16_sdwa s23, v23, v60 src0_sel:BYTE_0 src1_sel:DWORD
	s_mov_b32 s19, -1
	s_and_saveexec_b32 s22, s23
; %bb.6919:                             ;   in Loop: Header=BB6_6037 Depth=3
	s_xor_b32 s19, exec_lo, -1
; %bb.6920:                             ;   in Loop: Header=BB6_6037 Depth=3
	s_or_b32 exec_lo, exec_lo, s22
	s_and_b32 s19, s19, exec_lo
	s_or_saveexec_b32 s16, s16
	v_mov_b32_e32 v22, 0x7f800001
	s_xor_b32 exec_lo, exec_lo, s16
	s_cbranch_execnz .LBB6_7492
.LBB6_6921:                             ;   in Loop: Header=BB6_6037 Depth=3
	s_or_b32 exec_lo, exec_lo, s16
	s_and_saveexec_b32 s16, s19
	s_cbranch_execz .LBB6_6923
.LBB6_6922:                             ;   in Loop: Header=BB6_6037 Depth=3
	v_and_b32_e32 v22, 3, v23
	v_bfe_u32 v86, v23, 2, 5
	v_ffbh_u32_e32 v87, v22
	v_cmp_eq_u32_e32 vcc_lo, 0, v86
	v_min_u32_e32 v87, 32, v87
	v_subrev_nc_u32_e32 v98, 29, v87
	v_sub_nc_u32_e32 v87, 30, v87
	v_lshlrev_b32_e32 v98, v98, v23
	v_cndmask_b32_e32 v86, v86, v87, vcc_lo
	v_lshlrev_b32_e32 v87, 24, v23
	v_and_b32_e32 v98, 3, v98
	v_lshl_add_u32 v86, v86, 23, 0x37800000
	v_and_b32_e32 v87, 0x80000000, v87
	v_cndmask_b32_e32 v22, v22, v98, vcc_lo
	v_lshlrev_b32_e32 v22, 21, v22
	v_or3_b32 v22, v87, v86, v22
.LBB6_6923:                             ;   in Loop: Header=BB6_6037 Depth=3
	s_or_b32 exec_lo, exec_lo, s16
	v_cmp_gt_i16_sdwa s16, v19, v59 src0_sel:BYTE_0 src1_sel:DWORD
	s_mov_b32 s19, 0
	s_and_saveexec_b32 s22, s16
	s_xor_b32 s16, exec_lo, s22
	s_cbranch_execz .LBB6_7493
; %bb.6924:                             ;   in Loop: Header=BB6_6037 Depth=3
	v_cmp_eq_u16_sdwa s23, v19, v60 src0_sel:BYTE_0 src1_sel:DWORD
	s_mov_b32 s19, -1
	s_and_saveexec_b32 s22, s23
; %bb.6925:                             ;   in Loop: Header=BB6_6037 Depth=3
	s_xor_b32 s19, exec_lo, -1
; %bb.6926:                             ;   in Loop: Header=BB6_6037 Depth=3
	s_or_b32 exec_lo, exec_lo, s22
	s_and_b32 s19, s19, exec_lo
	s_or_saveexec_b32 s16, s16
	v_mov_b32_e32 v86, 0x7f800001
	s_xor_b32 exec_lo, exec_lo, s16
	s_cbranch_execnz .LBB6_7494
.LBB6_6927:                             ;   in Loop: Header=BB6_6037 Depth=3
	s_or_b32 exec_lo, exec_lo, s16
	s_and_saveexec_b32 s16, s19
	s_cbranch_execz .LBB6_6929
.LBB6_6928:                             ;   in Loop: Header=BB6_6037 Depth=3
	v_and_b32_e32 v86, 3, v19
	v_bfe_u32 v87, v19, 2, 5
	v_ffbh_u32_e32 v98, v86
	v_cmp_eq_u32_e32 vcc_lo, 0, v87
	v_min_u32_e32 v98, 32, v98
	v_subrev_nc_u32_e32 v99, 29, v98
	v_sub_nc_u32_e32 v98, 30, v98
	v_lshlrev_b32_e32 v99, v99, v19
	v_cndmask_b32_e32 v87, v87, v98, vcc_lo
	v_lshlrev_b32_e32 v98, 24, v19
	v_and_b32_e32 v99, 3, v99
	v_lshl_add_u32 v87, v87, 23, 0x37800000
	v_and_b32_e32 v98, 0x80000000, v98
	v_cndmask_b32_e32 v86, v86, v99, vcc_lo
	v_lshlrev_b32_e32 v86, 21, v86
	v_or3_b32 v86, v98, v87, v86
.LBB6_6929:                             ;   in Loop: Header=BB6_6037 Depth=3
	s_or_b32 exec_lo, exec_lo, s16
	v_mul_f32_e32 v98, v22, v86
	v_and_b32_e32 v22, 0x7f800000, v98
	v_cmp_ne_u32_e32 vcc_lo, 0x7f800000, v22
	v_mov_b32_e32 v22, 0x80
	s_and_saveexec_b32 s19, vcc_lo
	s_cbranch_execz .LBB6_6937
; %bb.6930:                             ;   in Loop: Header=BB6_6037 Depth=3
	v_mov_b32_e32 v22, 0
	s_mov_b32 s22, exec_lo
	v_cmpx_ne_u32_e32 0, v98
	s_cbranch_execz .LBB6_6936
; %bb.6931:                             ;   in Loop: Header=BB6_6037 Depth=3
	v_bfe_u32 v86, v98, 23, 8
	v_and_b32_e32 v22, 0x7fffff, v98
	v_cmp_gt_u32_e64 s16, 0x71, v86
	v_sub_nc_u32_e32 v87, 0x70, v86
	v_cmp_eq_u32_e32 vcc_lo, 0, v86
	v_or_b32_e32 v99, 0x800000, v22
	v_cndmask_b32_e64 v87, 0, v87, s16
	v_cndmask_b32_e32 v22, v99, v22, vcc_lo
	v_cndmask_b32_e64 v87, v87, 0x6f, vcc_lo
	v_lshl_add_u32 v99, 0x200000, v87, -1
	v_lshlrev_b32_e64 v112, v87, 0x100000
	v_and_b32_e32 v99, v99, v22
	v_cmp_eq_u32_e64 s16, v99, v112
	v_lshrrev_b32_e32 v99, v87, v22
	v_add_nc_u32_e32 v22, 0xffffff91, v86
	v_lshrrev_b32_e32 v86, 23, v99
	v_cndmask_b32_e64 v22, v22, 0xffffff92, vcc_lo
	v_xor_b32_e32 v86, 1, v86
	v_add_nc_u32_e32 v22, v87, v22
	v_bfe_u32 v87, v99, 21, 1
	v_add_nc_u32_e32 v87, -1, v87
	v_cndmask_b32_e64 v87, 0, v87, s16
	s_mov_b32 s16, exec_lo
	v_add_nc_u32_e32 v87, v87, v99
	v_and_b32_e32 v87, 0x1fffff, v87
	v_add_nc_u32_e32 v87, v87, v99
                                        ; implicit-def: $vgpr99
	v_cmpx_ne_u32_e64 v22, v86
	s_xor_b32 s16, exec_lo, s16
; %bb.6932:                             ;   in Loop: Header=BB6_6037 Depth=3
	v_cmp_lt_u32_e32 vcc_lo, 0xffffff, v87
	v_sub_nc_u32_e32 v22, v22, v86
	v_cndmask_b32_e64 v86, 0, 1, vcc_lo
	v_add_co_ci_u32_e64 v99, null, 0, v22, vcc_lo
	v_lshrrev_b32_e32 v87, v86, v87
; %bb.6933:                             ;   in Loop: Header=BB6_6037 Depth=3
	s_andn2_saveexec_b32 s16, s16
; %bb.6934:                             ;   in Loop: Header=BB6_6037 Depth=3
	v_bfe_u32 v99, v87, 23, 1
; %bb.6935:                             ;   in Loop: Header=BB6_6037 Depth=3
	s_or_b32 exec_lo, exec_lo, s16
	v_lshrrev_b32_e32 v86, 21, v87
	v_min_i32_e32 v87, 31, v99
	v_cmp_gt_i32_e32 vcc_lo, 32, v99
	v_and_b32_sdwa v22, v98, v60 dst_sel:DWORD dst_unused:UNUSED_PAD src0_sel:BYTE_3 src1_sel:DWORD
	v_lshlrev_b32_e32 v87, 2, v87
	v_cndmask_b32_e32 v86, 3, v86, vcc_lo
	v_and_b32_e32 v87, 0xfc, v87
	v_or_b32_e32 v98, v99, v86
	v_and_b32_e32 v86, 3, v86
	v_cmp_ne_u32_e32 vcc_lo, 0, v98
	v_or3_b32 v22, v87, v22, v86
	v_cndmask_b32_e32 v22, 0, v22, vcc_lo
.LBB6_6936:                             ;   in Loop: Header=BB6_6037 Depth=3
	s_or_b32 exec_lo, exec_lo, s22
.LBB6_6937:                             ;   in Loop: Header=BB6_6037 Depth=3
	s_or_b32 exec_lo, exec_lo, s19
	v_cmp_gt_i16_sdwa s19, v23, v59 src0_sel:BYTE_1 src1_sel:DWORD
	s_mov_b32 s16, 0
	s_and_saveexec_b32 s22, s19
	s_xor_b32 s19, exec_lo, s22
	s_cbranch_execz .LBB6_7495
; %bb.6938:                             ;   in Loop: Header=BB6_6037 Depth=3
	v_cmp_eq_u16_sdwa s23, v23, v60 src0_sel:BYTE_1 src1_sel:DWORD
	s_mov_b32 s16, -1
	s_and_saveexec_b32 s22, s23
; %bb.6939:                             ;   in Loop: Header=BB6_6037 Depth=3
	s_xor_b32 s16, exec_lo, -1
; %bb.6940:                             ;   in Loop: Header=BB6_6037 Depth=3
	s_or_b32 exec_lo, exec_lo, s22
	s_and_b32 s16, s16, exec_lo
	s_or_saveexec_b32 s19, s19
	v_mov_b32_e32 v86, 0x7f800001
	s_xor_b32 exec_lo, exec_lo, s19
	s_cbranch_execnz .LBB6_7496
.LBB6_6941:                             ;   in Loop: Header=BB6_6037 Depth=3
	s_or_b32 exec_lo, exec_lo, s19
	s_and_saveexec_b32 s19, s16
	s_cbranch_execz .LBB6_6943
.LBB6_6942:                             ;   in Loop: Header=BB6_6037 Depth=3
	v_and_b32_sdwa v86, v61, v23 dst_sel:DWORD dst_unused:UNUSED_PAD src0_sel:DWORD src1_sel:BYTE_1
	v_and_b32_e32 v87, 3, v86
	v_bfe_u32 v112, v86, 2, 5
	v_ffbh_u32_e32 v98, v87
	v_cmp_eq_u32_e32 vcc_lo, 0, v112
	v_min_u32_e32 v98, 32, v98
	v_subrev_nc_u32_e32 v99, 29, v98
	v_sub_nc_u32_e32 v98, 30, v98
	v_lshlrev_b32_e32 v86, v99, v86
	v_lshlrev_b32_sdwa v99, v62, v23 dst_sel:DWORD dst_unused:UNUSED_PAD src0_sel:DWORD src1_sel:BYTE_1
	v_cndmask_b32_e32 v98, v112, v98, vcc_lo
	v_and_b32_e32 v86, 3, v86
	v_lshl_add_u32 v98, v98, 23, 0x37800000
	v_cndmask_b32_e32 v86, v87, v86, vcc_lo
	v_and_b32_e32 v87, 0x80000000, v99
	v_lshlrev_b32_e32 v86, 21, v86
	v_or3_b32 v86, v87, v98, v86
.LBB6_6943:                             ;   in Loop: Header=BB6_6037 Depth=3
	s_or_b32 exec_lo, exec_lo, s19
	v_cmp_gt_i16_sdwa s19, v19, v59 src0_sel:BYTE_1 src1_sel:DWORD
	s_mov_b32 s16, 0
	s_and_saveexec_b32 s22, s19
	s_xor_b32 s19, exec_lo, s22
	s_cbranch_execz .LBB6_7497
; %bb.6944:                             ;   in Loop: Header=BB6_6037 Depth=3
	v_cmp_eq_u16_sdwa s23, v19, v60 src0_sel:BYTE_1 src1_sel:DWORD
	s_mov_b32 s16, -1
	s_and_saveexec_b32 s22, s23
; %bb.6945:                             ;   in Loop: Header=BB6_6037 Depth=3
	s_xor_b32 s16, exec_lo, -1
; %bb.6946:                             ;   in Loop: Header=BB6_6037 Depth=3
	s_or_b32 exec_lo, exec_lo, s22
	s_and_b32 s16, s16, exec_lo
	s_or_saveexec_b32 s19, s19
	v_mov_b32_e32 v87, 0x7f800001
	s_xor_b32 exec_lo, exec_lo, s19
	s_cbranch_execnz .LBB6_7498
.LBB6_6947:                             ;   in Loop: Header=BB6_6037 Depth=3
	s_or_b32 exec_lo, exec_lo, s19
	s_and_saveexec_b32 s19, s16
	s_cbranch_execz .LBB6_6949
.LBB6_6948:                             ;   in Loop: Header=BB6_6037 Depth=3
	v_and_b32_sdwa v87, v61, v19 dst_sel:DWORD dst_unused:UNUSED_PAD src0_sel:DWORD src1_sel:BYTE_1
	v_and_b32_e32 v98, 3, v87
	v_bfe_u32 v113, v87, 2, 5
	v_ffbh_u32_e32 v99, v98
	v_cmp_eq_u32_e32 vcc_lo, 0, v113
	v_min_u32_e32 v99, 32, v99
	v_subrev_nc_u32_e32 v112, 29, v99
	v_sub_nc_u32_e32 v99, 30, v99
	v_lshlrev_b32_e32 v87, v112, v87
	v_lshlrev_b32_sdwa v112, v62, v19 dst_sel:DWORD dst_unused:UNUSED_PAD src0_sel:DWORD src1_sel:BYTE_1
	v_cndmask_b32_e32 v99, v113, v99, vcc_lo
	v_and_b32_e32 v87, 3, v87
	v_lshl_add_u32 v99, v99, 23, 0x37800000
	v_cndmask_b32_e32 v87, v98, v87, vcc_lo
	v_and_b32_e32 v98, 0x80000000, v112
	v_lshlrev_b32_e32 v87, 21, v87
	v_or3_b32 v87, v98, v99, v87
.LBB6_6949:                             ;   in Loop: Header=BB6_6037 Depth=3
	s_or_b32 exec_lo, exec_lo, s19
	v_mul_f32_e32 v98, v86, v87
	v_mov_b32_e32 v91, 0x8000
	s_mov_b32 s19, exec_lo
	v_and_b32_e32 v86, 0x7f800000, v98
	v_cmpx_ne_u32_e32 0x7f800000, v86
	s_cbranch_execz .LBB6_6957
; %bb.6950:                             ;   in Loop: Header=BB6_6037 Depth=3
	v_mov_b32_e32 v91, 0
	s_mov_b32 s22, exec_lo
	v_cmpx_ne_u32_e32 0, v98
	s_cbranch_execz .LBB6_6956
; %bb.6951:                             ;   in Loop: Header=BB6_6037 Depth=3
	v_bfe_u32 v87, v98, 23, 8
	v_and_b32_e32 v86, 0x7fffff, v98
	v_cmp_gt_u32_e64 s16, 0x71, v87
	v_sub_nc_u32_e32 v99, 0x70, v87
	v_cmp_eq_u32_e32 vcc_lo, 0, v87
	v_or_b32_e32 v112, 0x800000, v86
	v_cndmask_b32_e64 v99, 0, v99, s16
	v_cndmask_b32_e32 v86, v112, v86, vcc_lo
	v_cndmask_b32_e64 v99, v99, 0x6f, vcc_lo
	v_lshl_add_u32 v112, 0x200000, v99, -1
	v_lshlrev_b32_e64 v113, v99, 0x100000
	v_and_b32_e32 v112, v112, v86
	v_cmp_eq_u32_e64 s16, v112, v113
	v_lshrrev_b32_e32 v112, v99, v86
	v_add_nc_u32_e32 v86, 0xffffff91, v87
	v_lshrrev_b32_e32 v87, 23, v112
	v_cndmask_b32_e64 v86, v86, 0xffffff92, vcc_lo
	v_xor_b32_e32 v87, 1, v87
	v_add_nc_u32_e32 v86, v99, v86
	v_bfe_u32 v99, v112, 21, 1
	v_add_nc_u32_e32 v99, -1, v99
	v_cndmask_b32_e64 v99, 0, v99, s16
	s_mov_b32 s16, exec_lo
	v_add_nc_u32_e32 v99, v99, v112
	v_and_b32_e32 v99, 0x1fffff, v99
	v_add_nc_u32_e32 v99, v99, v112
                                        ; implicit-def: $vgpr112
	v_cmpx_ne_u32_e64 v86, v87
	s_xor_b32 s16, exec_lo, s16
; %bb.6952:                             ;   in Loop: Header=BB6_6037 Depth=3
	v_cmp_lt_u32_e32 vcc_lo, 0xffffff, v99
	v_sub_nc_u32_e32 v86, v86, v87
	v_cndmask_b32_e64 v87, 0, 1, vcc_lo
	v_add_co_ci_u32_e64 v112, null, 0, v86, vcc_lo
	v_lshrrev_b32_e32 v99, v87, v99
; %bb.6953:                             ;   in Loop: Header=BB6_6037 Depth=3
	s_andn2_saveexec_b32 s16, s16
; %bb.6954:                             ;   in Loop: Header=BB6_6037 Depth=3
	v_bfe_u32 v112, v99, 23, 1
; %bb.6955:                             ;   in Loop: Header=BB6_6037 Depth=3
	s_or_b32 exec_lo, exec_lo, s16
	v_and_b32_sdwa v86, v98, v60 dst_sel:DWORD dst_unused:UNUSED_PAD src0_sel:BYTE_3 src1_sel:DWORD
	v_lshrrev_b32_e32 v87, 21, v99
	v_min_i32_e32 v98, 31, v112
	v_cmp_gt_i32_e32 vcc_lo, 32, v112
	v_lshlrev_b32_e32 v98, 2, v98
	v_cndmask_b32_e32 v87, 3, v87, vcc_lo
	v_and_b32_e32 v98, 0xfc, v98
	v_or_b32_e32 v99, v112, v87
	v_and_b32_e32 v87, 3, v87
	v_cmp_ne_u32_e32 vcc_lo, 0, v99
	v_or3_b32 v86, v86, v98, v87
	v_lshlrev_b32_e32 v86, 8, v86
	v_cndmask_b32_e32 v91, 0, v86, vcc_lo
.LBB6_6956:                             ;   in Loop: Header=BB6_6037 Depth=3
	s_or_b32 exec_lo, exec_lo, s22
.LBB6_6957:                             ;   in Loop: Header=BB6_6037 Depth=3
	s_or_b32 exec_lo, exec_lo, s19
	v_and_b32_sdwa v87, v23, v63 dst_sel:DWORD dst_unused:UNUSED_PAD src0_sel:WORD_1 src1_sel:DWORD
	s_mov_b32 s19, 0
	s_mov_b32 s16, exec_lo
	v_cmpx_lt_i16_e32 0x7f, v87
	s_xor_b32 s16, exec_lo, s16
	s_cbranch_execz .LBB6_7499
; %bb.6958:                             ;   in Loop: Header=BB6_6037 Depth=3
	s_mov_b32 s19, -1
	s_mov_b32 s22, exec_lo
	v_cmpx_eq_u16_e32 0x80, v87
; %bb.6959:                             ;   in Loop: Header=BB6_6037 Depth=3
	s_xor_b32 s19, exec_lo, -1
; %bb.6960:                             ;   in Loop: Header=BB6_6037 Depth=3
	s_or_b32 exec_lo, exec_lo, s22
	s_and_b32 s19, s19, exec_lo
                                        ; implicit-def: $vgpr87
	s_or_saveexec_b32 s16, s16
	v_mov_b32_e32 v86, 0x7f800001
	s_xor_b32 exec_lo, exec_lo, s16
	s_cbranch_execnz .LBB6_7500
.LBB6_6961:                             ;   in Loop: Header=BB6_6037 Depth=3
	s_or_b32 exec_lo, exec_lo, s16
	s_and_saveexec_b32 s16, s19
	s_cbranch_execz .LBB6_6963
.LBB6_6962:                             ;   in Loop: Header=BB6_6037 Depth=3
	v_bfe_u32 v86, v23, 16, 2
	v_bfe_u32 v87, v23, 18, 5
	v_ffbh_u32_e32 v98, v86
	v_cmp_eq_u32_e32 vcc_lo, 0, v87
	v_min_u32_e32 v98, 32, v98
	v_subrev_nc_u32_e32 v99, 29, v98
	v_sub_nc_u32_e32 v98, 30, v98
	v_lshlrev_b32_sdwa v99, v99, v23 dst_sel:DWORD dst_unused:UNUSED_PAD src0_sel:DWORD src1_sel:WORD_1
	v_cndmask_b32_e32 v87, v87, v98, vcc_lo
	v_lshlrev_b32_e32 v98, 8, v23
	v_and_b32_e32 v99, 3, v99
	v_lshl_add_u32 v87, v87, 23, 0x37800000
	v_and_b32_e32 v98, 0x80000000, v98
	v_cndmask_b32_e32 v86, v86, v99, vcc_lo
	v_lshlrev_b32_e32 v86, 21, v86
	v_or3_b32 v86, v98, v87, v86
.LBB6_6963:                             ;   in Loop: Header=BB6_6037 Depth=3
	s_or_b32 exec_lo, exec_lo, s16
	v_and_b32_sdwa v98, v19, v63 dst_sel:DWORD dst_unused:UNUSED_PAD src0_sel:WORD_1 src1_sel:DWORD
	s_mov_b32 s19, 0
	s_mov_b32 s16, exec_lo
	v_cmpx_lt_i16_e32 0x7f, v98
	s_xor_b32 s16, exec_lo, s16
	s_cbranch_execz .LBB6_7501
; %bb.6964:                             ;   in Loop: Header=BB6_6037 Depth=3
	s_mov_b32 s19, -1
	s_mov_b32 s22, exec_lo
	v_cmpx_eq_u16_e32 0x80, v98
; %bb.6965:                             ;   in Loop: Header=BB6_6037 Depth=3
	s_xor_b32 s19, exec_lo, -1
; %bb.6966:                             ;   in Loop: Header=BB6_6037 Depth=3
	s_or_b32 exec_lo, exec_lo, s22
	s_and_b32 s19, s19, exec_lo
                                        ; implicit-def: $vgpr98
	s_or_saveexec_b32 s16, s16
	v_mov_b32_e32 v87, 0x7f800001
	s_xor_b32 exec_lo, exec_lo, s16
	s_cbranch_execnz .LBB6_7502
.LBB6_6967:                             ;   in Loop: Header=BB6_6037 Depth=3
	s_or_b32 exec_lo, exec_lo, s16
	s_and_saveexec_b32 s16, s19
	s_cbranch_execz .LBB6_6969
.LBB6_6968:                             ;   in Loop: Header=BB6_6037 Depth=3
	v_bfe_u32 v87, v19, 16, 2
	v_bfe_u32 v98, v19, 18, 5
	v_ffbh_u32_e32 v99, v87
	v_cmp_eq_u32_e32 vcc_lo, 0, v98
	v_min_u32_e32 v99, 32, v99
	v_subrev_nc_u32_e32 v112, 29, v99
	v_sub_nc_u32_e32 v99, 30, v99
	v_lshlrev_b32_sdwa v112, v112, v19 dst_sel:DWORD dst_unused:UNUSED_PAD src0_sel:DWORD src1_sel:WORD_1
	v_cndmask_b32_e32 v98, v98, v99, vcc_lo
	v_lshlrev_b32_e32 v99, 8, v19
	v_and_b32_e32 v112, 3, v112
	v_lshl_add_u32 v98, v98, 23, 0x37800000
	v_and_b32_e32 v99, 0x80000000, v99
	v_cndmask_b32_e32 v87, v87, v112, vcc_lo
	v_lshlrev_b32_e32 v87, 21, v87
	v_or3_b32 v87, v99, v98, v87
.LBB6_6969:                             ;   in Loop: Header=BB6_6037 Depth=3
	s_or_b32 exec_lo, exec_lo, s16
	v_mul_f32_e32 v98, v86, v87
	v_mov_b32_e32 v107, 0x80
	s_mov_b32 s19, exec_lo
	v_and_b32_e32 v86, 0x7f800000, v98
	v_cmpx_ne_u32_e32 0x7f800000, v86
	s_cbranch_execz .LBB6_6977
; %bb.6970:                             ;   in Loop: Header=BB6_6037 Depth=3
	v_mov_b32_e32 v107, 0
	s_mov_b32 s22, exec_lo
	v_cmpx_ne_u32_e32 0, v98
	s_cbranch_execz .LBB6_6976
; %bb.6971:                             ;   in Loop: Header=BB6_6037 Depth=3
	v_bfe_u32 v87, v98, 23, 8
	v_and_b32_e32 v86, 0x7fffff, v98
	v_cmp_gt_u32_e64 s16, 0x71, v87
	v_sub_nc_u32_e32 v99, 0x70, v87
	v_cmp_eq_u32_e32 vcc_lo, 0, v87
	v_or_b32_e32 v112, 0x800000, v86
	v_cndmask_b32_e64 v99, 0, v99, s16
	v_cndmask_b32_e32 v86, v112, v86, vcc_lo
	v_cndmask_b32_e64 v99, v99, 0x6f, vcc_lo
	v_lshl_add_u32 v112, 0x200000, v99, -1
	v_lshlrev_b32_e64 v113, v99, 0x100000
	v_and_b32_e32 v112, v112, v86
	v_cmp_eq_u32_e64 s16, v112, v113
	v_lshrrev_b32_e32 v112, v99, v86
	v_add_nc_u32_e32 v86, 0xffffff91, v87
	v_lshrrev_b32_e32 v87, 23, v112
	v_cndmask_b32_e64 v86, v86, 0xffffff92, vcc_lo
	v_xor_b32_e32 v87, 1, v87
	v_add_nc_u32_e32 v86, v99, v86
	v_bfe_u32 v99, v112, 21, 1
	v_add_nc_u32_e32 v99, -1, v99
	v_cndmask_b32_e64 v99, 0, v99, s16
	s_mov_b32 s16, exec_lo
	v_add_nc_u32_e32 v99, v99, v112
	v_and_b32_e32 v99, 0x1fffff, v99
	v_add_nc_u32_e32 v99, v99, v112
                                        ; implicit-def: $vgpr112
	v_cmpx_ne_u32_e64 v86, v87
	s_xor_b32 s16, exec_lo, s16
; %bb.6972:                             ;   in Loop: Header=BB6_6037 Depth=3
	v_cmp_lt_u32_e32 vcc_lo, 0xffffff, v99
	v_sub_nc_u32_e32 v86, v86, v87
	v_cndmask_b32_e64 v87, 0, 1, vcc_lo
	v_add_co_ci_u32_e64 v112, null, 0, v86, vcc_lo
	v_lshrrev_b32_e32 v99, v87, v99
; %bb.6973:                             ;   in Loop: Header=BB6_6037 Depth=3
	s_andn2_saveexec_b32 s16, s16
; %bb.6974:                             ;   in Loop: Header=BB6_6037 Depth=3
	v_bfe_u32 v112, v99, 23, 1
; %bb.6975:                             ;   in Loop: Header=BB6_6037 Depth=3
	s_or_b32 exec_lo, exec_lo, s16
	v_and_b32_sdwa v86, v98, v60 dst_sel:DWORD dst_unused:UNUSED_PAD src0_sel:BYTE_3 src1_sel:DWORD
	v_lshrrev_b32_e32 v87, 21, v99
	v_min_i32_e32 v98, 31, v112
	v_cmp_gt_i32_e32 vcc_lo, 32, v112
	v_lshlrev_b32_e32 v98, 2, v98
	v_cndmask_b32_e32 v87, 3, v87, vcc_lo
	v_and_b32_e32 v98, 0xfc, v98
	v_or_b32_e32 v99, v112, v87
	v_and_b32_e32 v87, 3, v87
	v_cmp_ne_u32_e32 vcc_lo, 0, v99
	v_or3_b32 v86, v98, v86, v87
	v_cndmask_b32_e32 v107, 0, v86, vcc_lo
.LBB6_6976:                             ;   in Loop: Header=BB6_6037 Depth=3
	s_or_b32 exec_lo, exec_lo, s22
.LBB6_6977:                             ;   in Loop: Header=BB6_6037 Depth=3
	s_or_b32 exec_lo, exec_lo, s19
	v_cmp_gt_i16_sdwa s19, v23, v59 src0_sel:BYTE_3 src1_sel:DWORD
	s_mov_b32 s16, 0
	s_and_saveexec_b32 s22, s19
	s_xor_b32 s19, exec_lo, s22
	s_cbranch_execz .LBB6_7503
; %bb.6978:                             ;   in Loop: Header=BB6_6037 Depth=3
	v_cmp_eq_u16_sdwa s23, v23, v60 src0_sel:BYTE_3 src1_sel:DWORD
	s_mov_b32 s16, -1
	s_and_saveexec_b32 s22, s23
; %bb.6979:                             ;   in Loop: Header=BB6_6037 Depth=3
	s_xor_b32 s16, exec_lo, -1
; %bb.6980:                             ;   in Loop: Header=BB6_6037 Depth=3
	s_or_b32 exec_lo, exec_lo, s22
	s_and_b32 s16, s16, exec_lo
	s_or_saveexec_b32 s19, s19
	v_mov_b32_e32 v86, 0x7f800001
	s_xor_b32 exec_lo, exec_lo, s19
	s_cbranch_execnz .LBB6_7504
.LBB6_6981:                             ;   in Loop: Header=BB6_6037 Depth=3
	s_or_b32 exec_lo, exec_lo, s19
	s_and_saveexec_b32 s19, s16
	s_cbranch_execz .LBB6_6983
.LBB6_6982:                             ;   in Loop: Header=BB6_6037 Depth=3
	v_bfe_u32 v86, v23, 24, 2
	v_bfe_u32 v99, v23, 26, 5
	v_ffbh_u32_e32 v87, v86
	v_cmp_eq_u32_e32 vcc_lo, 0, v99
	v_min_u32_e32 v87, 32, v87
	v_subrev_nc_u32_e32 v98, 29, v87
	v_sub_nc_u32_e32 v87, 30, v87
	v_lshlrev_b32_sdwa v98, v98, v23 dst_sel:DWORD dst_unused:UNUSED_PAD src0_sel:DWORD src1_sel:BYTE_3
	v_cndmask_b32_e32 v87, v99, v87, vcc_lo
	v_and_b32_e32 v23, 0x80000000, v23
	v_and_b32_e32 v98, 3, v98
	v_lshl_add_u32 v87, v87, 23, 0x37800000
	v_cndmask_b32_e32 v86, v86, v98, vcc_lo
	v_lshlrev_b32_e32 v86, 21, v86
	v_or3_b32 v86, v23, v87, v86
.LBB6_6983:                             ;   in Loop: Header=BB6_6037 Depth=3
	s_or_b32 exec_lo, exec_lo, s19
	v_cmp_gt_i16_sdwa s19, v19, v59 src0_sel:BYTE_3 src1_sel:DWORD
	s_mov_b32 s16, 0
	s_and_saveexec_b32 s22, s19
	s_xor_b32 s19, exec_lo, s22
	s_cbranch_execz .LBB6_7505
; %bb.6984:                             ;   in Loop: Header=BB6_6037 Depth=3
	v_cmp_eq_u16_sdwa s23, v19, v60 src0_sel:BYTE_3 src1_sel:DWORD
	s_mov_b32 s16, -1
	s_and_saveexec_b32 s22, s23
; %bb.6985:                             ;   in Loop: Header=BB6_6037 Depth=3
	s_xor_b32 s16, exec_lo, -1
; %bb.6986:                             ;   in Loop: Header=BB6_6037 Depth=3
	s_or_b32 exec_lo, exec_lo, s22
	s_and_b32 s16, s16, exec_lo
	s_or_saveexec_b32 s19, s19
	v_mov_b32_e32 v23, 0x7f800001
	s_xor_b32 exec_lo, exec_lo, s19
	s_cbranch_execnz .LBB6_7506
.LBB6_6987:                             ;   in Loop: Header=BB6_6037 Depth=3
	s_or_b32 exec_lo, exec_lo, s19
	s_and_saveexec_b32 s19, s16
	s_cbranch_execz .LBB6_6989
.LBB6_6988:                             ;   in Loop: Header=BB6_6037 Depth=3
	v_bfe_u32 v23, v19, 24, 2
	v_bfe_u32 v99, v19, 26, 5
	v_ffbh_u32_e32 v87, v23
	v_cmp_eq_u32_e32 vcc_lo, 0, v99
	v_min_u32_e32 v87, 32, v87
	v_subrev_nc_u32_e32 v98, 29, v87
	v_sub_nc_u32_e32 v87, 30, v87
	v_lshlrev_b32_sdwa v98, v98, v19 dst_sel:DWORD dst_unused:UNUSED_PAD src0_sel:DWORD src1_sel:BYTE_3
	v_cndmask_b32_e32 v87, v99, v87, vcc_lo
	v_and_b32_e32 v19, 0x80000000, v19
	v_and_b32_e32 v98, 3, v98
	v_lshl_add_u32 v87, v87, 23, 0x37800000
	v_cndmask_b32_e32 v23, v23, v98, vcc_lo
	v_lshlrev_b32_e32 v23, 21, v23
	v_or3_b32 v23, v19, v87, v23
.LBB6_6989:                             ;   in Loop: Header=BB6_6037 Depth=3
	s_or_b32 exec_lo, exec_lo, s19
	v_mul_f32_e32 v23, v86, v23
	v_and_b32_e32 v19, 0x7f800000, v23
	v_cmp_ne_u32_e32 vcc_lo, 0x7f800000, v19
	v_mov_b32_e32 v19, 0x8000
	s_and_saveexec_b32 s19, vcc_lo
	s_cbranch_execz .LBB6_6997
; %bb.6990:                             ;   in Loop: Header=BB6_6037 Depth=3
	v_mov_b32_e32 v19, 0
	s_mov_b32 s22, exec_lo
	v_cmpx_ne_u32_e32 0, v23
	s_cbranch_execz .LBB6_6996
; %bb.6991:                             ;   in Loop: Header=BB6_6037 Depth=3
	v_bfe_u32 v86, v23, 23, 8
	v_and_b32_e32 v19, 0x7fffff, v23
	v_cmp_gt_u32_e64 s16, 0x71, v86
	v_sub_nc_u32_e32 v87, 0x70, v86
	v_cmp_eq_u32_e32 vcc_lo, 0, v86
	v_or_b32_e32 v98, 0x800000, v19
	v_cndmask_b32_e64 v87, 0, v87, s16
	v_cndmask_b32_e32 v19, v98, v19, vcc_lo
	v_cndmask_b32_e64 v87, v87, 0x6f, vcc_lo
	v_lshl_add_u32 v98, 0x200000, v87, -1
	v_lshlrev_b32_e64 v99, v87, 0x100000
	v_and_b32_e32 v98, v98, v19
	v_cmp_eq_u32_e64 s16, v98, v99
	v_lshrrev_b32_e32 v98, v87, v19
	v_add_nc_u32_e32 v19, 0xffffff91, v86
	v_lshrrev_b32_e32 v86, 23, v98
	v_cndmask_b32_e64 v19, v19, 0xffffff92, vcc_lo
	v_xor_b32_e32 v86, 1, v86
	v_add_nc_u32_e32 v19, v87, v19
	v_bfe_u32 v87, v98, 21, 1
	v_add_nc_u32_e32 v87, -1, v87
	v_cndmask_b32_e64 v87, 0, v87, s16
	s_mov_b32 s16, exec_lo
	v_add_nc_u32_e32 v87, v87, v98
	v_and_b32_e32 v87, 0x1fffff, v87
	v_add_nc_u32_e32 v87, v87, v98
                                        ; implicit-def: $vgpr98
	v_cmpx_ne_u32_e64 v19, v86
	s_xor_b32 s16, exec_lo, s16
; %bb.6992:                             ;   in Loop: Header=BB6_6037 Depth=3
	v_cmp_lt_u32_e32 vcc_lo, 0xffffff, v87
	v_sub_nc_u32_e32 v19, v19, v86
	v_cndmask_b32_e64 v86, 0, 1, vcc_lo
	v_add_co_ci_u32_e64 v98, null, 0, v19, vcc_lo
	v_lshrrev_b32_e32 v87, v86, v87
; %bb.6993:                             ;   in Loop: Header=BB6_6037 Depth=3
	s_andn2_saveexec_b32 s16, s16
; %bb.6994:                             ;   in Loop: Header=BB6_6037 Depth=3
	v_bfe_u32 v98, v87, 23, 1
; %bb.6995:                             ;   in Loop: Header=BB6_6037 Depth=3
	s_or_b32 exec_lo, exec_lo, s16
	v_and_b32_sdwa v19, v23, v60 dst_sel:DWORD dst_unused:UNUSED_PAD src0_sel:BYTE_3 src1_sel:DWORD
	v_lshrrev_b32_e32 v23, 21, v87
	v_min_i32_e32 v86, 31, v98
	v_cmp_gt_i32_e32 vcc_lo, 32, v98
	v_lshlrev_b32_e32 v86, 2, v86
	v_cndmask_b32_e32 v23, 3, v23, vcc_lo
	v_and_b32_e32 v86, 0xfc, v86
	v_or_b32_e32 v87, v98, v23
	v_and_b32_e32 v23, 3, v23
	v_cmp_ne_u32_e32 vcc_lo, 0, v87
	v_or3_b32 v19, v19, v86, v23
	v_lshlrev_b32_e32 v19, 8, v19
	v_cndmask_b32_e32 v19, 0, v19, vcc_lo
.LBB6_6996:                             ;   in Loop: Header=BB6_6037 Depth=3
	s_or_b32 exec_lo, exec_lo, s22
.LBB6_6997:                             ;   in Loop: Header=BB6_6037 Depth=3
	s_or_b32 exec_lo, exec_lo, s19
	v_cmp_gt_i16_sdwa s16, v12, v59 src0_sel:BYTE_0 src1_sel:DWORD
	s_mov_b32 s19, 0
	s_and_saveexec_b32 s22, s16
	s_xor_b32 s16, exec_lo, s22
	s_cbranch_execz .LBB6_7507
; %bb.6998:                             ;   in Loop: Header=BB6_6037 Depth=3
	v_cmp_eq_u16_sdwa s23, v12, v60 src0_sel:BYTE_0 src1_sel:DWORD
	s_mov_b32 s19, -1
	s_and_saveexec_b32 s22, s23
; %bb.6999:                             ;   in Loop: Header=BB6_6037 Depth=3
	s_xor_b32 s19, exec_lo, -1
; %bb.7000:                             ;   in Loop: Header=BB6_6037 Depth=3
	s_or_b32 exec_lo, exec_lo, s22
	s_and_b32 s19, s19, exec_lo
	s_or_saveexec_b32 s16, s16
	v_mov_b32_e32 v23, 0x7f800001
	s_xor_b32 exec_lo, exec_lo, s16
	s_cbranch_execnz .LBB6_7508
.LBB6_7001:                             ;   in Loop: Header=BB6_6037 Depth=3
	s_or_b32 exec_lo, exec_lo, s16
	s_and_saveexec_b32 s16, s19
	s_cbranch_execz .LBB6_7003
.LBB6_7002:                             ;   in Loop: Header=BB6_6037 Depth=3
	v_and_b32_e32 v23, 3, v12
	v_bfe_u32 v86, v12, 2, 5
	v_ffbh_u32_e32 v87, v23
	v_cmp_eq_u32_e32 vcc_lo, 0, v86
	v_min_u32_e32 v87, 32, v87
	v_subrev_nc_u32_e32 v98, 29, v87
	v_sub_nc_u32_e32 v87, 30, v87
	v_lshlrev_b32_e32 v98, v98, v12
	v_cndmask_b32_e32 v86, v86, v87, vcc_lo
	v_lshlrev_b32_e32 v87, 24, v12
	v_and_b32_e32 v98, 3, v98
	v_lshl_add_u32 v86, v86, 23, 0x37800000
	v_and_b32_e32 v87, 0x80000000, v87
	v_cndmask_b32_e32 v23, v23, v98, vcc_lo
	v_lshlrev_b32_e32 v23, 21, v23
	v_or3_b32 v23, v87, v86, v23
.LBB6_7003:                             ;   in Loop: Header=BB6_6037 Depth=3
	s_or_b32 exec_lo, exec_lo, s16
	s_waitcnt vmcnt(0)
	v_cmp_gt_i16_sdwa s16, v8, v59 src0_sel:BYTE_0 src1_sel:DWORD
	s_mov_b32 s19, 0
	s_and_saveexec_b32 s22, s16
	s_xor_b32 s16, exec_lo, s22
	s_cbranch_execz .LBB6_7509
; %bb.7004:                             ;   in Loop: Header=BB6_6037 Depth=3
	v_cmp_eq_u16_sdwa s23, v8, v60 src0_sel:BYTE_0 src1_sel:DWORD
	s_mov_b32 s19, -1
	s_and_saveexec_b32 s22, s23
; %bb.7005:                             ;   in Loop: Header=BB6_6037 Depth=3
	s_xor_b32 s19, exec_lo, -1
; %bb.7006:                             ;   in Loop: Header=BB6_6037 Depth=3
	s_or_b32 exec_lo, exec_lo, s22
	s_and_b32 s19, s19, exec_lo
	s_or_saveexec_b32 s16, s16
	v_mov_b32_e32 v86, 0x7f800001
	s_xor_b32 exec_lo, exec_lo, s16
	s_cbranch_execnz .LBB6_7510
.LBB6_7007:                             ;   in Loop: Header=BB6_6037 Depth=3
	s_or_b32 exec_lo, exec_lo, s16
	s_and_saveexec_b32 s16, s19
	s_cbranch_execz .LBB6_7009
.LBB6_7008:                             ;   in Loop: Header=BB6_6037 Depth=3
	v_and_b32_e32 v86, 3, v8
	v_bfe_u32 v87, v8, 2, 5
	v_ffbh_u32_e32 v98, v86
	v_cmp_eq_u32_e32 vcc_lo, 0, v87
	v_min_u32_e32 v98, 32, v98
	v_subrev_nc_u32_e32 v99, 29, v98
	v_sub_nc_u32_e32 v98, 30, v98
	v_lshlrev_b32_e32 v99, v99, v8
	v_cndmask_b32_e32 v87, v87, v98, vcc_lo
	v_lshlrev_b32_e32 v98, 24, v8
	v_and_b32_e32 v99, 3, v99
	v_lshl_add_u32 v87, v87, 23, 0x37800000
	v_and_b32_e32 v98, 0x80000000, v98
	v_cndmask_b32_e32 v86, v86, v99, vcc_lo
	v_lshlrev_b32_e32 v86, 21, v86
	v_or3_b32 v86, v98, v87, v86
.LBB6_7009:                             ;   in Loop: Header=BB6_6037 Depth=3
	s_or_b32 exec_lo, exec_lo, s16
	v_mul_f32_e32 v98, v23, v86
	v_and_b32_e32 v23, 0x7f800000, v98
	v_cmp_ne_u32_e32 vcc_lo, 0x7f800000, v23
	v_mov_b32_e32 v23, 0x80
	s_and_saveexec_b32 s19, vcc_lo
	s_cbranch_execz .LBB6_7017
; %bb.7010:                             ;   in Loop: Header=BB6_6037 Depth=3
	v_mov_b32_e32 v23, 0
	s_mov_b32 s22, exec_lo
	v_cmpx_ne_u32_e32 0, v98
	s_cbranch_execz .LBB6_7016
; %bb.7011:                             ;   in Loop: Header=BB6_6037 Depth=3
	v_bfe_u32 v86, v98, 23, 8
	v_and_b32_e32 v23, 0x7fffff, v98
	v_cmp_gt_u32_e64 s16, 0x71, v86
	v_sub_nc_u32_e32 v87, 0x70, v86
	v_cmp_eq_u32_e32 vcc_lo, 0, v86
	v_or_b32_e32 v99, 0x800000, v23
	v_cndmask_b32_e64 v87, 0, v87, s16
	v_cndmask_b32_e32 v23, v99, v23, vcc_lo
	v_cndmask_b32_e64 v87, v87, 0x6f, vcc_lo
	v_lshl_add_u32 v99, 0x200000, v87, -1
	v_lshlrev_b32_e64 v112, v87, 0x100000
	v_and_b32_e32 v99, v99, v23
	v_cmp_eq_u32_e64 s16, v99, v112
	v_lshrrev_b32_e32 v99, v87, v23
	v_add_nc_u32_e32 v23, 0xffffff91, v86
	v_lshrrev_b32_e32 v86, 23, v99
	v_cndmask_b32_e64 v23, v23, 0xffffff92, vcc_lo
	v_xor_b32_e32 v86, 1, v86
	v_add_nc_u32_e32 v23, v87, v23
	v_bfe_u32 v87, v99, 21, 1
	v_add_nc_u32_e32 v87, -1, v87
	v_cndmask_b32_e64 v87, 0, v87, s16
	s_mov_b32 s16, exec_lo
	v_add_nc_u32_e32 v87, v87, v99
	v_and_b32_e32 v87, 0x1fffff, v87
	v_add_nc_u32_e32 v87, v87, v99
                                        ; implicit-def: $vgpr99
	v_cmpx_ne_u32_e64 v23, v86
	s_xor_b32 s16, exec_lo, s16
; %bb.7012:                             ;   in Loop: Header=BB6_6037 Depth=3
	v_cmp_lt_u32_e32 vcc_lo, 0xffffff, v87
	v_sub_nc_u32_e32 v23, v23, v86
	v_cndmask_b32_e64 v86, 0, 1, vcc_lo
	v_add_co_ci_u32_e64 v99, null, 0, v23, vcc_lo
	v_lshrrev_b32_e32 v87, v86, v87
; %bb.7013:                             ;   in Loop: Header=BB6_6037 Depth=3
	s_andn2_saveexec_b32 s16, s16
; %bb.7014:                             ;   in Loop: Header=BB6_6037 Depth=3
	v_bfe_u32 v99, v87, 23, 1
; %bb.7015:                             ;   in Loop: Header=BB6_6037 Depth=3
	s_or_b32 exec_lo, exec_lo, s16
	v_lshrrev_b32_e32 v86, 21, v87
	v_min_i32_e32 v87, 31, v99
	v_cmp_gt_i32_e32 vcc_lo, 32, v99
	v_and_b32_sdwa v23, v98, v60 dst_sel:DWORD dst_unused:UNUSED_PAD src0_sel:BYTE_3 src1_sel:DWORD
	v_lshlrev_b32_e32 v87, 2, v87
	v_cndmask_b32_e32 v86, 3, v86, vcc_lo
	v_and_b32_e32 v87, 0xfc, v87
	v_or_b32_e32 v98, v99, v86
	v_and_b32_e32 v86, 3, v86
	v_cmp_ne_u32_e32 vcc_lo, 0, v98
	v_or3_b32 v23, v87, v23, v86
	v_cndmask_b32_e32 v23, 0, v23, vcc_lo
.LBB6_7016:                             ;   in Loop: Header=BB6_6037 Depth=3
	s_or_b32 exec_lo, exec_lo, s22
.LBB6_7017:                             ;   in Loop: Header=BB6_6037 Depth=3
	s_or_b32 exec_lo, exec_lo, s19
	v_cmp_gt_i16_sdwa s19, v12, v59 src0_sel:BYTE_1 src1_sel:DWORD
	s_mov_b32 s16, 0
	s_and_saveexec_b32 s22, s19
	s_xor_b32 s19, exec_lo, s22
	s_cbranch_execz .LBB6_7511
; %bb.7018:                             ;   in Loop: Header=BB6_6037 Depth=3
	v_cmp_eq_u16_sdwa s23, v12, v60 src0_sel:BYTE_1 src1_sel:DWORD
	s_mov_b32 s16, -1
	s_and_saveexec_b32 s22, s23
; %bb.7019:                             ;   in Loop: Header=BB6_6037 Depth=3
	s_xor_b32 s16, exec_lo, -1
; %bb.7020:                             ;   in Loop: Header=BB6_6037 Depth=3
	s_or_b32 exec_lo, exec_lo, s22
	s_and_b32 s16, s16, exec_lo
	s_or_saveexec_b32 s19, s19
	v_mov_b32_e32 v86, 0x7f800001
	s_xor_b32 exec_lo, exec_lo, s19
	s_cbranch_execnz .LBB6_7512
.LBB6_7021:                             ;   in Loop: Header=BB6_6037 Depth=3
	s_or_b32 exec_lo, exec_lo, s19
	s_and_saveexec_b32 s19, s16
	s_cbranch_execz .LBB6_7023
.LBB6_7022:                             ;   in Loop: Header=BB6_6037 Depth=3
	v_and_b32_sdwa v86, v61, v12 dst_sel:DWORD dst_unused:UNUSED_PAD src0_sel:DWORD src1_sel:BYTE_1
	v_and_b32_e32 v87, 3, v86
	v_bfe_u32 v112, v86, 2, 5
	v_ffbh_u32_e32 v98, v87
	v_cmp_eq_u32_e32 vcc_lo, 0, v112
	v_min_u32_e32 v98, 32, v98
	v_subrev_nc_u32_e32 v99, 29, v98
	v_sub_nc_u32_e32 v98, 30, v98
	v_lshlrev_b32_e32 v86, v99, v86
	v_lshlrev_b32_sdwa v99, v62, v12 dst_sel:DWORD dst_unused:UNUSED_PAD src0_sel:DWORD src1_sel:BYTE_1
	v_cndmask_b32_e32 v98, v112, v98, vcc_lo
	v_and_b32_e32 v86, 3, v86
	v_lshl_add_u32 v98, v98, 23, 0x37800000
	v_cndmask_b32_e32 v86, v87, v86, vcc_lo
	v_and_b32_e32 v87, 0x80000000, v99
	v_lshlrev_b32_e32 v86, 21, v86
	v_or3_b32 v86, v87, v98, v86
.LBB6_7023:                             ;   in Loop: Header=BB6_6037 Depth=3
	s_or_b32 exec_lo, exec_lo, s19
	v_cmp_gt_i16_sdwa s19, v8, v59 src0_sel:BYTE_1 src1_sel:DWORD
	s_mov_b32 s16, 0
	s_and_saveexec_b32 s22, s19
	s_xor_b32 s19, exec_lo, s22
	s_cbranch_execz .LBB6_7513
; %bb.7024:                             ;   in Loop: Header=BB6_6037 Depth=3
	v_cmp_eq_u16_sdwa s23, v8, v60 src0_sel:BYTE_1 src1_sel:DWORD
	s_mov_b32 s16, -1
	s_and_saveexec_b32 s22, s23
; %bb.7025:                             ;   in Loop: Header=BB6_6037 Depth=3
	s_xor_b32 s16, exec_lo, -1
; %bb.7026:                             ;   in Loop: Header=BB6_6037 Depth=3
	s_or_b32 exec_lo, exec_lo, s22
	s_and_b32 s16, s16, exec_lo
	s_or_saveexec_b32 s19, s19
	v_mov_b32_e32 v87, 0x7f800001
	s_xor_b32 exec_lo, exec_lo, s19
	s_cbranch_execnz .LBB6_7514
.LBB6_7027:                             ;   in Loop: Header=BB6_6037 Depth=3
	s_or_b32 exec_lo, exec_lo, s19
	s_and_saveexec_b32 s19, s16
	s_cbranch_execz .LBB6_7029
.LBB6_7028:                             ;   in Loop: Header=BB6_6037 Depth=3
	v_and_b32_sdwa v87, v61, v8 dst_sel:DWORD dst_unused:UNUSED_PAD src0_sel:DWORD src1_sel:BYTE_1
	v_and_b32_e32 v98, 3, v87
	v_bfe_u32 v113, v87, 2, 5
	v_ffbh_u32_e32 v99, v98
	v_cmp_eq_u32_e32 vcc_lo, 0, v113
	v_min_u32_e32 v99, 32, v99
	v_subrev_nc_u32_e32 v112, 29, v99
	v_sub_nc_u32_e32 v99, 30, v99
	v_lshlrev_b32_e32 v87, v112, v87
	v_lshlrev_b32_sdwa v112, v62, v8 dst_sel:DWORD dst_unused:UNUSED_PAD src0_sel:DWORD src1_sel:BYTE_1
	v_cndmask_b32_e32 v99, v113, v99, vcc_lo
	v_and_b32_e32 v87, 3, v87
	v_lshl_add_u32 v99, v99, 23, 0x37800000
	v_cndmask_b32_e32 v87, v98, v87, vcc_lo
	v_and_b32_e32 v98, 0x80000000, v112
	v_lshlrev_b32_e32 v87, 21, v87
	v_or3_b32 v87, v98, v99, v87
.LBB6_7029:                             ;   in Loop: Header=BB6_6037 Depth=3
	s_or_b32 exec_lo, exec_lo, s19
	v_mul_f32_e32 v98, v86, v87
	v_mov_b32_e32 v120, 0x8000
	s_mov_b32 s19, exec_lo
	v_and_b32_e32 v86, 0x7f800000, v98
	v_cmpx_ne_u32_e32 0x7f800000, v86
	s_cbranch_execz .LBB6_7037
; %bb.7030:                             ;   in Loop: Header=BB6_6037 Depth=3
	v_mov_b32_e32 v120, 0
	s_mov_b32 s22, exec_lo
	v_cmpx_ne_u32_e32 0, v98
	s_cbranch_execz .LBB6_7036
; %bb.7031:                             ;   in Loop: Header=BB6_6037 Depth=3
	v_bfe_u32 v87, v98, 23, 8
	v_and_b32_e32 v86, 0x7fffff, v98
	v_cmp_gt_u32_e64 s16, 0x71, v87
	v_sub_nc_u32_e32 v99, 0x70, v87
	v_cmp_eq_u32_e32 vcc_lo, 0, v87
	v_or_b32_e32 v112, 0x800000, v86
	v_cndmask_b32_e64 v99, 0, v99, s16
	v_cndmask_b32_e32 v86, v112, v86, vcc_lo
	v_cndmask_b32_e64 v99, v99, 0x6f, vcc_lo
	v_lshl_add_u32 v112, 0x200000, v99, -1
	v_lshlrev_b32_e64 v113, v99, 0x100000
	v_and_b32_e32 v112, v112, v86
	v_cmp_eq_u32_e64 s16, v112, v113
	v_lshrrev_b32_e32 v112, v99, v86
	v_add_nc_u32_e32 v86, 0xffffff91, v87
	v_lshrrev_b32_e32 v87, 23, v112
	v_cndmask_b32_e64 v86, v86, 0xffffff92, vcc_lo
	v_xor_b32_e32 v87, 1, v87
	v_add_nc_u32_e32 v86, v99, v86
	v_bfe_u32 v99, v112, 21, 1
	v_add_nc_u32_e32 v99, -1, v99
	v_cndmask_b32_e64 v99, 0, v99, s16
	s_mov_b32 s16, exec_lo
	v_add_nc_u32_e32 v99, v99, v112
	v_and_b32_e32 v99, 0x1fffff, v99
	v_add_nc_u32_e32 v99, v99, v112
                                        ; implicit-def: $vgpr112
	v_cmpx_ne_u32_e64 v86, v87
	s_xor_b32 s16, exec_lo, s16
; %bb.7032:                             ;   in Loop: Header=BB6_6037 Depth=3
	v_cmp_lt_u32_e32 vcc_lo, 0xffffff, v99
	v_sub_nc_u32_e32 v86, v86, v87
	v_cndmask_b32_e64 v87, 0, 1, vcc_lo
	v_add_co_ci_u32_e64 v112, null, 0, v86, vcc_lo
	v_lshrrev_b32_e32 v99, v87, v99
; %bb.7033:                             ;   in Loop: Header=BB6_6037 Depth=3
	s_andn2_saveexec_b32 s16, s16
; %bb.7034:                             ;   in Loop: Header=BB6_6037 Depth=3
	v_bfe_u32 v112, v99, 23, 1
; %bb.7035:                             ;   in Loop: Header=BB6_6037 Depth=3
	s_or_b32 exec_lo, exec_lo, s16
	v_and_b32_sdwa v86, v98, v60 dst_sel:DWORD dst_unused:UNUSED_PAD src0_sel:BYTE_3 src1_sel:DWORD
	v_lshrrev_b32_e32 v87, 21, v99
	v_min_i32_e32 v98, 31, v112
	v_cmp_gt_i32_e32 vcc_lo, 32, v112
	v_lshlrev_b32_e32 v98, 2, v98
	v_cndmask_b32_e32 v87, 3, v87, vcc_lo
	v_and_b32_e32 v98, 0xfc, v98
	v_or_b32_e32 v99, v112, v87
	v_and_b32_e32 v87, 3, v87
	v_cmp_ne_u32_e32 vcc_lo, 0, v99
	v_or3_b32 v86, v86, v98, v87
	v_lshlrev_b32_e32 v86, 8, v86
	v_cndmask_b32_e32 v120, 0, v86, vcc_lo
.LBB6_7036:                             ;   in Loop: Header=BB6_6037 Depth=3
	s_or_b32 exec_lo, exec_lo, s22
.LBB6_7037:                             ;   in Loop: Header=BB6_6037 Depth=3
	s_or_b32 exec_lo, exec_lo, s19
	v_and_b32_sdwa v87, v12, v63 dst_sel:DWORD dst_unused:UNUSED_PAD src0_sel:WORD_1 src1_sel:DWORD
	s_mov_b32 s19, 0
	s_mov_b32 s16, exec_lo
	v_cmpx_lt_i16_e32 0x7f, v87
	s_xor_b32 s16, exec_lo, s16
	s_cbranch_execz .LBB6_7515
; %bb.7038:                             ;   in Loop: Header=BB6_6037 Depth=3
	s_mov_b32 s19, -1
	s_mov_b32 s22, exec_lo
	v_cmpx_eq_u16_e32 0x80, v87
; %bb.7039:                             ;   in Loop: Header=BB6_6037 Depth=3
	s_xor_b32 s19, exec_lo, -1
; %bb.7040:                             ;   in Loop: Header=BB6_6037 Depth=3
	s_or_b32 exec_lo, exec_lo, s22
	s_and_b32 s19, s19, exec_lo
                                        ; implicit-def: $vgpr87
	s_or_saveexec_b32 s16, s16
	v_mov_b32_e32 v86, 0x7f800001
	s_xor_b32 exec_lo, exec_lo, s16
	s_cbranch_execnz .LBB6_7516
.LBB6_7041:                             ;   in Loop: Header=BB6_6037 Depth=3
	s_or_b32 exec_lo, exec_lo, s16
	s_and_saveexec_b32 s16, s19
	s_cbranch_execz .LBB6_7043
.LBB6_7042:                             ;   in Loop: Header=BB6_6037 Depth=3
	v_bfe_u32 v86, v12, 16, 2
	v_bfe_u32 v87, v12, 18, 5
	v_ffbh_u32_e32 v98, v86
	v_cmp_eq_u32_e32 vcc_lo, 0, v87
	v_min_u32_e32 v98, 32, v98
	v_subrev_nc_u32_e32 v99, 29, v98
	v_sub_nc_u32_e32 v98, 30, v98
	v_lshlrev_b32_sdwa v99, v99, v12 dst_sel:DWORD dst_unused:UNUSED_PAD src0_sel:DWORD src1_sel:WORD_1
	v_cndmask_b32_e32 v87, v87, v98, vcc_lo
	v_lshlrev_b32_e32 v98, 8, v12
	v_and_b32_e32 v99, 3, v99
	v_lshl_add_u32 v87, v87, 23, 0x37800000
	v_and_b32_e32 v98, 0x80000000, v98
	v_cndmask_b32_e32 v86, v86, v99, vcc_lo
	v_lshlrev_b32_e32 v86, 21, v86
	v_or3_b32 v86, v98, v87, v86
.LBB6_7043:                             ;   in Loop: Header=BB6_6037 Depth=3
	s_or_b32 exec_lo, exec_lo, s16
	v_and_b32_sdwa v98, v8, v63 dst_sel:DWORD dst_unused:UNUSED_PAD src0_sel:WORD_1 src1_sel:DWORD
	s_mov_b32 s19, 0
	s_mov_b32 s16, exec_lo
	v_cmpx_lt_i16_e32 0x7f, v98
	s_xor_b32 s16, exec_lo, s16
	s_cbranch_execz .LBB6_7517
; %bb.7044:                             ;   in Loop: Header=BB6_6037 Depth=3
	s_mov_b32 s19, -1
	s_mov_b32 s22, exec_lo
	v_cmpx_eq_u16_e32 0x80, v98
; %bb.7045:                             ;   in Loop: Header=BB6_6037 Depth=3
	s_xor_b32 s19, exec_lo, -1
; %bb.7046:                             ;   in Loop: Header=BB6_6037 Depth=3
	s_or_b32 exec_lo, exec_lo, s22
	s_and_b32 s19, s19, exec_lo
                                        ; implicit-def: $vgpr98
	s_or_saveexec_b32 s16, s16
	v_mov_b32_e32 v87, 0x7f800001
	s_xor_b32 exec_lo, exec_lo, s16
	s_cbranch_execnz .LBB6_7518
.LBB6_7047:                             ;   in Loop: Header=BB6_6037 Depth=3
	s_or_b32 exec_lo, exec_lo, s16
	s_and_saveexec_b32 s16, s19
	s_cbranch_execz .LBB6_7049
.LBB6_7048:                             ;   in Loop: Header=BB6_6037 Depth=3
	v_bfe_u32 v87, v8, 16, 2
	v_bfe_u32 v98, v8, 18, 5
	v_ffbh_u32_e32 v99, v87
	v_cmp_eq_u32_e32 vcc_lo, 0, v98
	v_min_u32_e32 v99, 32, v99
	v_subrev_nc_u32_e32 v112, 29, v99
	v_sub_nc_u32_e32 v99, 30, v99
	v_lshlrev_b32_sdwa v112, v112, v8 dst_sel:DWORD dst_unused:UNUSED_PAD src0_sel:DWORD src1_sel:WORD_1
	v_cndmask_b32_e32 v98, v98, v99, vcc_lo
	v_lshlrev_b32_e32 v99, 8, v8
	v_and_b32_e32 v112, 3, v112
	v_lshl_add_u32 v98, v98, 23, 0x37800000
	v_and_b32_e32 v99, 0x80000000, v99
	v_cndmask_b32_e32 v87, v87, v112, vcc_lo
	v_lshlrev_b32_e32 v87, 21, v87
	v_or3_b32 v87, v99, v98, v87
.LBB6_7049:                             ;   in Loop: Header=BB6_6037 Depth=3
	s_or_b32 exec_lo, exec_lo, s16
	v_mul_f32_e32 v99, v86, v87
	v_mov_b32_e32 v98, 0x80
	s_mov_b32 s19, exec_lo
	v_and_b32_e32 v86, 0x7f800000, v99
	v_cmpx_ne_u32_e32 0x7f800000, v86
	s_cbranch_execz .LBB6_7057
; %bb.7050:                             ;   in Loop: Header=BB6_6037 Depth=3
	v_mov_b32_e32 v98, 0
	s_mov_b32 s22, exec_lo
	v_cmpx_ne_u32_e32 0, v99
	s_cbranch_execz .LBB6_7056
; %bb.7051:                             ;   in Loop: Header=BB6_6037 Depth=3
	v_bfe_u32 v87, v99, 23, 8
	v_and_b32_e32 v86, 0x7fffff, v99
	v_cmp_gt_u32_e64 s16, 0x71, v87
	v_sub_nc_u32_e32 v98, 0x70, v87
	v_cmp_eq_u32_e32 vcc_lo, 0, v87
	v_or_b32_e32 v112, 0x800000, v86
	v_cndmask_b32_e64 v98, 0, v98, s16
	v_cndmask_b32_e32 v86, v112, v86, vcc_lo
	v_cndmask_b32_e64 v98, v98, 0x6f, vcc_lo
	v_lshl_add_u32 v112, 0x200000, v98, -1
	v_lshlrev_b32_e64 v113, v98, 0x100000
	v_and_b32_e32 v112, v112, v86
	v_cmp_eq_u32_e64 s16, v112, v113
	v_lshrrev_b32_e32 v112, v98, v86
	v_add_nc_u32_e32 v86, 0xffffff91, v87
	v_lshrrev_b32_e32 v87, 23, v112
	v_cndmask_b32_e64 v86, v86, 0xffffff92, vcc_lo
	v_xor_b32_e32 v87, 1, v87
	v_add_nc_u32_e32 v86, v98, v86
	v_bfe_u32 v98, v112, 21, 1
	v_add_nc_u32_e32 v98, -1, v98
	v_cndmask_b32_e64 v98, 0, v98, s16
	s_mov_b32 s16, exec_lo
	v_add_nc_u32_e32 v98, v98, v112
	v_and_b32_e32 v98, 0x1fffff, v98
	v_add_nc_u32_e32 v98, v98, v112
                                        ; implicit-def: $vgpr112
	v_cmpx_ne_u32_e64 v86, v87
	s_xor_b32 s16, exec_lo, s16
; %bb.7052:                             ;   in Loop: Header=BB6_6037 Depth=3
	v_cmp_lt_u32_e32 vcc_lo, 0xffffff, v98
	v_sub_nc_u32_e32 v86, v86, v87
	v_cndmask_b32_e64 v87, 0, 1, vcc_lo
	v_add_co_ci_u32_e64 v112, null, 0, v86, vcc_lo
	v_lshrrev_b32_e32 v98, v87, v98
; %bb.7053:                             ;   in Loop: Header=BB6_6037 Depth=3
	s_andn2_saveexec_b32 s16, s16
; %bb.7054:                             ;   in Loop: Header=BB6_6037 Depth=3
	v_bfe_u32 v112, v98, 23, 1
; %bb.7055:                             ;   in Loop: Header=BB6_6037 Depth=3
	s_or_b32 exec_lo, exec_lo, s16
	v_lshrrev_b32_e32 v87, 21, v98
	v_min_i32_e32 v98, 31, v112
	v_cmp_gt_i32_e32 vcc_lo, 32, v112
	v_and_b32_sdwa v86, v99, v60 dst_sel:DWORD dst_unused:UNUSED_PAD src0_sel:BYTE_3 src1_sel:DWORD
	v_lshlrev_b32_e32 v98, 2, v98
	v_cndmask_b32_e32 v87, 3, v87, vcc_lo
	v_and_b32_e32 v98, 0xfc, v98
	v_or_b32_e32 v99, v112, v87
	v_and_b32_e32 v87, 3, v87
	v_cmp_ne_u32_e32 vcc_lo, 0, v99
	v_or3_b32 v86, v98, v86, v87
	v_cndmask_b32_e32 v98, 0, v86, vcc_lo
.LBB6_7056:                             ;   in Loop: Header=BB6_6037 Depth=3
	s_or_b32 exec_lo, exec_lo, s22
.LBB6_7057:                             ;   in Loop: Header=BB6_6037 Depth=3
	s_or_b32 exec_lo, exec_lo, s19
	v_cmp_gt_i16_sdwa s19, v12, v59 src0_sel:BYTE_3 src1_sel:DWORD
	s_mov_b32 s16, 0
	s_and_saveexec_b32 s22, s19
	s_xor_b32 s19, exec_lo, s22
	s_cbranch_execz .LBB6_7519
; %bb.7058:                             ;   in Loop: Header=BB6_6037 Depth=3
	v_cmp_eq_u16_sdwa s23, v12, v60 src0_sel:BYTE_3 src1_sel:DWORD
	s_mov_b32 s16, -1
	s_and_saveexec_b32 s22, s23
; %bb.7059:                             ;   in Loop: Header=BB6_6037 Depth=3
	s_xor_b32 s16, exec_lo, -1
; %bb.7060:                             ;   in Loop: Header=BB6_6037 Depth=3
	s_or_b32 exec_lo, exec_lo, s22
	s_and_b32 s16, s16, exec_lo
	s_or_saveexec_b32 s19, s19
	v_mov_b32_e32 v86, 0x7f800001
	s_xor_b32 exec_lo, exec_lo, s19
	s_cbranch_execnz .LBB6_7520
.LBB6_7061:                             ;   in Loop: Header=BB6_6037 Depth=3
	s_or_b32 exec_lo, exec_lo, s19
	s_and_saveexec_b32 s19, s16
	s_cbranch_execz .LBB6_7063
.LBB6_7062:                             ;   in Loop: Header=BB6_6037 Depth=3
	v_bfe_u32 v86, v12, 24, 2
	v_bfe_u32 v112, v12, 26, 5
	v_ffbh_u32_e32 v87, v86
	v_cmp_eq_u32_e32 vcc_lo, 0, v112
	v_min_u32_e32 v87, 32, v87
	v_subrev_nc_u32_e32 v99, 29, v87
	v_sub_nc_u32_e32 v87, 30, v87
	v_lshlrev_b32_sdwa v99, v99, v12 dst_sel:DWORD dst_unused:UNUSED_PAD src0_sel:DWORD src1_sel:BYTE_3
	v_cndmask_b32_e32 v87, v112, v87, vcc_lo
	v_and_b32_e32 v12, 0x80000000, v12
	v_and_b32_e32 v99, 3, v99
	v_lshl_add_u32 v87, v87, 23, 0x37800000
	v_cndmask_b32_e32 v86, v86, v99, vcc_lo
	v_lshlrev_b32_e32 v86, 21, v86
	v_or3_b32 v86, v12, v87, v86
.LBB6_7063:                             ;   in Loop: Header=BB6_6037 Depth=3
	s_or_b32 exec_lo, exec_lo, s19
	v_cmp_gt_i16_sdwa s19, v8, v59 src0_sel:BYTE_3 src1_sel:DWORD
	s_mov_b32 s16, 0
	s_and_saveexec_b32 s22, s19
	s_xor_b32 s19, exec_lo, s22
	s_cbranch_execz .LBB6_7521
; %bb.7064:                             ;   in Loop: Header=BB6_6037 Depth=3
	v_cmp_eq_u16_sdwa s23, v8, v60 src0_sel:BYTE_3 src1_sel:DWORD
	s_mov_b32 s16, -1
	s_and_saveexec_b32 s22, s23
; %bb.7065:                             ;   in Loop: Header=BB6_6037 Depth=3
	s_xor_b32 s16, exec_lo, -1
; %bb.7066:                             ;   in Loop: Header=BB6_6037 Depth=3
	s_or_b32 exec_lo, exec_lo, s22
	s_and_b32 s16, s16, exec_lo
	s_or_saveexec_b32 s19, s19
	v_mov_b32_e32 v12, 0x7f800001
	s_xor_b32 exec_lo, exec_lo, s19
	s_cbranch_execnz .LBB6_7522
.LBB6_7067:                             ;   in Loop: Header=BB6_6037 Depth=3
	s_or_b32 exec_lo, exec_lo, s19
	s_and_saveexec_b32 s19, s16
	s_cbranch_execz .LBB6_7069
.LBB6_7068:                             ;   in Loop: Header=BB6_6037 Depth=3
	v_bfe_u32 v12, v8, 24, 2
	v_bfe_u32 v112, v8, 26, 5
	v_ffbh_u32_e32 v87, v12
	v_cmp_eq_u32_e32 vcc_lo, 0, v112
	v_min_u32_e32 v87, 32, v87
	v_subrev_nc_u32_e32 v99, 29, v87
	v_sub_nc_u32_e32 v87, 30, v87
	v_lshlrev_b32_sdwa v99, v99, v8 dst_sel:DWORD dst_unused:UNUSED_PAD src0_sel:DWORD src1_sel:BYTE_3
	v_cndmask_b32_e32 v87, v112, v87, vcc_lo
	v_and_b32_e32 v8, 0x80000000, v8
	v_and_b32_e32 v99, 3, v99
	v_lshl_add_u32 v87, v87, 23, 0x37800000
	v_cndmask_b32_e32 v12, v12, v99, vcc_lo
	v_lshlrev_b32_e32 v12, 21, v12
	v_or3_b32 v12, v8, v87, v12
.LBB6_7069:                             ;   in Loop: Header=BB6_6037 Depth=3
	s_or_b32 exec_lo, exec_lo, s19
	v_mul_f32_e32 v12, v86, v12
	v_and_b32_e32 v8, 0x7f800000, v12
	v_cmp_ne_u32_e32 vcc_lo, 0x7f800000, v8
	v_mov_b32_e32 v8, 0x8000
	s_and_saveexec_b32 s19, vcc_lo
	s_cbranch_execz .LBB6_7077
; %bb.7070:                             ;   in Loop: Header=BB6_6037 Depth=3
	v_mov_b32_e32 v8, 0
	s_mov_b32 s22, exec_lo
	v_cmpx_ne_u32_e32 0, v12
	s_cbranch_execz .LBB6_7076
; %bb.7071:                             ;   in Loop: Header=BB6_6037 Depth=3
	v_bfe_u32 v86, v12, 23, 8
	v_and_b32_e32 v8, 0x7fffff, v12
	v_cmp_gt_u32_e64 s16, 0x71, v86
	v_sub_nc_u32_e32 v87, 0x70, v86
	v_cmp_eq_u32_e32 vcc_lo, 0, v86
	v_or_b32_e32 v99, 0x800000, v8
	v_cndmask_b32_e64 v87, 0, v87, s16
	v_cndmask_b32_e32 v8, v99, v8, vcc_lo
	v_cndmask_b32_e64 v87, v87, 0x6f, vcc_lo
	v_lshl_add_u32 v99, 0x200000, v87, -1
	v_lshlrev_b32_e64 v112, v87, 0x100000
	v_and_b32_e32 v99, v99, v8
	v_cmp_eq_u32_e64 s16, v99, v112
	v_lshrrev_b32_e32 v99, v87, v8
	v_add_nc_u32_e32 v8, 0xffffff91, v86
	v_lshrrev_b32_e32 v86, 23, v99
	v_cndmask_b32_e64 v8, v8, 0xffffff92, vcc_lo
	v_xor_b32_e32 v86, 1, v86
	v_add_nc_u32_e32 v8, v87, v8
	v_bfe_u32 v87, v99, 21, 1
	v_add_nc_u32_e32 v87, -1, v87
	v_cndmask_b32_e64 v87, 0, v87, s16
	s_mov_b32 s16, exec_lo
	v_add_nc_u32_e32 v87, v87, v99
	v_and_b32_e32 v87, 0x1fffff, v87
	v_add_nc_u32_e32 v87, v87, v99
                                        ; implicit-def: $vgpr99
	v_cmpx_ne_u32_e64 v8, v86
	s_xor_b32 s16, exec_lo, s16
; %bb.7072:                             ;   in Loop: Header=BB6_6037 Depth=3
	v_cmp_lt_u32_e32 vcc_lo, 0xffffff, v87
	v_sub_nc_u32_e32 v8, v8, v86
	v_cndmask_b32_e64 v86, 0, 1, vcc_lo
	v_add_co_ci_u32_e64 v99, null, 0, v8, vcc_lo
	v_lshrrev_b32_e32 v87, v86, v87
; %bb.7073:                             ;   in Loop: Header=BB6_6037 Depth=3
	s_andn2_saveexec_b32 s16, s16
; %bb.7074:                             ;   in Loop: Header=BB6_6037 Depth=3
	v_bfe_u32 v99, v87, 23, 1
; %bb.7075:                             ;   in Loop: Header=BB6_6037 Depth=3
	s_or_b32 exec_lo, exec_lo, s16
	v_and_b32_sdwa v8, v12, v60 dst_sel:DWORD dst_unused:UNUSED_PAD src0_sel:BYTE_3 src1_sel:DWORD
	v_lshrrev_b32_e32 v12, 21, v87
	v_min_i32_e32 v86, 31, v99
	v_cmp_gt_i32_e32 vcc_lo, 32, v99
	v_lshlrev_b32_e32 v86, 2, v86
	v_cndmask_b32_e32 v12, 3, v12, vcc_lo
	v_and_b32_e32 v86, 0xfc, v86
	v_or_b32_e32 v87, v99, v12
	v_and_b32_e32 v12, 3, v12
	v_cmp_ne_u32_e32 vcc_lo, 0, v87
	v_or3_b32 v8, v8, v86, v12
	v_lshlrev_b32_e32 v8, 8, v8
	v_cndmask_b32_e32 v8, 0, v8, vcc_lo
.LBB6_7076:                             ;   in Loop: Header=BB6_6037 Depth=3
	s_or_b32 exec_lo, exec_lo, s22
.LBB6_7077:                             ;   in Loop: Header=BB6_6037 Depth=3
	s_or_b32 exec_lo, exec_lo, s19
	v_cmp_gt_i16_sdwa s16, v13, v59 src0_sel:BYTE_0 src1_sel:DWORD
	s_mov_b32 s19, 0
	s_and_saveexec_b32 s22, s16
	s_xor_b32 s16, exec_lo, s22
	s_cbranch_execz .LBB6_7523
; %bb.7078:                             ;   in Loop: Header=BB6_6037 Depth=3
	v_cmp_eq_u16_sdwa s23, v13, v60 src0_sel:BYTE_0 src1_sel:DWORD
	s_mov_b32 s19, -1
	s_and_saveexec_b32 s22, s23
; %bb.7079:                             ;   in Loop: Header=BB6_6037 Depth=3
	s_xor_b32 s19, exec_lo, -1
; %bb.7080:                             ;   in Loop: Header=BB6_6037 Depth=3
	s_or_b32 exec_lo, exec_lo, s22
	s_and_b32 s19, s19, exec_lo
	s_or_saveexec_b32 s16, s16
	v_mov_b32_e32 v12, 0x7f800001
	s_xor_b32 exec_lo, exec_lo, s16
	s_cbranch_execnz .LBB6_7524
.LBB6_7081:                             ;   in Loop: Header=BB6_6037 Depth=3
	s_or_b32 exec_lo, exec_lo, s16
	s_and_saveexec_b32 s16, s19
	s_cbranch_execz .LBB6_7083
.LBB6_7082:                             ;   in Loop: Header=BB6_6037 Depth=3
	v_and_b32_e32 v12, 3, v13
	v_bfe_u32 v86, v13, 2, 5
	v_ffbh_u32_e32 v87, v12
	v_cmp_eq_u32_e32 vcc_lo, 0, v86
	v_min_u32_e32 v87, 32, v87
	v_subrev_nc_u32_e32 v99, 29, v87
	v_sub_nc_u32_e32 v87, 30, v87
	v_lshlrev_b32_e32 v99, v99, v13
	v_cndmask_b32_e32 v86, v86, v87, vcc_lo
	v_lshlrev_b32_e32 v87, 24, v13
	v_and_b32_e32 v99, 3, v99
	v_lshl_add_u32 v86, v86, 23, 0x37800000
	v_and_b32_e32 v87, 0x80000000, v87
	v_cndmask_b32_e32 v12, v12, v99, vcc_lo
	v_lshlrev_b32_e32 v12, 21, v12
	v_or3_b32 v12, v87, v86, v12
.LBB6_7083:                             ;   in Loop: Header=BB6_6037 Depth=3
	s_or_b32 exec_lo, exec_lo, s16
	v_cmp_gt_i16_sdwa s16, v9, v59 src0_sel:BYTE_0 src1_sel:DWORD
	s_mov_b32 s19, 0
	s_and_saveexec_b32 s22, s16
	s_xor_b32 s16, exec_lo, s22
	s_cbranch_execz .LBB6_7525
; %bb.7084:                             ;   in Loop: Header=BB6_6037 Depth=3
	v_cmp_eq_u16_sdwa s23, v9, v60 src0_sel:BYTE_0 src1_sel:DWORD
	s_mov_b32 s19, -1
	s_and_saveexec_b32 s22, s23
; %bb.7085:                             ;   in Loop: Header=BB6_6037 Depth=3
	s_xor_b32 s19, exec_lo, -1
; %bb.7086:                             ;   in Loop: Header=BB6_6037 Depth=3
	s_or_b32 exec_lo, exec_lo, s22
	s_and_b32 s19, s19, exec_lo
	s_or_saveexec_b32 s16, s16
	v_mov_b32_e32 v86, 0x7f800001
	s_xor_b32 exec_lo, exec_lo, s16
	s_cbranch_execnz .LBB6_7526
.LBB6_7087:                             ;   in Loop: Header=BB6_6037 Depth=3
	s_or_b32 exec_lo, exec_lo, s16
	s_and_saveexec_b32 s16, s19
	s_cbranch_execz .LBB6_7089
.LBB6_7088:                             ;   in Loop: Header=BB6_6037 Depth=3
	v_and_b32_e32 v86, 3, v9
	v_bfe_u32 v87, v9, 2, 5
	v_ffbh_u32_e32 v99, v86
	v_cmp_eq_u32_e32 vcc_lo, 0, v87
	v_min_u32_e32 v99, 32, v99
	v_subrev_nc_u32_e32 v112, 29, v99
	v_sub_nc_u32_e32 v99, 30, v99
	v_lshlrev_b32_e32 v112, v112, v9
	v_cndmask_b32_e32 v87, v87, v99, vcc_lo
	v_lshlrev_b32_e32 v99, 24, v9
	v_and_b32_e32 v112, 3, v112
	v_lshl_add_u32 v87, v87, 23, 0x37800000
	v_and_b32_e32 v99, 0x80000000, v99
	v_cndmask_b32_e32 v86, v86, v112, vcc_lo
	v_lshlrev_b32_e32 v86, 21, v86
	v_or3_b32 v86, v99, v87, v86
.LBB6_7089:                             ;   in Loop: Header=BB6_6037 Depth=3
	s_or_b32 exec_lo, exec_lo, s16
	v_mul_f32_e32 v99, v12, v86
	v_and_b32_e32 v12, 0x7f800000, v99
	v_cmp_ne_u32_e32 vcc_lo, 0x7f800000, v12
	v_mov_b32_e32 v12, 0x80
	s_and_saveexec_b32 s19, vcc_lo
	s_cbranch_execz .LBB6_7097
; %bb.7090:                             ;   in Loop: Header=BB6_6037 Depth=3
	v_mov_b32_e32 v12, 0
	s_mov_b32 s22, exec_lo
	v_cmpx_ne_u32_e32 0, v99
	s_cbranch_execz .LBB6_7096
; %bb.7091:                             ;   in Loop: Header=BB6_6037 Depth=3
	v_bfe_u32 v86, v99, 23, 8
	v_and_b32_e32 v12, 0x7fffff, v99
	v_cmp_gt_u32_e64 s16, 0x71, v86
	v_sub_nc_u32_e32 v87, 0x70, v86
	v_cmp_eq_u32_e32 vcc_lo, 0, v86
	v_or_b32_e32 v112, 0x800000, v12
	v_cndmask_b32_e64 v87, 0, v87, s16
	v_cndmask_b32_e32 v12, v112, v12, vcc_lo
	v_cndmask_b32_e64 v87, v87, 0x6f, vcc_lo
	v_lshl_add_u32 v112, 0x200000, v87, -1
	v_lshlrev_b32_e64 v113, v87, 0x100000
	v_and_b32_e32 v112, v112, v12
	v_cmp_eq_u32_e64 s16, v112, v113
	v_lshrrev_b32_e32 v112, v87, v12
	v_add_nc_u32_e32 v12, 0xffffff91, v86
	v_lshrrev_b32_e32 v86, 23, v112
	v_cndmask_b32_e64 v12, v12, 0xffffff92, vcc_lo
	v_xor_b32_e32 v86, 1, v86
	v_add_nc_u32_e32 v12, v87, v12
	v_bfe_u32 v87, v112, 21, 1
	v_add_nc_u32_e32 v87, -1, v87
	v_cndmask_b32_e64 v87, 0, v87, s16
	s_mov_b32 s16, exec_lo
	v_add_nc_u32_e32 v87, v87, v112
	v_and_b32_e32 v87, 0x1fffff, v87
	v_add_nc_u32_e32 v87, v87, v112
                                        ; implicit-def: $vgpr112
	v_cmpx_ne_u32_e64 v12, v86
	s_xor_b32 s16, exec_lo, s16
; %bb.7092:                             ;   in Loop: Header=BB6_6037 Depth=3
	v_cmp_lt_u32_e32 vcc_lo, 0xffffff, v87
	v_sub_nc_u32_e32 v12, v12, v86
	v_cndmask_b32_e64 v86, 0, 1, vcc_lo
	v_add_co_ci_u32_e64 v112, null, 0, v12, vcc_lo
	v_lshrrev_b32_e32 v87, v86, v87
; %bb.7093:                             ;   in Loop: Header=BB6_6037 Depth=3
	s_andn2_saveexec_b32 s16, s16
; %bb.7094:                             ;   in Loop: Header=BB6_6037 Depth=3
	v_bfe_u32 v112, v87, 23, 1
; %bb.7095:                             ;   in Loop: Header=BB6_6037 Depth=3
	s_or_b32 exec_lo, exec_lo, s16
	v_lshrrev_b32_e32 v86, 21, v87
	v_min_i32_e32 v87, 31, v112
	v_cmp_gt_i32_e32 vcc_lo, 32, v112
	v_and_b32_sdwa v12, v99, v60 dst_sel:DWORD dst_unused:UNUSED_PAD src0_sel:BYTE_3 src1_sel:DWORD
	v_lshlrev_b32_e32 v87, 2, v87
	v_cndmask_b32_e32 v86, 3, v86, vcc_lo
	v_and_b32_e32 v87, 0xfc, v87
	v_or_b32_e32 v99, v112, v86
	v_and_b32_e32 v86, 3, v86
	v_cmp_ne_u32_e32 vcc_lo, 0, v99
	v_or3_b32 v12, v87, v12, v86
	v_cndmask_b32_e32 v12, 0, v12, vcc_lo
.LBB6_7096:                             ;   in Loop: Header=BB6_6037 Depth=3
	s_or_b32 exec_lo, exec_lo, s22
.LBB6_7097:                             ;   in Loop: Header=BB6_6037 Depth=3
	s_or_b32 exec_lo, exec_lo, s19
	v_cmp_gt_i16_sdwa s19, v13, v59 src0_sel:BYTE_1 src1_sel:DWORD
	s_mov_b32 s16, 0
	s_and_saveexec_b32 s22, s19
	s_xor_b32 s19, exec_lo, s22
	s_cbranch_execz .LBB6_7527
; %bb.7098:                             ;   in Loop: Header=BB6_6037 Depth=3
	v_cmp_eq_u16_sdwa s23, v13, v60 src0_sel:BYTE_1 src1_sel:DWORD
	s_mov_b32 s16, -1
	s_and_saveexec_b32 s22, s23
; %bb.7099:                             ;   in Loop: Header=BB6_6037 Depth=3
	s_xor_b32 s16, exec_lo, -1
; %bb.7100:                             ;   in Loop: Header=BB6_6037 Depth=3
	s_or_b32 exec_lo, exec_lo, s22
	s_and_b32 s16, s16, exec_lo
	s_or_saveexec_b32 s19, s19
	v_mov_b32_e32 v86, 0x7f800001
	s_xor_b32 exec_lo, exec_lo, s19
	s_cbranch_execnz .LBB6_7528
.LBB6_7101:                             ;   in Loop: Header=BB6_6037 Depth=3
	s_or_b32 exec_lo, exec_lo, s19
	s_and_saveexec_b32 s19, s16
	s_cbranch_execz .LBB6_7103
.LBB6_7102:                             ;   in Loop: Header=BB6_6037 Depth=3
	v_and_b32_sdwa v86, v61, v13 dst_sel:DWORD dst_unused:UNUSED_PAD src0_sel:DWORD src1_sel:BYTE_1
	v_and_b32_e32 v87, 3, v86
	v_bfe_u32 v113, v86, 2, 5
	v_ffbh_u32_e32 v99, v87
	v_cmp_eq_u32_e32 vcc_lo, 0, v113
	v_min_u32_e32 v99, 32, v99
	v_subrev_nc_u32_e32 v112, 29, v99
	v_sub_nc_u32_e32 v99, 30, v99
	v_lshlrev_b32_e32 v86, v112, v86
	v_lshlrev_b32_sdwa v112, v62, v13 dst_sel:DWORD dst_unused:UNUSED_PAD src0_sel:DWORD src1_sel:BYTE_1
	v_cndmask_b32_e32 v99, v113, v99, vcc_lo
	v_and_b32_e32 v86, 3, v86
	v_lshl_add_u32 v99, v99, 23, 0x37800000
	v_cndmask_b32_e32 v86, v87, v86, vcc_lo
	v_and_b32_e32 v87, 0x80000000, v112
	v_lshlrev_b32_e32 v86, 21, v86
	v_or3_b32 v86, v87, v99, v86
.LBB6_7103:                             ;   in Loop: Header=BB6_6037 Depth=3
	s_or_b32 exec_lo, exec_lo, s19
	v_cmp_gt_i16_sdwa s19, v9, v59 src0_sel:BYTE_1 src1_sel:DWORD
	s_mov_b32 s16, 0
	s_and_saveexec_b32 s22, s19
	s_xor_b32 s19, exec_lo, s22
	s_cbranch_execz .LBB6_7529
; %bb.7104:                             ;   in Loop: Header=BB6_6037 Depth=3
	v_cmp_eq_u16_sdwa s23, v9, v60 src0_sel:BYTE_1 src1_sel:DWORD
	s_mov_b32 s16, -1
	s_and_saveexec_b32 s22, s23
; %bb.7105:                             ;   in Loop: Header=BB6_6037 Depth=3
	s_xor_b32 s16, exec_lo, -1
; %bb.7106:                             ;   in Loop: Header=BB6_6037 Depth=3
	s_or_b32 exec_lo, exec_lo, s22
	s_and_b32 s16, s16, exec_lo
	s_or_saveexec_b32 s19, s19
	v_mov_b32_e32 v87, 0x7f800001
	s_xor_b32 exec_lo, exec_lo, s19
	s_cbranch_execnz .LBB6_7530
.LBB6_7107:                             ;   in Loop: Header=BB6_6037 Depth=3
	s_or_b32 exec_lo, exec_lo, s19
	s_and_saveexec_b32 s19, s16
	s_cbranch_execz .LBB6_7109
.LBB6_7108:                             ;   in Loop: Header=BB6_6037 Depth=3
	v_and_b32_sdwa v87, v61, v9 dst_sel:DWORD dst_unused:UNUSED_PAD src0_sel:DWORD src1_sel:BYTE_1
	v_and_b32_e32 v99, 3, v87
	v_bfe_u32 v46, v87, 2, 5
	v_ffbh_u32_e32 v112, v99
	v_cmp_eq_u32_e32 vcc_lo, 0, v46
	v_min_u32_e32 v112, 32, v112
	v_subrev_nc_u32_e32 v113, 29, v112
	v_sub_nc_u32_e32 v112, 30, v112
	v_lshlrev_b32_e32 v87, v113, v87
	v_lshlrev_b32_sdwa v113, v62, v9 dst_sel:DWORD dst_unused:UNUSED_PAD src0_sel:DWORD src1_sel:BYTE_1
	v_cndmask_b32_e32 v112, v46, v112, vcc_lo
	v_and_b32_e32 v87, 3, v87
	v_lshl_add_u32 v112, v112, 23, 0x37800000
	v_cndmask_b32_e32 v87, v99, v87, vcc_lo
	v_and_b32_e32 v99, 0x80000000, v113
	v_lshlrev_b32_e32 v87, 21, v87
	v_or3_b32 v87, v99, v112, v87
.LBB6_7109:                             ;   in Loop: Header=BB6_6037 Depth=3
	s_or_b32 exec_lo, exec_lo, s19
	v_mul_f32_e32 v112, v86, v87
	v_mov_b32_e32 v99, 0x8000
	s_mov_b32 s19, exec_lo
	v_and_b32_e32 v86, 0x7f800000, v112
	v_cmpx_ne_u32_e32 0x7f800000, v86
	s_cbranch_execz .LBB6_7117
; %bb.7110:                             ;   in Loop: Header=BB6_6037 Depth=3
	v_mov_b32_e32 v99, 0
	s_mov_b32 s22, exec_lo
	v_cmpx_ne_u32_e32 0, v112
	s_cbranch_execz .LBB6_7116
; %bb.7111:                             ;   in Loop: Header=BB6_6037 Depth=3
	v_bfe_u32 v87, v112, 23, 8
	v_and_b32_e32 v86, 0x7fffff, v112
	v_cmp_gt_u32_e64 s16, 0x71, v87
	v_sub_nc_u32_e32 v99, 0x70, v87
	v_cmp_eq_u32_e32 vcc_lo, 0, v87
	v_or_b32_e32 v113, 0x800000, v86
	v_cndmask_b32_e64 v99, 0, v99, s16
	v_cndmask_b32_e32 v86, v113, v86, vcc_lo
	v_cndmask_b32_e64 v99, v99, 0x6f, vcc_lo
	v_lshl_add_u32 v113, 0x200000, v99, -1
	v_lshlrev_b32_e64 v46, v99, 0x100000
	v_and_b32_e32 v113, v113, v86
	v_cmp_eq_u32_e64 s16, v113, v46
	v_lshrrev_b32_e32 v113, v99, v86
	v_add_nc_u32_e32 v86, 0xffffff91, v87
	v_lshrrev_b32_e32 v87, 23, v113
	v_cndmask_b32_e64 v86, v86, 0xffffff92, vcc_lo
	v_xor_b32_e32 v87, 1, v87
	v_add_nc_u32_e32 v86, v99, v86
	v_bfe_u32 v99, v113, 21, 1
	v_add_nc_u32_e32 v99, -1, v99
	v_cndmask_b32_e64 v99, 0, v99, s16
	s_mov_b32 s16, exec_lo
	v_add_nc_u32_e32 v99, v99, v113
	v_and_b32_e32 v99, 0x1fffff, v99
	v_add_nc_u32_e32 v99, v99, v113
                                        ; implicit-def: $vgpr113
	v_cmpx_ne_u32_e64 v86, v87
	s_xor_b32 s16, exec_lo, s16
; %bb.7112:                             ;   in Loop: Header=BB6_6037 Depth=3
	v_cmp_lt_u32_e32 vcc_lo, 0xffffff, v99
	v_sub_nc_u32_e32 v86, v86, v87
	v_cndmask_b32_e64 v87, 0, 1, vcc_lo
	v_add_co_ci_u32_e64 v113, null, 0, v86, vcc_lo
	v_lshrrev_b32_e32 v99, v87, v99
; %bb.7113:                             ;   in Loop: Header=BB6_6037 Depth=3
	s_andn2_saveexec_b32 s16, s16
; %bb.7114:                             ;   in Loop: Header=BB6_6037 Depth=3
	v_bfe_u32 v113, v99, 23, 1
; %bb.7115:                             ;   in Loop: Header=BB6_6037 Depth=3
	s_or_b32 exec_lo, exec_lo, s16
	v_lshrrev_b32_e32 v87, 21, v99
	v_min_i32_e32 v99, 31, v113
	v_cmp_gt_i32_e32 vcc_lo, 32, v113
	v_and_b32_sdwa v86, v112, v60 dst_sel:DWORD dst_unused:UNUSED_PAD src0_sel:BYTE_3 src1_sel:DWORD
	v_lshlrev_b32_e32 v99, 2, v99
	v_cndmask_b32_e32 v87, 3, v87, vcc_lo
	v_and_b32_e32 v99, 0xfc, v99
	v_or_b32_e32 v112, v113, v87
	v_and_b32_e32 v87, 3, v87
	v_cmp_ne_u32_e32 vcc_lo, 0, v112
	v_or3_b32 v86, v86, v99, v87
	v_lshlrev_b32_e32 v86, 8, v86
	v_cndmask_b32_e32 v99, 0, v86, vcc_lo
.LBB6_7116:                             ;   in Loop: Header=BB6_6037 Depth=3
	s_or_b32 exec_lo, exec_lo, s22
.LBB6_7117:                             ;   in Loop: Header=BB6_6037 Depth=3
	s_or_b32 exec_lo, exec_lo, s19
	v_and_b32_sdwa v87, v13, v63 dst_sel:DWORD dst_unused:UNUSED_PAD src0_sel:WORD_1 src1_sel:DWORD
	s_mov_b32 s19, 0
	s_mov_b32 s16, exec_lo
	v_cmpx_lt_i16_e32 0x7f, v87
	s_xor_b32 s16, exec_lo, s16
	s_cbranch_execz .LBB6_7531
; %bb.7118:                             ;   in Loop: Header=BB6_6037 Depth=3
	s_mov_b32 s19, -1
	s_mov_b32 s22, exec_lo
	v_cmpx_eq_u16_e32 0x80, v87
; %bb.7119:                             ;   in Loop: Header=BB6_6037 Depth=3
	s_xor_b32 s19, exec_lo, -1
; %bb.7120:                             ;   in Loop: Header=BB6_6037 Depth=3
	s_or_b32 exec_lo, exec_lo, s22
	s_and_b32 s19, s19, exec_lo
                                        ; implicit-def: $vgpr87
	s_or_saveexec_b32 s16, s16
	v_mov_b32_e32 v86, 0x7f800001
	s_xor_b32 exec_lo, exec_lo, s16
	s_cbranch_execnz .LBB6_7532
.LBB6_7121:                             ;   in Loop: Header=BB6_6037 Depth=3
	s_or_b32 exec_lo, exec_lo, s16
	s_and_saveexec_b32 s16, s19
	s_cbranch_execz .LBB6_7123
.LBB6_7122:                             ;   in Loop: Header=BB6_6037 Depth=3
	v_bfe_u32 v86, v13, 16, 2
	v_bfe_u32 v87, v13, 18, 5
	v_ffbh_u32_e32 v112, v86
	v_cmp_eq_u32_e32 vcc_lo, 0, v87
	v_min_u32_e32 v112, 32, v112
	v_subrev_nc_u32_e32 v113, 29, v112
	v_sub_nc_u32_e32 v112, 30, v112
	v_lshlrev_b32_sdwa v113, v113, v13 dst_sel:DWORD dst_unused:UNUSED_PAD src0_sel:DWORD src1_sel:WORD_1
	v_cndmask_b32_e32 v87, v87, v112, vcc_lo
	v_lshlrev_b32_e32 v112, 8, v13
	v_and_b32_e32 v113, 3, v113
	v_lshl_add_u32 v87, v87, 23, 0x37800000
	v_and_b32_e32 v112, 0x80000000, v112
	v_cndmask_b32_e32 v86, v86, v113, vcc_lo
	v_lshlrev_b32_e32 v86, 21, v86
	v_or3_b32 v86, v112, v87, v86
.LBB6_7123:                             ;   in Loop: Header=BB6_6037 Depth=3
	s_or_b32 exec_lo, exec_lo, s16
	v_and_b32_sdwa v112, v9, v63 dst_sel:DWORD dst_unused:UNUSED_PAD src0_sel:WORD_1 src1_sel:DWORD
	s_mov_b32 s19, 0
	s_mov_b32 s16, exec_lo
	v_cmpx_lt_i16_e32 0x7f, v112
	s_xor_b32 s16, exec_lo, s16
	s_cbranch_execz .LBB6_7533
; %bb.7124:                             ;   in Loop: Header=BB6_6037 Depth=3
	s_mov_b32 s19, -1
	s_mov_b32 s22, exec_lo
	v_cmpx_eq_u16_e32 0x80, v112
; %bb.7125:                             ;   in Loop: Header=BB6_6037 Depth=3
	s_xor_b32 s19, exec_lo, -1
; %bb.7126:                             ;   in Loop: Header=BB6_6037 Depth=3
	s_or_b32 exec_lo, exec_lo, s22
	s_and_b32 s19, s19, exec_lo
                                        ; implicit-def: $vgpr112
	s_or_saveexec_b32 s16, s16
	v_mov_b32_e32 v87, 0x7f800001
	s_xor_b32 exec_lo, exec_lo, s16
	s_cbranch_execnz .LBB6_7534
.LBB6_7127:                             ;   in Loop: Header=BB6_6037 Depth=3
	s_or_b32 exec_lo, exec_lo, s16
	s_and_saveexec_b32 s16, s19
	s_cbranch_execz .LBB6_7129
.LBB6_7128:                             ;   in Loop: Header=BB6_6037 Depth=3
	v_bfe_u32 v87, v9, 16, 2
	v_bfe_u32 v112, v9, 18, 5
	v_ffbh_u32_e32 v113, v87
	v_cmp_eq_u32_e32 vcc_lo, 0, v112
	v_min_u32_e32 v113, 32, v113
	v_subrev_nc_u32_e32 v46, 29, v113
	v_sub_nc_u32_e32 v113, 30, v113
	v_lshlrev_b32_sdwa v46, v46, v9 dst_sel:DWORD dst_unused:UNUSED_PAD src0_sel:DWORD src1_sel:WORD_1
	v_cndmask_b32_e32 v112, v112, v113, vcc_lo
	v_lshlrev_b32_e32 v113, 8, v9
	v_and_b32_e32 v46, 3, v46
	v_lshl_add_u32 v112, v112, 23, 0x37800000
	v_and_b32_e32 v113, 0x80000000, v113
	v_cndmask_b32_e32 v87, v87, v46, vcc_lo
	v_lshlrev_b32_e32 v87, 21, v87
	v_or3_b32 v87, v113, v112, v87
.LBB6_7129:                             ;   in Loop: Header=BB6_6037 Depth=3
	s_or_b32 exec_lo, exec_lo, s16
	v_mul_f32_e32 v112, v86, v87
	v_mov_b32_e32 v105, 0x80
	s_mov_b32 s19, exec_lo
	v_and_b32_e32 v86, 0x7f800000, v112
	v_cmpx_ne_u32_e32 0x7f800000, v86
	s_cbranch_execz .LBB6_7137
; %bb.7130:                             ;   in Loop: Header=BB6_6037 Depth=3
	v_mov_b32_e32 v105, 0
	s_mov_b32 s22, exec_lo
	v_cmpx_ne_u32_e32 0, v112
	s_cbranch_execz .LBB6_7136
; %bb.7131:                             ;   in Loop: Header=BB6_6037 Depth=3
	v_bfe_u32 v87, v112, 23, 8
	v_and_b32_e32 v86, 0x7fffff, v112
	v_cmp_gt_u32_e64 s16, 0x71, v87
	v_sub_nc_u32_e32 v113, 0x70, v87
	v_cmp_eq_u32_e32 vcc_lo, 0, v87
	v_or_b32_e32 v46, 0x800000, v86
	v_cndmask_b32_e64 v113, 0, v113, s16
	v_cndmask_b32_e32 v86, v46, v86, vcc_lo
	v_cndmask_b32_e64 v113, v113, 0x6f, vcc_lo
	v_lshl_add_u32 v46, 0x200000, v113, -1
	v_lshlrev_b32_e64 v58, v113, 0x100000
	v_and_b32_e32 v46, v46, v86
	v_cmp_eq_u32_e64 s16, v46, v58
	v_lshrrev_b32_e32 v46, v113, v86
	v_add_nc_u32_e32 v86, 0xffffff91, v87
	v_lshrrev_b32_e32 v87, 23, v46
	v_cndmask_b32_e64 v86, v86, 0xffffff92, vcc_lo
	v_xor_b32_e32 v87, 1, v87
	v_add_nc_u32_e32 v86, v113, v86
	v_bfe_u32 v113, v46, 21, 1
	v_add_nc_u32_e32 v113, -1, v113
	v_cndmask_b32_e64 v113, 0, v113, s16
	s_mov_b32 s16, exec_lo
	v_add_nc_u32_e32 v113, v113, v46
	v_and_b32_e32 v113, 0x1fffff, v113
	v_add_nc_u32_e32 v113, v113, v46
                                        ; implicit-def: $vgpr46
	v_cmpx_ne_u32_e64 v86, v87
	s_xor_b32 s16, exec_lo, s16
; %bb.7132:                             ;   in Loop: Header=BB6_6037 Depth=3
	v_cmp_lt_u32_e32 vcc_lo, 0xffffff, v113
	v_sub_nc_u32_e32 v86, v86, v87
	v_cndmask_b32_e64 v87, 0, 1, vcc_lo
	v_add_co_ci_u32_e64 v46, null, 0, v86, vcc_lo
	v_lshrrev_b32_e32 v113, v87, v113
; %bb.7133:                             ;   in Loop: Header=BB6_6037 Depth=3
	s_andn2_saveexec_b32 s16, s16
; %bb.7134:                             ;   in Loop: Header=BB6_6037 Depth=3
	v_bfe_u32 v46, v113, 23, 1
; %bb.7135:                             ;   in Loop: Header=BB6_6037 Depth=3
	s_or_b32 exec_lo, exec_lo, s16
	v_and_b32_sdwa v86, v112, v60 dst_sel:DWORD dst_unused:UNUSED_PAD src0_sel:BYTE_3 src1_sel:DWORD
	v_lshrrev_b32_e32 v87, 21, v113
	v_min_i32_e32 v112, 31, v46
	v_cmp_gt_i32_e32 vcc_lo, 32, v46
	v_lshlrev_b32_e32 v112, 2, v112
	v_cndmask_b32_e32 v87, 3, v87, vcc_lo
	v_and_b32_e32 v112, 0xfc, v112
	v_or_b32_e32 v113, v46, v87
	v_and_b32_e32 v87, 3, v87
	v_cmp_ne_u32_e32 vcc_lo, 0, v113
	v_or3_b32 v86, v112, v86, v87
	v_cndmask_b32_e32 v105, 0, v86, vcc_lo
.LBB6_7136:                             ;   in Loop: Header=BB6_6037 Depth=3
	s_or_b32 exec_lo, exec_lo, s22
.LBB6_7137:                             ;   in Loop: Header=BB6_6037 Depth=3
	s_or_b32 exec_lo, exec_lo, s19
	v_cmp_gt_i16_sdwa s19, v13, v59 src0_sel:BYTE_3 src1_sel:DWORD
	s_mov_b32 s16, 0
	s_and_saveexec_b32 s22, s19
	s_xor_b32 s19, exec_lo, s22
	s_cbranch_execz .LBB6_7535
; %bb.7138:                             ;   in Loop: Header=BB6_6037 Depth=3
	v_cmp_eq_u16_sdwa s23, v13, v60 src0_sel:BYTE_3 src1_sel:DWORD
	s_mov_b32 s16, -1
	s_and_saveexec_b32 s22, s23
; %bb.7139:                             ;   in Loop: Header=BB6_6037 Depth=3
	s_xor_b32 s16, exec_lo, -1
; %bb.7140:                             ;   in Loop: Header=BB6_6037 Depth=3
	s_or_b32 exec_lo, exec_lo, s22
	s_and_b32 s16, s16, exec_lo
	s_or_saveexec_b32 s19, s19
	v_mov_b32_e32 v86, 0x7f800001
	s_xor_b32 exec_lo, exec_lo, s19
	s_cbranch_execnz .LBB6_7536
.LBB6_7141:                             ;   in Loop: Header=BB6_6037 Depth=3
	s_or_b32 exec_lo, exec_lo, s19
	s_and_saveexec_b32 s19, s16
	s_cbranch_execz .LBB6_7143
.LBB6_7142:                             ;   in Loop: Header=BB6_6037 Depth=3
	v_bfe_u32 v86, v13, 24, 2
	v_bfe_u32 v113, v13, 26, 5
	v_ffbh_u32_e32 v87, v86
	v_cmp_eq_u32_e32 vcc_lo, 0, v113
	v_min_u32_e32 v87, 32, v87
	v_subrev_nc_u32_e32 v112, 29, v87
	v_sub_nc_u32_e32 v87, 30, v87
	v_lshlrev_b32_sdwa v112, v112, v13 dst_sel:DWORD dst_unused:UNUSED_PAD src0_sel:DWORD src1_sel:BYTE_3
	v_cndmask_b32_e32 v87, v113, v87, vcc_lo
	v_and_b32_e32 v13, 0x80000000, v13
	v_and_b32_e32 v112, 3, v112
	v_lshl_add_u32 v87, v87, 23, 0x37800000
	v_cndmask_b32_e32 v86, v86, v112, vcc_lo
	v_lshlrev_b32_e32 v86, 21, v86
	v_or3_b32 v86, v13, v87, v86
.LBB6_7143:                             ;   in Loop: Header=BB6_6037 Depth=3
	s_or_b32 exec_lo, exec_lo, s19
	v_cmp_gt_i16_sdwa s19, v9, v59 src0_sel:BYTE_3 src1_sel:DWORD
	s_mov_b32 s16, 0
	s_and_saveexec_b32 s22, s19
	s_xor_b32 s19, exec_lo, s22
	s_cbranch_execz .LBB6_7537
; %bb.7144:                             ;   in Loop: Header=BB6_6037 Depth=3
	v_cmp_eq_u16_sdwa s23, v9, v60 src0_sel:BYTE_3 src1_sel:DWORD
	s_mov_b32 s16, -1
	s_and_saveexec_b32 s22, s23
; %bb.7145:                             ;   in Loop: Header=BB6_6037 Depth=3
	s_xor_b32 s16, exec_lo, -1
; %bb.7146:                             ;   in Loop: Header=BB6_6037 Depth=3
	s_or_b32 exec_lo, exec_lo, s22
	s_and_b32 s16, s16, exec_lo
	s_or_saveexec_b32 s19, s19
	v_mov_b32_e32 v13, 0x7f800001
	s_xor_b32 exec_lo, exec_lo, s19
	s_cbranch_execnz .LBB6_7538
.LBB6_7147:                             ;   in Loop: Header=BB6_6037 Depth=3
	s_or_b32 exec_lo, exec_lo, s19
	s_and_saveexec_b32 s19, s16
	s_cbranch_execz .LBB6_7149
.LBB6_7148:                             ;   in Loop: Header=BB6_6037 Depth=3
	v_bfe_u32 v13, v9, 24, 2
	v_bfe_u32 v113, v9, 26, 5
	v_ffbh_u32_e32 v87, v13
	v_cmp_eq_u32_e32 vcc_lo, 0, v113
	v_min_u32_e32 v87, 32, v87
	v_subrev_nc_u32_e32 v112, 29, v87
	v_sub_nc_u32_e32 v87, 30, v87
	v_lshlrev_b32_sdwa v112, v112, v9 dst_sel:DWORD dst_unused:UNUSED_PAD src0_sel:DWORD src1_sel:BYTE_3
	v_cndmask_b32_e32 v87, v113, v87, vcc_lo
	v_and_b32_e32 v9, 0x80000000, v9
	v_and_b32_e32 v112, 3, v112
	v_lshl_add_u32 v87, v87, 23, 0x37800000
	v_cndmask_b32_e32 v13, v13, v112, vcc_lo
	v_lshlrev_b32_e32 v13, 21, v13
	v_or3_b32 v13, v9, v87, v13
.LBB6_7149:                             ;   in Loop: Header=BB6_6037 Depth=3
	s_or_b32 exec_lo, exec_lo, s19
	v_mul_f32_e32 v13, v86, v13
	v_and_b32_e32 v9, 0x7f800000, v13
	v_cmp_ne_u32_e32 vcc_lo, 0x7f800000, v9
	v_mov_b32_e32 v9, 0x8000
	s_and_saveexec_b32 s19, vcc_lo
	s_cbranch_execz .LBB6_7157
; %bb.7150:                             ;   in Loop: Header=BB6_6037 Depth=3
	v_mov_b32_e32 v9, 0
	s_mov_b32 s22, exec_lo
	v_cmpx_ne_u32_e32 0, v13
	s_cbranch_execz .LBB6_7156
; %bb.7151:                             ;   in Loop: Header=BB6_6037 Depth=3
	v_bfe_u32 v86, v13, 23, 8
	v_and_b32_e32 v9, 0x7fffff, v13
	v_cmp_gt_u32_e64 s16, 0x71, v86
	v_sub_nc_u32_e32 v87, 0x70, v86
	v_cmp_eq_u32_e32 vcc_lo, 0, v86
	v_or_b32_e32 v112, 0x800000, v9
	v_cndmask_b32_e64 v87, 0, v87, s16
	v_cndmask_b32_e32 v9, v112, v9, vcc_lo
	v_cndmask_b32_e64 v87, v87, 0x6f, vcc_lo
	v_lshl_add_u32 v112, 0x200000, v87, -1
	v_lshlrev_b32_e64 v113, v87, 0x100000
	v_and_b32_e32 v112, v112, v9
	v_cmp_eq_u32_e64 s16, v112, v113
	v_lshrrev_b32_e32 v112, v87, v9
	v_add_nc_u32_e32 v9, 0xffffff91, v86
	v_lshrrev_b32_e32 v86, 23, v112
	v_cndmask_b32_e64 v9, v9, 0xffffff92, vcc_lo
	v_xor_b32_e32 v86, 1, v86
	v_add_nc_u32_e32 v9, v87, v9
	v_bfe_u32 v87, v112, 21, 1
	v_add_nc_u32_e32 v87, -1, v87
	v_cndmask_b32_e64 v87, 0, v87, s16
	s_mov_b32 s16, exec_lo
	v_add_nc_u32_e32 v87, v87, v112
	v_and_b32_e32 v87, 0x1fffff, v87
	v_add_nc_u32_e32 v87, v87, v112
                                        ; implicit-def: $vgpr112
	v_cmpx_ne_u32_e64 v9, v86
	s_xor_b32 s16, exec_lo, s16
; %bb.7152:                             ;   in Loop: Header=BB6_6037 Depth=3
	v_cmp_lt_u32_e32 vcc_lo, 0xffffff, v87
	v_sub_nc_u32_e32 v9, v9, v86
	v_cndmask_b32_e64 v86, 0, 1, vcc_lo
	v_add_co_ci_u32_e64 v112, null, 0, v9, vcc_lo
	v_lshrrev_b32_e32 v87, v86, v87
; %bb.7153:                             ;   in Loop: Header=BB6_6037 Depth=3
	s_andn2_saveexec_b32 s16, s16
; %bb.7154:                             ;   in Loop: Header=BB6_6037 Depth=3
	v_bfe_u32 v112, v87, 23, 1
; %bb.7155:                             ;   in Loop: Header=BB6_6037 Depth=3
	s_or_b32 exec_lo, exec_lo, s16
	v_and_b32_sdwa v9, v13, v60 dst_sel:DWORD dst_unused:UNUSED_PAD src0_sel:BYTE_3 src1_sel:DWORD
	v_lshrrev_b32_e32 v13, 21, v87
	v_min_i32_e32 v86, 31, v112
	v_cmp_gt_i32_e32 vcc_lo, 32, v112
	v_lshlrev_b32_e32 v86, 2, v86
	v_cndmask_b32_e32 v13, 3, v13, vcc_lo
	v_and_b32_e32 v86, 0xfc, v86
	v_or_b32_e32 v87, v112, v13
	v_and_b32_e32 v13, 3, v13
	v_cmp_ne_u32_e32 vcc_lo, 0, v87
	v_or3_b32 v9, v9, v86, v13
	v_lshlrev_b32_e32 v9, 8, v9
	v_cndmask_b32_e32 v9, 0, v9, vcc_lo
.LBB6_7156:                             ;   in Loop: Header=BB6_6037 Depth=3
	s_or_b32 exec_lo, exec_lo, s22
.LBB6_7157:                             ;   in Loop: Header=BB6_6037 Depth=3
	s_or_b32 exec_lo, exec_lo, s19
	v_cmp_gt_i16_sdwa s16, v14, v59 src0_sel:BYTE_0 src1_sel:DWORD
	s_mov_b32 s19, 0
	s_and_saveexec_b32 s22, s16
	s_xor_b32 s16, exec_lo, s22
	s_cbranch_execz .LBB6_7539
; %bb.7158:                             ;   in Loop: Header=BB6_6037 Depth=3
	v_cmp_eq_u16_sdwa s23, v14, v60 src0_sel:BYTE_0 src1_sel:DWORD
	s_mov_b32 s19, -1
	s_and_saveexec_b32 s22, s23
; %bb.7159:                             ;   in Loop: Header=BB6_6037 Depth=3
	s_xor_b32 s19, exec_lo, -1
; %bb.7160:                             ;   in Loop: Header=BB6_6037 Depth=3
	s_or_b32 exec_lo, exec_lo, s22
	s_and_b32 s19, s19, exec_lo
	s_or_saveexec_b32 s16, s16
	v_mov_b32_e32 v13, 0x7f800001
	s_xor_b32 exec_lo, exec_lo, s16
	s_cbranch_execnz .LBB6_7540
.LBB6_7161:                             ;   in Loop: Header=BB6_6037 Depth=3
	s_or_b32 exec_lo, exec_lo, s16
	s_and_saveexec_b32 s16, s19
	s_cbranch_execz .LBB6_7163
.LBB6_7162:                             ;   in Loop: Header=BB6_6037 Depth=3
	v_and_b32_e32 v13, 3, v14
	v_bfe_u32 v86, v14, 2, 5
	v_ffbh_u32_e32 v87, v13
	v_cmp_eq_u32_e32 vcc_lo, 0, v86
	v_min_u32_e32 v87, 32, v87
	v_subrev_nc_u32_e32 v112, 29, v87
	v_sub_nc_u32_e32 v87, 30, v87
	v_lshlrev_b32_e32 v112, v112, v14
	v_cndmask_b32_e32 v86, v86, v87, vcc_lo
	v_lshlrev_b32_e32 v87, 24, v14
	v_and_b32_e32 v112, 3, v112
	v_lshl_add_u32 v86, v86, 23, 0x37800000
	v_and_b32_e32 v87, 0x80000000, v87
	v_cndmask_b32_e32 v13, v13, v112, vcc_lo
	v_lshlrev_b32_e32 v13, 21, v13
	v_or3_b32 v13, v87, v86, v13
.LBB6_7163:                             ;   in Loop: Header=BB6_6037 Depth=3
	s_or_b32 exec_lo, exec_lo, s16
	v_cmp_gt_i16_sdwa s16, v10, v59 src0_sel:BYTE_0 src1_sel:DWORD
	s_mov_b32 s19, 0
	s_and_saveexec_b32 s22, s16
	s_xor_b32 s16, exec_lo, s22
	s_cbranch_execz .LBB6_7541
; %bb.7164:                             ;   in Loop: Header=BB6_6037 Depth=3
	v_cmp_eq_u16_sdwa s23, v10, v60 src0_sel:BYTE_0 src1_sel:DWORD
	s_mov_b32 s19, -1
	s_and_saveexec_b32 s22, s23
; %bb.7165:                             ;   in Loop: Header=BB6_6037 Depth=3
	s_xor_b32 s19, exec_lo, -1
; %bb.7166:                             ;   in Loop: Header=BB6_6037 Depth=3
	s_or_b32 exec_lo, exec_lo, s22
	s_and_b32 s19, s19, exec_lo
	s_or_saveexec_b32 s16, s16
	v_mov_b32_e32 v86, 0x7f800001
	s_xor_b32 exec_lo, exec_lo, s16
	s_cbranch_execnz .LBB6_7542
.LBB6_7167:                             ;   in Loop: Header=BB6_6037 Depth=3
	s_or_b32 exec_lo, exec_lo, s16
	s_and_saveexec_b32 s16, s19
	s_cbranch_execz .LBB6_7169
.LBB6_7168:                             ;   in Loop: Header=BB6_6037 Depth=3
	v_and_b32_e32 v86, 3, v10
	v_bfe_u32 v87, v10, 2, 5
	v_ffbh_u32_e32 v112, v86
	v_cmp_eq_u32_e32 vcc_lo, 0, v87
	v_min_u32_e32 v112, 32, v112
	v_subrev_nc_u32_e32 v113, 29, v112
	v_sub_nc_u32_e32 v112, 30, v112
	v_lshlrev_b32_e32 v113, v113, v10
	v_cndmask_b32_e32 v87, v87, v112, vcc_lo
	v_lshlrev_b32_e32 v112, 24, v10
	v_and_b32_e32 v113, 3, v113
	v_lshl_add_u32 v87, v87, 23, 0x37800000
	v_and_b32_e32 v112, 0x80000000, v112
	v_cndmask_b32_e32 v86, v86, v113, vcc_lo
	v_lshlrev_b32_e32 v86, 21, v86
	v_or3_b32 v86, v112, v87, v86
.LBB6_7169:                             ;   in Loop: Header=BB6_6037 Depth=3
	s_or_b32 exec_lo, exec_lo, s16
	v_mul_f32_e32 v112, v13, v86
	v_and_b32_e32 v13, 0x7f800000, v112
	v_cmp_ne_u32_e32 vcc_lo, 0x7f800000, v13
	v_mov_b32_e32 v13, 0x80
	s_and_saveexec_b32 s19, vcc_lo
	s_cbranch_execz .LBB6_7177
; %bb.7170:                             ;   in Loop: Header=BB6_6037 Depth=3
	v_mov_b32_e32 v13, 0
	s_mov_b32 s22, exec_lo
	v_cmpx_ne_u32_e32 0, v112
	s_cbranch_execz .LBB6_7176
; %bb.7171:                             ;   in Loop: Header=BB6_6037 Depth=3
	v_bfe_u32 v86, v112, 23, 8
	v_and_b32_e32 v13, 0x7fffff, v112
	v_cmp_gt_u32_e64 s16, 0x71, v86
	v_sub_nc_u32_e32 v87, 0x70, v86
	v_cmp_eq_u32_e32 vcc_lo, 0, v86
	v_or_b32_e32 v113, 0x800000, v13
	v_cndmask_b32_e64 v87, 0, v87, s16
	v_cndmask_b32_e32 v13, v113, v13, vcc_lo
	v_cndmask_b32_e64 v87, v87, 0x6f, vcc_lo
	v_lshl_add_u32 v113, 0x200000, v87, -1
	v_lshlrev_b32_e64 v46, v87, 0x100000
	v_and_b32_e32 v113, v113, v13
	v_cmp_eq_u32_e64 s16, v113, v46
	v_lshrrev_b32_e32 v113, v87, v13
	v_add_nc_u32_e32 v13, 0xffffff91, v86
	v_lshrrev_b32_e32 v86, 23, v113
	v_cndmask_b32_e64 v13, v13, 0xffffff92, vcc_lo
	v_xor_b32_e32 v86, 1, v86
	v_add_nc_u32_e32 v13, v87, v13
	v_bfe_u32 v87, v113, 21, 1
	v_add_nc_u32_e32 v87, -1, v87
	v_cndmask_b32_e64 v87, 0, v87, s16
	s_mov_b32 s16, exec_lo
	v_add_nc_u32_e32 v87, v87, v113
	v_and_b32_e32 v87, 0x1fffff, v87
	v_add_nc_u32_e32 v87, v87, v113
                                        ; implicit-def: $vgpr113
	v_cmpx_ne_u32_e64 v13, v86
	s_xor_b32 s16, exec_lo, s16
; %bb.7172:                             ;   in Loop: Header=BB6_6037 Depth=3
	v_cmp_lt_u32_e32 vcc_lo, 0xffffff, v87
	v_sub_nc_u32_e32 v13, v13, v86
	v_cndmask_b32_e64 v86, 0, 1, vcc_lo
	v_add_co_ci_u32_e64 v113, null, 0, v13, vcc_lo
	v_lshrrev_b32_e32 v87, v86, v87
; %bb.7173:                             ;   in Loop: Header=BB6_6037 Depth=3
	s_andn2_saveexec_b32 s16, s16
; %bb.7174:                             ;   in Loop: Header=BB6_6037 Depth=3
	v_bfe_u32 v113, v87, 23, 1
; %bb.7175:                             ;   in Loop: Header=BB6_6037 Depth=3
	s_or_b32 exec_lo, exec_lo, s16
	v_lshrrev_b32_e32 v86, 21, v87
	v_min_i32_e32 v87, 31, v113
	v_cmp_gt_i32_e32 vcc_lo, 32, v113
	v_and_b32_sdwa v13, v112, v60 dst_sel:DWORD dst_unused:UNUSED_PAD src0_sel:BYTE_3 src1_sel:DWORD
	v_lshlrev_b32_e32 v87, 2, v87
	v_cndmask_b32_e32 v86, 3, v86, vcc_lo
	v_and_b32_e32 v87, 0xfc, v87
	v_or_b32_e32 v112, v113, v86
	v_and_b32_e32 v86, 3, v86
	v_cmp_ne_u32_e32 vcc_lo, 0, v112
	v_or3_b32 v13, v87, v13, v86
	v_cndmask_b32_e32 v13, 0, v13, vcc_lo
.LBB6_7176:                             ;   in Loop: Header=BB6_6037 Depth=3
	s_or_b32 exec_lo, exec_lo, s22
.LBB6_7177:                             ;   in Loop: Header=BB6_6037 Depth=3
	s_or_b32 exec_lo, exec_lo, s19
	v_cmp_gt_i16_sdwa s19, v14, v59 src0_sel:BYTE_1 src1_sel:DWORD
	s_mov_b32 s16, 0
	s_and_saveexec_b32 s22, s19
	s_xor_b32 s19, exec_lo, s22
	s_cbranch_execz .LBB6_7543
; %bb.7178:                             ;   in Loop: Header=BB6_6037 Depth=3
	v_cmp_eq_u16_sdwa s23, v14, v60 src0_sel:BYTE_1 src1_sel:DWORD
	s_mov_b32 s16, -1
	s_and_saveexec_b32 s22, s23
; %bb.7179:                             ;   in Loop: Header=BB6_6037 Depth=3
	s_xor_b32 s16, exec_lo, -1
; %bb.7180:                             ;   in Loop: Header=BB6_6037 Depth=3
	s_or_b32 exec_lo, exec_lo, s22
	s_and_b32 s16, s16, exec_lo
	s_or_saveexec_b32 s19, s19
	v_mov_b32_e32 v86, 0x7f800001
	s_xor_b32 exec_lo, exec_lo, s19
	s_cbranch_execnz .LBB6_7544
.LBB6_7181:                             ;   in Loop: Header=BB6_6037 Depth=3
	s_or_b32 exec_lo, exec_lo, s19
	s_and_saveexec_b32 s19, s16
	s_cbranch_execz .LBB6_7183
.LBB6_7182:                             ;   in Loop: Header=BB6_6037 Depth=3
	v_and_b32_sdwa v86, v61, v14 dst_sel:DWORD dst_unused:UNUSED_PAD src0_sel:DWORD src1_sel:BYTE_1
	v_and_b32_e32 v87, 3, v86
	v_bfe_u32 v46, v86, 2, 5
	v_ffbh_u32_e32 v112, v87
	v_cmp_eq_u32_e32 vcc_lo, 0, v46
	v_min_u32_e32 v112, 32, v112
	v_subrev_nc_u32_e32 v113, 29, v112
	v_sub_nc_u32_e32 v112, 30, v112
	v_lshlrev_b32_e32 v86, v113, v86
	v_lshlrev_b32_sdwa v113, v62, v14 dst_sel:DWORD dst_unused:UNUSED_PAD src0_sel:DWORD src1_sel:BYTE_1
	v_cndmask_b32_e32 v112, v46, v112, vcc_lo
	v_and_b32_e32 v86, 3, v86
	v_lshl_add_u32 v112, v112, 23, 0x37800000
	v_cndmask_b32_e32 v86, v87, v86, vcc_lo
	v_and_b32_e32 v87, 0x80000000, v113
	v_lshlrev_b32_e32 v86, 21, v86
	v_or3_b32 v86, v87, v112, v86
.LBB6_7183:                             ;   in Loop: Header=BB6_6037 Depth=3
	s_or_b32 exec_lo, exec_lo, s19
	v_cmp_gt_i16_sdwa s19, v10, v59 src0_sel:BYTE_1 src1_sel:DWORD
	s_mov_b32 s16, 0
	s_and_saveexec_b32 s22, s19
	s_xor_b32 s19, exec_lo, s22
	s_cbranch_execz .LBB6_7545
; %bb.7184:                             ;   in Loop: Header=BB6_6037 Depth=3
	v_cmp_eq_u16_sdwa s23, v10, v60 src0_sel:BYTE_1 src1_sel:DWORD
	s_mov_b32 s16, -1
	s_and_saveexec_b32 s22, s23
; %bb.7185:                             ;   in Loop: Header=BB6_6037 Depth=3
	s_xor_b32 s16, exec_lo, -1
; %bb.7186:                             ;   in Loop: Header=BB6_6037 Depth=3
	s_or_b32 exec_lo, exec_lo, s22
	s_and_b32 s16, s16, exec_lo
	s_or_saveexec_b32 s19, s19
	v_mov_b32_e32 v87, 0x7f800001
	s_xor_b32 exec_lo, exec_lo, s19
	s_cbranch_execnz .LBB6_7546
.LBB6_7187:                             ;   in Loop: Header=BB6_6037 Depth=3
	s_or_b32 exec_lo, exec_lo, s19
	s_and_saveexec_b32 s19, s16
	s_cbranch_execz .LBB6_7189
.LBB6_7188:                             ;   in Loop: Header=BB6_6037 Depth=3
	v_and_b32_sdwa v87, v61, v10 dst_sel:DWORD dst_unused:UNUSED_PAD src0_sel:DWORD src1_sel:BYTE_1
	v_and_b32_e32 v112, 3, v87
	v_bfe_u32 v58, v87, 2, 5
	v_ffbh_u32_e32 v113, v112
	v_cmp_eq_u32_e32 vcc_lo, 0, v58
	v_min_u32_e32 v113, 32, v113
	v_subrev_nc_u32_e32 v46, 29, v113
	v_sub_nc_u32_e32 v113, 30, v113
	v_lshlrev_b32_e32 v87, v46, v87
	v_lshlrev_b32_sdwa v46, v62, v10 dst_sel:DWORD dst_unused:UNUSED_PAD src0_sel:DWORD src1_sel:BYTE_1
	v_cndmask_b32_e32 v113, v58, v113, vcc_lo
	v_and_b32_e32 v87, 3, v87
	v_lshl_add_u32 v113, v113, 23, 0x37800000
	v_cndmask_b32_e32 v87, v112, v87, vcc_lo
	v_and_b32_e32 v112, 0x80000000, v46
	v_lshlrev_b32_e32 v87, 21, v87
	v_or3_b32 v87, v112, v113, v87
.LBB6_7189:                             ;   in Loop: Header=BB6_6037 Depth=3
	s_or_b32 exec_lo, exec_lo, s19
	v_mul_f32_e32 v112, v86, v87
	v_mov_b32_e32 v73, 0x8000
	s_mov_b32 s19, exec_lo
	v_and_b32_e32 v86, 0x7f800000, v112
	v_cmpx_ne_u32_e32 0x7f800000, v86
	s_cbranch_execz .LBB6_7197
; %bb.7190:                             ;   in Loop: Header=BB6_6037 Depth=3
	v_mov_b32_e32 v73, 0
	s_mov_b32 s22, exec_lo
	v_cmpx_ne_u32_e32 0, v112
	s_cbranch_execz .LBB6_7196
; %bb.7191:                             ;   in Loop: Header=BB6_6037 Depth=3
	v_bfe_u32 v87, v112, 23, 8
	v_and_b32_e32 v86, 0x7fffff, v112
	v_cmp_gt_u32_e64 s16, 0x71, v87
	v_sub_nc_u32_e32 v113, 0x70, v87
	v_cmp_eq_u32_e32 vcc_lo, 0, v87
	v_or_b32_e32 v46, 0x800000, v86
	v_cndmask_b32_e64 v113, 0, v113, s16
	v_cndmask_b32_e32 v86, v46, v86, vcc_lo
	v_cndmask_b32_e64 v113, v113, 0x6f, vcc_lo
	v_lshl_add_u32 v46, 0x200000, v113, -1
	v_lshlrev_b32_e64 v58, v113, 0x100000
	v_and_b32_e32 v46, v46, v86
	v_cmp_eq_u32_e64 s16, v46, v58
	v_lshrrev_b32_e32 v46, v113, v86
	v_add_nc_u32_e32 v86, 0xffffff91, v87
	v_lshrrev_b32_e32 v87, 23, v46
	v_cndmask_b32_e64 v86, v86, 0xffffff92, vcc_lo
	v_xor_b32_e32 v87, 1, v87
	v_add_nc_u32_e32 v86, v113, v86
	v_bfe_u32 v113, v46, 21, 1
	v_add_nc_u32_e32 v113, -1, v113
	v_cndmask_b32_e64 v113, 0, v113, s16
	s_mov_b32 s16, exec_lo
	v_add_nc_u32_e32 v113, v113, v46
	v_and_b32_e32 v113, 0x1fffff, v113
	v_add_nc_u32_e32 v113, v113, v46
                                        ; implicit-def: $vgpr46
	v_cmpx_ne_u32_e64 v86, v87
	s_xor_b32 s16, exec_lo, s16
; %bb.7192:                             ;   in Loop: Header=BB6_6037 Depth=3
	v_cmp_lt_u32_e32 vcc_lo, 0xffffff, v113
	v_sub_nc_u32_e32 v86, v86, v87
	v_cndmask_b32_e64 v87, 0, 1, vcc_lo
	v_add_co_ci_u32_e64 v46, null, 0, v86, vcc_lo
	v_lshrrev_b32_e32 v113, v87, v113
; %bb.7193:                             ;   in Loop: Header=BB6_6037 Depth=3
	s_andn2_saveexec_b32 s16, s16
; %bb.7194:                             ;   in Loop: Header=BB6_6037 Depth=3
	v_bfe_u32 v46, v113, 23, 1
; %bb.7195:                             ;   in Loop: Header=BB6_6037 Depth=3
	s_or_b32 exec_lo, exec_lo, s16
	v_and_b32_sdwa v86, v112, v60 dst_sel:DWORD dst_unused:UNUSED_PAD src0_sel:BYTE_3 src1_sel:DWORD
	v_lshrrev_b32_e32 v87, 21, v113
	v_min_i32_e32 v112, 31, v46
	v_cmp_gt_i32_e32 vcc_lo, 32, v46
	v_lshlrev_b32_e32 v112, 2, v112
	v_cndmask_b32_e32 v87, 3, v87, vcc_lo
	v_and_b32_e32 v112, 0xfc, v112
	v_or_b32_e32 v113, v46, v87
	v_and_b32_e32 v87, 3, v87
	v_cmp_ne_u32_e32 vcc_lo, 0, v113
	v_or3_b32 v86, v86, v112, v87
	v_lshlrev_b32_e32 v86, 8, v86
	v_cndmask_b32_e32 v73, 0, v86, vcc_lo
.LBB6_7196:                             ;   in Loop: Header=BB6_6037 Depth=3
	s_or_b32 exec_lo, exec_lo, s22
.LBB6_7197:                             ;   in Loop: Header=BB6_6037 Depth=3
	s_or_b32 exec_lo, exec_lo, s19
	v_and_b32_sdwa v87, v14, v63 dst_sel:DWORD dst_unused:UNUSED_PAD src0_sel:WORD_1 src1_sel:DWORD
	s_mov_b32 s19, 0
	s_mov_b32 s16, exec_lo
	v_cmpx_lt_i16_e32 0x7f, v87
	s_xor_b32 s16, exec_lo, s16
	s_cbranch_execz .LBB6_7547
; %bb.7198:                             ;   in Loop: Header=BB6_6037 Depth=3
	s_mov_b32 s19, -1
	s_mov_b32 s22, exec_lo
	v_cmpx_eq_u16_e32 0x80, v87
; %bb.7199:                             ;   in Loop: Header=BB6_6037 Depth=3
	s_xor_b32 s19, exec_lo, -1
; %bb.7200:                             ;   in Loop: Header=BB6_6037 Depth=3
	s_or_b32 exec_lo, exec_lo, s22
	s_and_b32 s19, s19, exec_lo
                                        ; implicit-def: $vgpr87
	s_or_saveexec_b32 s16, s16
	v_mov_b32_e32 v86, 0x7f800001
	s_xor_b32 exec_lo, exec_lo, s16
	s_cbranch_execnz .LBB6_7548
.LBB6_7201:                             ;   in Loop: Header=BB6_6037 Depth=3
	s_or_b32 exec_lo, exec_lo, s16
	s_and_saveexec_b32 s16, s19
	s_cbranch_execz .LBB6_7203
.LBB6_7202:                             ;   in Loop: Header=BB6_6037 Depth=3
	v_bfe_u32 v86, v14, 16, 2
	v_bfe_u32 v87, v14, 18, 5
	v_ffbh_u32_e32 v112, v86
	v_cmp_eq_u32_e32 vcc_lo, 0, v87
	v_min_u32_e32 v112, 32, v112
	v_subrev_nc_u32_e32 v113, 29, v112
	v_sub_nc_u32_e32 v112, 30, v112
	v_lshlrev_b32_sdwa v113, v113, v14 dst_sel:DWORD dst_unused:UNUSED_PAD src0_sel:DWORD src1_sel:WORD_1
	v_cndmask_b32_e32 v87, v87, v112, vcc_lo
	v_lshlrev_b32_e32 v112, 8, v14
	v_and_b32_e32 v113, 3, v113
	v_lshl_add_u32 v87, v87, 23, 0x37800000
	v_and_b32_e32 v112, 0x80000000, v112
	v_cndmask_b32_e32 v86, v86, v113, vcc_lo
	v_lshlrev_b32_e32 v86, 21, v86
	v_or3_b32 v86, v112, v87, v86
.LBB6_7203:                             ;   in Loop: Header=BB6_6037 Depth=3
	s_or_b32 exec_lo, exec_lo, s16
	v_and_b32_sdwa v112, v10, v63 dst_sel:DWORD dst_unused:UNUSED_PAD src0_sel:WORD_1 src1_sel:DWORD
	s_mov_b32 s19, 0
	s_mov_b32 s16, exec_lo
	v_cmpx_lt_i16_e32 0x7f, v112
	s_xor_b32 s16, exec_lo, s16
	s_cbranch_execz .LBB6_7549
; %bb.7204:                             ;   in Loop: Header=BB6_6037 Depth=3
	s_mov_b32 s19, -1
	s_mov_b32 s22, exec_lo
	v_cmpx_eq_u16_e32 0x80, v112
; %bb.7205:                             ;   in Loop: Header=BB6_6037 Depth=3
	s_xor_b32 s19, exec_lo, -1
; %bb.7206:                             ;   in Loop: Header=BB6_6037 Depth=3
	s_or_b32 exec_lo, exec_lo, s22
	s_and_b32 s19, s19, exec_lo
                                        ; implicit-def: $vgpr112
	s_or_saveexec_b32 s16, s16
	v_mov_b32_e32 v87, 0x7f800001
	s_xor_b32 exec_lo, exec_lo, s16
	s_cbranch_execnz .LBB6_7550
.LBB6_7207:                             ;   in Loop: Header=BB6_6037 Depth=3
	s_or_b32 exec_lo, exec_lo, s16
	s_and_saveexec_b32 s16, s19
	s_cbranch_execz .LBB6_7209
.LBB6_7208:                             ;   in Loop: Header=BB6_6037 Depth=3
	v_bfe_u32 v87, v10, 16, 2
	v_bfe_u32 v112, v10, 18, 5
	v_ffbh_u32_e32 v113, v87
	v_cmp_eq_u32_e32 vcc_lo, 0, v112
	v_min_u32_e32 v113, 32, v113
	v_subrev_nc_u32_e32 v46, 29, v113
	v_sub_nc_u32_e32 v113, 30, v113
	v_lshlrev_b32_sdwa v46, v46, v10 dst_sel:DWORD dst_unused:UNUSED_PAD src0_sel:DWORD src1_sel:WORD_1
	v_cndmask_b32_e32 v112, v112, v113, vcc_lo
	v_lshlrev_b32_e32 v113, 8, v10
	v_and_b32_e32 v46, 3, v46
	v_lshl_add_u32 v112, v112, 23, 0x37800000
	v_and_b32_e32 v113, 0x80000000, v113
	v_cndmask_b32_e32 v87, v87, v46, vcc_lo
	v_lshlrev_b32_e32 v87, 21, v87
	v_or3_b32 v87, v113, v112, v87
.LBB6_7209:                             ;   in Loop: Header=BB6_6037 Depth=3
	s_or_b32 exec_lo, exec_lo, s16
	v_mul_f32_e32 v112, v86, v87
	v_mov_b32_e32 v46, 0x80
	s_mov_b32 s19, exec_lo
	v_and_b32_e32 v86, 0x7f800000, v112
	v_cmpx_ne_u32_e32 0x7f800000, v86
	s_cbranch_execz .LBB6_7217
; %bb.7210:                             ;   in Loop: Header=BB6_6037 Depth=3
	v_mov_b32_e32 v46, 0
	s_mov_b32 s22, exec_lo
	v_cmpx_ne_u32_e32 0, v112
	s_cbranch_execz .LBB6_7216
; %bb.7211:                             ;   in Loop: Header=BB6_6037 Depth=3
	v_bfe_u32 v87, v112, 23, 8
	v_and_b32_e32 v86, 0x7fffff, v112
	v_cmp_gt_u32_e64 s16, 0x71, v87
	v_sub_nc_u32_e32 v113, 0x70, v87
	v_cmp_eq_u32_e32 vcc_lo, 0, v87
	v_or_b32_e32 v46, 0x800000, v86
	v_cndmask_b32_e64 v113, 0, v113, s16
	v_cndmask_b32_e32 v86, v46, v86, vcc_lo
	v_cndmask_b32_e64 v113, v113, 0x6f, vcc_lo
	v_lshl_add_u32 v46, 0x200000, v113, -1
	v_lshlrev_b32_e64 v58, v113, 0x100000
	v_and_b32_e32 v46, v46, v86
	v_cmp_eq_u32_e64 s16, v46, v58
	v_lshrrev_b32_e32 v46, v113, v86
	v_add_nc_u32_e32 v86, 0xffffff91, v87
	v_lshrrev_b32_e32 v87, 23, v46
	v_cndmask_b32_e64 v86, v86, 0xffffff92, vcc_lo
	v_xor_b32_e32 v87, 1, v87
	v_add_nc_u32_e32 v86, v113, v86
	v_bfe_u32 v113, v46, 21, 1
	v_add_nc_u32_e32 v113, -1, v113
	v_cndmask_b32_e64 v113, 0, v113, s16
	s_mov_b32 s16, exec_lo
	v_add_nc_u32_e32 v113, v113, v46
	v_and_b32_e32 v113, 0x1fffff, v113
	v_add_nc_u32_e32 v113, v113, v46
                                        ; implicit-def: $vgpr46
	v_cmpx_ne_u32_e64 v86, v87
	s_xor_b32 s16, exec_lo, s16
; %bb.7212:                             ;   in Loop: Header=BB6_6037 Depth=3
	v_cmp_lt_u32_e32 vcc_lo, 0xffffff, v113
	v_sub_nc_u32_e32 v86, v86, v87
	v_cndmask_b32_e64 v87, 0, 1, vcc_lo
	v_add_co_ci_u32_e64 v46, null, 0, v86, vcc_lo
	v_lshrrev_b32_e32 v113, v87, v113
; %bb.7213:                             ;   in Loop: Header=BB6_6037 Depth=3
	s_andn2_saveexec_b32 s16, s16
; %bb.7214:                             ;   in Loop: Header=BB6_6037 Depth=3
	v_bfe_u32 v46, v113, 23, 1
; %bb.7215:                             ;   in Loop: Header=BB6_6037 Depth=3
	s_or_b32 exec_lo, exec_lo, s16
	v_and_b32_sdwa v86, v112, v60 dst_sel:DWORD dst_unused:UNUSED_PAD src0_sel:BYTE_3 src1_sel:DWORD
	v_lshrrev_b32_e32 v87, 21, v113
	v_min_i32_e32 v112, 31, v46
	v_cmp_gt_i32_e32 vcc_lo, 32, v46
	v_lshlrev_b32_e32 v112, 2, v112
	v_cndmask_b32_e32 v87, 3, v87, vcc_lo
	v_and_b32_e32 v112, 0xfc, v112
	v_or_b32_e32 v113, v46, v87
	v_and_b32_e32 v87, 3, v87
	v_cmp_ne_u32_e32 vcc_lo, 0, v113
	v_or3_b32 v86, v112, v86, v87
	v_cndmask_b32_e32 v46, 0, v86, vcc_lo
.LBB6_7216:                             ;   in Loop: Header=BB6_6037 Depth=3
	s_or_b32 exec_lo, exec_lo, s22
.LBB6_7217:                             ;   in Loop: Header=BB6_6037 Depth=3
	s_or_b32 exec_lo, exec_lo, s19
	v_cmp_gt_i16_sdwa s19, v14, v59 src0_sel:BYTE_3 src1_sel:DWORD
	s_mov_b32 s16, 0
	s_and_saveexec_b32 s22, s19
	s_xor_b32 s19, exec_lo, s22
	s_cbranch_execz .LBB6_7551
; %bb.7218:                             ;   in Loop: Header=BB6_6037 Depth=3
	v_cmp_eq_u16_sdwa s23, v14, v60 src0_sel:BYTE_3 src1_sel:DWORD
	s_mov_b32 s16, -1
	s_and_saveexec_b32 s22, s23
; %bb.7219:                             ;   in Loop: Header=BB6_6037 Depth=3
	s_xor_b32 s16, exec_lo, -1
; %bb.7220:                             ;   in Loop: Header=BB6_6037 Depth=3
	s_or_b32 exec_lo, exec_lo, s22
	s_and_b32 s16, s16, exec_lo
	s_or_saveexec_b32 s19, s19
	v_mov_b32_e32 v86, 0x7f800001
	s_xor_b32 exec_lo, exec_lo, s19
	s_cbranch_execnz .LBB6_7552
.LBB6_7221:                             ;   in Loop: Header=BB6_6037 Depth=3
	s_or_b32 exec_lo, exec_lo, s19
	s_and_saveexec_b32 s19, s16
	s_cbranch_execz .LBB6_7223
.LBB6_7222:                             ;   in Loop: Header=BB6_6037 Depth=3
	v_bfe_u32 v86, v14, 24, 2
	v_bfe_u32 v113, v14, 26, 5
	v_ffbh_u32_e32 v87, v86
	v_cmp_eq_u32_e32 vcc_lo, 0, v113
	v_min_u32_e32 v87, 32, v87
	v_subrev_nc_u32_e32 v112, 29, v87
	v_sub_nc_u32_e32 v87, 30, v87
	v_lshlrev_b32_sdwa v112, v112, v14 dst_sel:DWORD dst_unused:UNUSED_PAD src0_sel:DWORD src1_sel:BYTE_3
	v_cndmask_b32_e32 v87, v113, v87, vcc_lo
	v_and_b32_e32 v14, 0x80000000, v14
	v_and_b32_e32 v112, 3, v112
	v_lshl_add_u32 v87, v87, 23, 0x37800000
	v_cndmask_b32_e32 v86, v86, v112, vcc_lo
	v_lshlrev_b32_e32 v86, 21, v86
	v_or3_b32 v86, v14, v87, v86
.LBB6_7223:                             ;   in Loop: Header=BB6_6037 Depth=3
	s_or_b32 exec_lo, exec_lo, s19
	v_cmp_gt_i16_sdwa s19, v10, v59 src0_sel:BYTE_3 src1_sel:DWORD
	s_mov_b32 s16, 0
	s_and_saveexec_b32 s22, s19
	s_xor_b32 s19, exec_lo, s22
	s_cbranch_execz .LBB6_7553
; %bb.7224:                             ;   in Loop: Header=BB6_6037 Depth=3
	v_cmp_eq_u16_sdwa s23, v10, v60 src0_sel:BYTE_3 src1_sel:DWORD
	s_mov_b32 s16, -1
	s_and_saveexec_b32 s22, s23
; %bb.7225:                             ;   in Loop: Header=BB6_6037 Depth=3
	s_xor_b32 s16, exec_lo, -1
; %bb.7226:                             ;   in Loop: Header=BB6_6037 Depth=3
	s_or_b32 exec_lo, exec_lo, s22
	s_and_b32 s16, s16, exec_lo
	s_or_saveexec_b32 s19, s19
	v_mov_b32_e32 v14, 0x7f800001
	s_xor_b32 exec_lo, exec_lo, s19
	s_cbranch_execnz .LBB6_7554
.LBB6_7227:                             ;   in Loop: Header=BB6_6037 Depth=3
	s_or_b32 exec_lo, exec_lo, s19
	s_and_saveexec_b32 s19, s16
	s_cbranch_execz .LBB6_7229
.LBB6_7228:                             ;   in Loop: Header=BB6_6037 Depth=3
	v_bfe_u32 v14, v10, 24, 2
	v_bfe_u32 v113, v10, 26, 5
	v_ffbh_u32_e32 v87, v14
	v_cmp_eq_u32_e32 vcc_lo, 0, v113
	v_min_u32_e32 v87, 32, v87
	v_subrev_nc_u32_e32 v112, 29, v87
	v_sub_nc_u32_e32 v87, 30, v87
	v_lshlrev_b32_sdwa v112, v112, v10 dst_sel:DWORD dst_unused:UNUSED_PAD src0_sel:DWORD src1_sel:BYTE_3
	v_cndmask_b32_e32 v87, v113, v87, vcc_lo
	v_and_b32_e32 v10, 0x80000000, v10
	v_and_b32_e32 v112, 3, v112
	v_lshl_add_u32 v87, v87, 23, 0x37800000
	v_cndmask_b32_e32 v14, v14, v112, vcc_lo
	v_lshlrev_b32_e32 v14, 21, v14
	v_or3_b32 v14, v10, v87, v14
.LBB6_7229:                             ;   in Loop: Header=BB6_6037 Depth=3
	s_or_b32 exec_lo, exec_lo, s19
	v_mul_f32_e32 v14, v86, v14
	v_and_b32_e32 v10, 0x7f800000, v14
	v_cmp_ne_u32_e32 vcc_lo, 0x7f800000, v10
	v_mov_b32_e32 v10, 0x8000
	s_and_saveexec_b32 s19, vcc_lo
	s_cbranch_execz .LBB6_7237
; %bb.7230:                             ;   in Loop: Header=BB6_6037 Depth=3
	v_mov_b32_e32 v10, 0
	s_mov_b32 s22, exec_lo
	v_cmpx_ne_u32_e32 0, v14
	s_cbranch_execz .LBB6_7236
; %bb.7231:                             ;   in Loop: Header=BB6_6037 Depth=3
	v_bfe_u32 v86, v14, 23, 8
	v_and_b32_e32 v10, 0x7fffff, v14
	v_cmp_gt_u32_e64 s16, 0x71, v86
	v_sub_nc_u32_e32 v87, 0x70, v86
	v_cmp_eq_u32_e32 vcc_lo, 0, v86
	v_or_b32_e32 v112, 0x800000, v10
	v_cndmask_b32_e64 v87, 0, v87, s16
	v_cndmask_b32_e32 v10, v112, v10, vcc_lo
	v_cndmask_b32_e64 v87, v87, 0x6f, vcc_lo
	v_lshl_add_u32 v112, 0x200000, v87, -1
	v_lshlrev_b32_e64 v113, v87, 0x100000
	v_and_b32_e32 v112, v112, v10
	v_cmp_eq_u32_e64 s16, v112, v113
	v_lshrrev_b32_e32 v112, v87, v10
	v_add_nc_u32_e32 v10, 0xffffff91, v86
	v_lshrrev_b32_e32 v86, 23, v112
	v_cndmask_b32_e64 v10, v10, 0xffffff92, vcc_lo
	v_xor_b32_e32 v86, 1, v86
	v_add_nc_u32_e32 v10, v87, v10
	v_bfe_u32 v87, v112, 21, 1
	v_add_nc_u32_e32 v87, -1, v87
	v_cndmask_b32_e64 v87, 0, v87, s16
	s_mov_b32 s16, exec_lo
	v_add_nc_u32_e32 v87, v87, v112
	v_and_b32_e32 v87, 0x1fffff, v87
	v_add_nc_u32_e32 v87, v87, v112
                                        ; implicit-def: $vgpr112
	v_cmpx_ne_u32_e64 v10, v86
	s_xor_b32 s16, exec_lo, s16
; %bb.7232:                             ;   in Loop: Header=BB6_6037 Depth=3
	v_cmp_lt_u32_e32 vcc_lo, 0xffffff, v87
	v_sub_nc_u32_e32 v10, v10, v86
	v_cndmask_b32_e64 v86, 0, 1, vcc_lo
	v_add_co_ci_u32_e64 v112, null, 0, v10, vcc_lo
	v_lshrrev_b32_e32 v87, v86, v87
; %bb.7233:                             ;   in Loop: Header=BB6_6037 Depth=3
	s_andn2_saveexec_b32 s16, s16
; %bb.7234:                             ;   in Loop: Header=BB6_6037 Depth=3
	v_bfe_u32 v112, v87, 23, 1
; %bb.7235:                             ;   in Loop: Header=BB6_6037 Depth=3
	s_or_b32 exec_lo, exec_lo, s16
	v_and_b32_sdwa v10, v14, v60 dst_sel:DWORD dst_unused:UNUSED_PAD src0_sel:BYTE_3 src1_sel:DWORD
	v_lshrrev_b32_e32 v14, 21, v87
	v_min_i32_e32 v86, 31, v112
	v_cmp_gt_i32_e32 vcc_lo, 32, v112
	v_lshlrev_b32_e32 v86, 2, v86
	v_cndmask_b32_e32 v14, 3, v14, vcc_lo
	v_and_b32_e32 v86, 0xfc, v86
	v_or_b32_e32 v87, v112, v14
	v_and_b32_e32 v14, 3, v14
	v_cmp_ne_u32_e32 vcc_lo, 0, v87
	v_or3_b32 v10, v10, v86, v14
	v_lshlrev_b32_e32 v10, 8, v10
	v_cndmask_b32_e32 v10, 0, v10, vcc_lo
.LBB6_7236:                             ;   in Loop: Header=BB6_6037 Depth=3
	s_or_b32 exec_lo, exec_lo, s22
.LBB6_7237:                             ;   in Loop: Header=BB6_6037 Depth=3
	s_or_b32 exec_lo, exec_lo, s19
	v_cmp_gt_i16_sdwa s16, v15, v59 src0_sel:BYTE_0 src1_sel:DWORD
	s_mov_b32 s19, 0
	s_and_saveexec_b32 s22, s16
	s_xor_b32 s16, exec_lo, s22
	s_cbranch_execz .LBB6_7555
; %bb.7238:                             ;   in Loop: Header=BB6_6037 Depth=3
	v_cmp_eq_u16_sdwa s23, v15, v60 src0_sel:BYTE_0 src1_sel:DWORD
	s_mov_b32 s19, -1
	s_and_saveexec_b32 s22, s23
; %bb.7239:                             ;   in Loop: Header=BB6_6037 Depth=3
	s_xor_b32 s19, exec_lo, -1
; %bb.7240:                             ;   in Loop: Header=BB6_6037 Depth=3
	s_or_b32 exec_lo, exec_lo, s22
	s_and_b32 s19, s19, exec_lo
	s_or_saveexec_b32 s16, s16
	v_mov_b32_e32 v14, 0x7f800001
	s_xor_b32 exec_lo, exec_lo, s16
	s_cbranch_execnz .LBB6_7556
.LBB6_7241:                             ;   in Loop: Header=BB6_6037 Depth=3
	s_or_b32 exec_lo, exec_lo, s16
	s_and_saveexec_b32 s16, s19
	s_cbranch_execz .LBB6_7243
.LBB6_7242:                             ;   in Loop: Header=BB6_6037 Depth=3
	v_and_b32_e32 v14, 3, v15
	v_bfe_u32 v86, v15, 2, 5
	v_ffbh_u32_e32 v87, v14
	v_cmp_eq_u32_e32 vcc_lo, 0, v86
	v_min_u32_e32 v87, 32, v87
	v_subrev_nc_u32_e32 v112, 29, v87
	v_sub_nc_u32_e32 v87, 30, v87
	v_lshlrev_b32_e32 v112, v112, v15
	v_cndmask_b32_e32 v86, v86, v87, vcc_lo
	v_lshlrev_b32_e32 v87, 24, v15
	v_and_b32_e32 v112, 3, v112
	v_lshl_add_u32 v86, v86, 23, 0x37800000
	v_and_b32_e32 v87, 0x80000000, v87
	v_cndmask_b32_e32 v14, v14, v112, vcc_lo
	v_lshlrev_b32_e32 v14, 21, v14
	v_or3_b32 v14, v87, v86, v14
.LBB6_7243:                             ;   in Loop: Header=BB6_6037 Depth=3
	s_or_b32 exec_lo, exec_lo, s16
	v_cmp_gt_i16_sdwa s16, v11, v59 src0_sel:BYTE_0 src1_sel:DWORD
	s_mov_b32 s19, 0
	s_and_saveexec_b32 s22, s16
	s_xor_b32 s16, exec_lo, s22
	s_cbranch_execz .LBB6_7557
; %bb.7244:                             ;   in Loop: Header=BB6_6037 Depth=3
	v_cmp_eq_u16_sdwa s23, v11, v60 src0_sel:BYTE_0 src1_sel:DWORD
	s_mov_b32 s19, -1
	s_and_saveexec_b32 s22, s23
; %bb.7245:                             ;   in Loop: Header=BB6_6037 Depth=3
	s_xor_b32 s19, exec_lo, -1
; %bb.7246:                             ;   in Loop: Header=BB6_6037 Depth=3
	s_or_b32 exec_lo, exec_lo, s22
	s_and_b32 s19, s19, exec_lo
	s_or_saveexec_b32 s16, s16
	v_mov_b32_e32 v86, 0x7f800001
	s_xor_b32 exec_lo, exec_lo, s16
	s_cbranch_execnz .LBB6_7558
.LBB6_7247:                             ;   in Loop: Header=BB6_6037 Depth=3
	s_or_b32 exec_lo, exec_lo, s16
	s_and_saveexec_b32 s16, s19
	s_cbranch_execz .LBB6_7249
.LBB6_7248:                             ;   in Loop: Header=BB6_6037 Depth=3
	v_and_b32_e32 v86, 3, v11
	v_bfe_u32 v87, v11, 2, 5
	v_ffbh_u32_e32 v112, v86
	v_cmp_eq_u32_e32 vcc_lo, 0, v87
	v_min_u32_e32 v112, 32, v112
	v_subrev_nc_u32_e32 v113, 29, v112
	v_sub_nc_u32_e32 v112, 30, v112
	v_lshlrev_b32_e32 v113, v113, v11
	v_cndmask_b32_e32 v87, v87, v112, vcc_lo
	v_lshlrev_b32_e32 v112, 24, v11
	v_and_b32_e32 v113, 3, v113
	v_lshl_add_u32 v87, v87, 23, 0x37800000
	v_and_b32_e32 v112, 0x80000000, v112
	v_cndmask_b32_e32 v86, v86, v113, vcc_lo
	v_lshlrev_b32_e32 v86, 21, v86
	v_or3_b32 v86, v112, v87, v86
.LBB6_7249:                             ;   in Loop: Header=BB6_6037 Depth=3
	s_or_b32 exec_lo, exec_lo, s16
	v_mul_f32_e32 v112, v14, v86
	v_and_b32_e32 v14, 0x7f800000, v112
	v_cmp_ne_u32_e32 vcc_lo, 0x7f800000, v14
	v_mov_b32_e32 v14, 0x80
	s_and_saveexec_b32 s19, vcc_lo
	s_cbranch_execz .LBB6_7257
; %bb.7250:                             ;   in Loop: Header=BB6_6037 Depth=3
	v_mov_b32_e32 v14, 0
	s_mov_b32 s22, exec_lo
	v_cmpx_ne_u32_e32 0, v112
	s_cbranch_execz .LBB6_7256
; %bb.7251:                             ;   in Loop: Header=BB6_6037 Depth=3
	v_bfe_u32 v86, v112, 23, 8
	v_and_b32_e32 v14, 0x7fffff, v112
	v_cmp_gt_u32_e64 s16, 0x71, v86
	v_sub_nc_u32_e32 v87, 0x70, v86
	v_cmp_eq_u32_e32 vcc_lo, 0, v86
	v_or_b32_e32 v113, 0x800000, v14
	v_cndmask_b32_e64 v87, 0, v87, s16
	v_cndmask_b32_e32 v14, v113, v14, vcc_lo
	v_cndmask_b32_e64 v87, v87, 0x6f, vcc_lo
	v_lshl_add_u32 v113, 0x200000, v87, -1
	v_lshlrev_b32_e64 v58, v87, 0x100000
	v_and_b32_e32 v113, v113, v14
	v_cmp_eq_u32_e64 s16, v113, v58
	v_lshrrev_b32_e32 v113, v87, v14
	v_add_nc_u32_e32 v14, 0xffffff91, v86
	v_lshrrev_b32_e32 v86, 23, v113
	v_cndmask_b32_e64 v14, v14, 0xffffff92, vcc_lo
	v_xor_b32_e32 v86, 1, v86
	v_add_nc_u32_e32 v14, v87, v14
	v_bfe_u32 v87, v113, 21, 1
	v_add_nc_u32_e32 v87, -1, v87
	v_cndmask_b32_e64 v87, 0, v87, s16
	s_mov_b32 s16, exec_lo
	v_add_nc_u32_e32 v87, v87, v113
	v_and_b32_e32 v87, 0x1fffff, v87
	v_add_nc_u32_e32 v87, v87, v113
                                        ; implicit-def: $vgpr113
	v_cmpx_ne_u32_e64 v14, v86
	s_xor_b32 s16, exec_lo, s16
; %bb.7252:                             ;   in Loop: Header=BB6_6037 Depth=3
	v_cmp_lt_u32_e32 vcc_lo, 0xffffff, v87
	v_sub_nc_u32_e32 v14, v14, v86
	v_cndmask_b32_e64 v86, 0, 1, vcc_lo
	v_add_co_ci_u32_e64 v113, null, 0, v14, vcc_lo
	v_lshrrev_b32_e32 v87, v86, v87
; %bb.7253:                             ;   in Loop: Header=BB6_6037 Depth=3
	s_andn2_saveexec_b32 s16, s16
; %bb.7254:                             ;   in Loop: Header=BB6_6037 Depth=3
	v_bfe_u32 v113, v87, 23, 1
; %bb.7255:                             ;   in Loop: Header=BB6_6037 Depth=3
	s_or_b32 exec_lo, exec_lo, s16
	v_lshrrev_b32_e32 v86, 21, v87
	v_min_i32_e32 v87, 31, v113
	v_cmp_gt_i32_e32 vcc_lo, 32, v113
	v_and_b32_sdwa v14, v112, v60 dst_sel:DWORD dst_unused:UNUSED_PAD src0_sel:BYTE_3 src1_sel:DWORD
	v_lshlrev_b32_e32 v87, 2, v87
	v_cndmask_b32_e32 v86, 3, v86, vcc_lo
	v_and_b32_e32 v87, 0xfc, v87
	v_or_b32_e32 v112, v113, v86
	v_and_b32_e32 v86, 3, v86
	v_cmp_ne_u32_e32 vcc_lo, 0, v112
	v_or3_b32 v14, v87, v14, v86
	v_cndmask_b32_e32 v14, 0, v14, vcc_lo
.LBB6_7256:                             ;   in Loop: Header=BB6_6037 Depth=3
	s_or_b32 exec_lo, exec_lo, s22
.LBB6_7257:                             ;   in Loop: Header=BB6_6037 Depth=3
	s_or_b32 exec_lo, exec_lo, s19
	v_cmp_gt_i16_sdwa s19, v15, v59 src0_sel:BYTE_1 src1_sel:DWORD
	s_mov_b32 s16, 0
	s_and_saveexec_b32 s22, s19
	s_xor_b32 s19, exec_lo, s22
	s_cbranch_execz .LBB6_7559
; %bb.7258:                             ;   in Loop: Header=BB6_6037 Depth=3
	v_cmp_eq_u16_sdwa s23, v15, v60 src0_sel:BYTE_1 src1_sel:DWORD
	s_mov_b32 s16, -1
	s_and_saveexec_b32 s22, s23
; %bb.7259:                             ;   in Loop: Header=BB6_6037 Depth=3
	s_xor_b32 s16, exec_lo, -1
; %bb.7260:                             ;   in Loop: Header=BB6_6037 Depth=3
	s_or_b32 exec_lo, exec_lo, s22
	s_and_b32 s16, s16, exec_lo
	s_or_saveexec_b32 s19, s19
	v_mov_b32_e32 v86, 0x7f800001
	s_xor_b32 exec_lo, exec_lo, s19
	s_cbranch_execnz .LBB6_7560
.LBB6_7261:                             ;   in Loop: Header=BB6_6037 Depth=3
	s_or_b32 exec_lo, exec_lo, s19
	s_and_saveexec_b32 s19, s16
	s_cbranch_execz .LBB6_7263
.LBB6_7262:                             ;   in Loop: Header=BB6_6037 Depth=3
	v_and_b32_sdwa v86, v61, v15 dst_sel:DWORD dst_unused:UNUSED_PAD src0_sel:DWORD src1_sel:BYTE_1
	v_and_b32_e32 v87, 3, v86
	v_bfe_u32 v58, v86, 2, 5
	v_ffbh_u32_e32 v112, v87
	v_cmp_eq_u32_e32 vcc_lo, 0, v58
	v_min_u32_e32 v112, 32, v112
	v_subrev_nc_u32_e32 v113, 29, v112
	v_sub_nc_u32_e32 v112, 30, v112
	v_lshlrev_b32_e32 v86, v113, v86
	v_lshlrev_b32_sdwa v113, v62, v15 dst_sel:DWORD dst_unused:UNUSED_PAD src0_sel:DWORD src1_sel:BYTE_1
	v_cndmask_b32_e32 v112, v58, v112, vcc_lo
	v_and_b32_e32 v86, 3, v86
	v_lshl_add_u32 v112, v112, 23, 0x37800000
	v_cndmask_b32_e32 v86, v87, v86, vcc_lo
	v_and_b32_e32 v87, 0x80000000, v113
	v_lshlrev_b32_e32 v86, 21, v86
	v_or3_b32 v86, v87, v112, v86
.LBB6_7263:                             ;   in Loop: Header=BB6_6037 Depth=3
	s_or_b32 exec_lo, exec_lo, s19
	v_cmp_gt_i16_sdwa s19, v11, v59 src0_sel:BYTE_1 src1_sel:DWORD
	s_mov_b32 s16, 0
	s_and_saveexec_b32 s22, s19
	s_xor_b32 s19, exec_lo, s22
	s_cbranch_execz .LBB6_7561
; %bb.7264:                             ;   in Loop: Header=BB6_6037 Depth=3
	v_cmp_eq_u16_sdwa s23, v11, v60 src0_sel:BYTE_1 src1_sel:DWORD
	s_mov_b32 s16, -1
	s_and_saveexec_b32 s22, s23
; %bb.7265:                             ;   in Loop: Header=BB6_6037 Depth=3
	s_xor_b32 s16, exec_lo, -1
; %bb.7266:                             ;   in Loop: Header=BB6_6037 Depth=3
	s_or_b32 exec_lo, exec_lo, s22
	s_and_b32 s16, s16, exec_lo
	s_or_saveexec_b32 s19, s19
	v_mov_b32_e32 v87, 0x7f800001
	s_xor_b32 exec_lo, exec_lo, s19
	s_cbranch_execnz .LBB6_7562
.LBB6_7267:                             ;   in Loop: Header=BB6_6037 Depth=3
	s_or_b32 exec_lo, exec_lo, s19
	s_and_saveexec_b32 s19, s16
	s_cbranch_execz .LBB6_7269
.LBB6_7268:                             ;   in Loop: Header=BB6_6037 Depth=3
	v_and_b32_sdwa v87, v61, v11 dst_sel:DWORD dst_unused:UNUSED_PAD src0_sel:DWORD src1_sel:BYTE_1
	v_and_b32_e32 v112, 3, v87
	v_bfe_u32 v79, v87, 2, 5
	v_ffbh_u32_e32 v113, v112
	v_cmp_eq_u32_e32 vcc_lo, 0, v79
	v_min_u32_e32 v113, 32, v113
	v_subrev_nc_u32_e32 v58, 29, v113
	v_sub_nc_u32_e32 v113, 30, v113
	v_lshlrev_b32_e32 v87, v58, v87
	v_lshlrev_b32_sdwa v58, v62, v11 dst_sel:DWORD dst_unused:UNUSED_PAD src0_sel:DWORD src1_sel:BYTE_1
	v_cndmask_b32_e32 v113, v79, v113, vcc_lo
	v_and_b32_e32 v87, 3, v87
	v_lshl_add_u32 v113, v113, 23, 0x37800000
	v_cndmask_b32_e32 v87, v112, v87, vcc_lo
	v_and_b32_e32 v112, 0x80000000, v58
	v_lshlrev_b32_e32 v87, 21, v87
	v_or3_b32 v87, v112, v113, v87
.LBB6_7269:                             ;   in Loop: Header=BB6_6037 Depth=3
	s_or_b32 exec_lo, exec_lo, s19
	v_mul_f32_e32 v113, v86, v87
	v_mov_b32_e32 v112, 0x8000
	s_mov_b32 s19, exec_lo
	v_and_b32_e32 v86, 0x7f800000, v113
	v_cmpx_ne_u32_e32 0x7f800000, v86
	s_cbranch_execz .LBB6_7277
; %bb.7270:                             ;   in Loop: Header=BB6_6037 Depth=3
	v_mov_b32_e32 v112, 0
	s_mov_b32 s22, exec_lo
	v_cmpx_ne_u32_e32 0, v113
	s_cbranch_execz .LBB6_7276
; %bb.7271:                             ;   in Loop: Header=BB6_6037 Depth=3
	v_bfe_u32 v87, v113, 23, 8
	v_and_b32_e32 v86, 0x7fffff, v113
	v_cmp_gt_u32_e64 s16, 0x71, v87
	v_sub_nc_u32_e32 v112, 0x70, v87
	v_cmp_eq_u32_e32 vcc_lo, 0, v87
	v_or_b32_e32 v58, 0x800000, v86
	v_cndmask_b32_e64 v112, 0, v112, s16
	v_cndmask_b32_e32 v86, v58, v86, vcc_lo
	v_cndmask_b32_e64 v112, v112, 0x6f, vcc_lo
	v_lshl_add_u32 v58, 0x200000, v112, -1
	v_lshlrev_b32_e64 v79, v112, 0x100000
	v_and_b32_e32 v58, v58, v86
	v_cmp_eq_u32_e64 s16, v58, v79
	v_lshrrev_b32_e32 v58, v112, v86
	v_add_nc_u32_e32 v86, 0xffffff91, v87
	v_lshrrev_b32_e32 v87, 23, v58
	v_cndmask_b32_e64 v86, v86, 0xffffff92, vcc_lo
	v_xor_b32_e32 v87, 1, v87
	v_add_nc_u32_e32 v86, v112, v86
	v_bfe_u32 v112, v58, 21, 1
	v_add_nc_u32_e32 v112, -1, v112
	v_cndmask_b32_e64 v112, 0, v112, s16
	s_mov_b32 s16, exec_lo
	v_add_nc_u32_e32 v112, v112, v58
	v_and_b32_e32 v112, 0x1fffff, v112
	v_add_nc_u32_e32 v112, v112, v58
                                        ; implicit-def: $vgpr58
	v_cmpx_ne_u32_e64 v86, v87
	s_xor_b32 s16, exec_lo, s16
; %bb.7272:                             ;   in Loop: Header=BB6_6037 Depth=3
	v_cmp_lt_u32_e32 vcc_lo, 0xffffff, v112
	v_sub_nc_u32_e32 v86, v86, v87
	v_cndmask_b32_e64 v87, 0, 1, vcc_lo
	v_add_co_ci_u32_e64 v58, null, 0, v86, vcc_lo
	v_lshrrev_b32_e32 v112, v87, v112
; %bb.7273:                             ;   in Loop: Header=BB6_6037 Depth=3
	s_andn2_saveexec_b32 s16, s16
; %bb.7274:                             ;   in Loop: Header=BB6_6037 Depth=3
	v_bfe_u32 v58, v112, 23, 1
; %bb.7275:                             ;   in Loop: Header=BB6_6037 Depth=3
	s_or_b32 exec_lo, exec_lo, s16
	v_lshrrev_b32_e32 v87, 21, v112
	v_min_i32_e32 v112, 31, v58
	v_cmp_gt_i32_e32 vcc_lo, 32, v58
	v_and_b32_sdwa v86, v113, v60 dst_sel:DWORD dst_unused:UNUSED_PAD src0_sel:BYTE_3 src1_sel:DWORD
	v_lshlrev_b32_e32 v112, 2, v112
	v_cndmask_b32_e32 v87, 3, v87, vcc_lo
	v_and_b32_e32 v112, 0xfc, v112
	v_or_b32_e32 v113, v58, v87
	v_and_b32_e32 v87, 3, v87
	v_cmp_ne_u32_e32 vcc_lo, 0, v113
	v_or3_b32 v86, v86, v112, v87
	v_lshlrev_b32_e32 v86, 8, v86
	v_cndmask_b32_e32 v112, 0, v86, vcc_lo
.LBB6_7276:                             ;   in Loop: Header=BB6_6037 Depth=3
	s_or_b32 exec_lo, exec_lo, s22
.LBB6_7277:                             ;   in Loop: Header=BB6_6037 Depth=3
	s_or_b32 exec_lo, exec_lo, s19
	v_and_b32_sdwa v87, v15, v63 dst_sel:DWORD dst_unused:UNUSED_PAD src0_sel:WORD_1 src1_sel:DWORD
	s_mov_b32 s19, 0
	s_mov_b32 s16, exec_lo
	v_cmpx_lt_i16_e32 0x7f, v87
	s_xor_b32 s16, exec_lo, s16
	s_cbranch_execz .LBB6_7563
; %bb.7278:                             ;   in Loop: Header=BB6_6037 Depth=3
	s_mov_b32 s19, -1
	s_mov_b32 s22, exec_lo
	v_cmpx_eq_u16_e32 0x80, v87
; %bb.7279:                             ;   in Loop: Header=BB6_6037 Depth=3
	s_xor_b32 s19, exec_lo, -1
; %bb.7280:                             ;   in Loop: Header=BB6_6037 Depth=3
	s_or_b32 exec_lo, exec_lo, s22
	s_and_b32 s19, s19, exec_lo
                                        ; implicit-def: $vgpr87
	s_or_saveexec_b32 s16, s16
	v_mov_b32_e32 v86, 0x7f800001
	s_xor_b32 exec_lo, exec_lo, s16
	s_cbranch_execnz .LBB6_7564
.LBB6_7281:                             ;   in Loop: Header=BB6_6037 Depth=3
	s_or_b32 exec_lo, exec_lo, s16
	s_and_saveexec_b32 s16, s19
	s_cbranch_execz .LBB6_7283
.LBB6_7282:                             ;   in Loop: Header=BB6_6037 Depth=3
	v_bfe_u32 v86, v15, 16, 2
	v_bfe_u32 v87, v15, 18, 5
	v_ffbh_u32_e32 v113, v86
	v_cmp_eq_u32_e32 vcc_lo, 0, v87
	v_min_u32_e32 v113, 32, v113
	v_subrev_nc_u32_e32 v58, 29, v113
	v_sub_nc_u32_e32 v113, 30, v113
	v_lshlrev_b32_sdwa v58, v58, v15 dst_sel:DWORD dst_unused:UNUSED_PAD src0_sel:DWORD src1_sel:WORD_1
	v_cndmask_b32_e32 v87, v87, v113, vcc_lo
	v_lshlrev_b32_e32 v113, 8, v15
	v_and_b32_e32 v58, 3, v58
	v_lshl_add_u32 v87, v87, 23, 0x37800000
	v_and_b32_e32 v113, 0x80000000, v113
	v_cndmask_b32_e32 v86, v86, v58, vcc_lo
	v_lshlrev_b32_e32 v86, 21, v86
	v_or3_b32 v86, v113, v87, v86
.LBB6_7283:                             ;   in Loop: Header=BB6_6037 Depth=3
	s_or_b32 exec_lo, exec_lo, s16
	v_and_b32_sdwa v113, v11, v63 dst_sel:DWORD dst_unused:UNUSED_PAD src0_sel:WORD_1 src1_sel:DWORD
	s_mov_b32 s19, 0
	s_mov_b32 s16, exec_lo
	v_cmpx_lt_i16_e32 0x7f, v113
	s_xor_b32 s16, exec_lo, s16
	s_cbranch_execz .LBB6_7565
; %bb.7284:                             ;   in Loop: Header=BB6_6037 Depth=3
	s_mov_b32 s19, -1
	s_mov_b32 s22, exec_lo
	v_cmpx_eq_u16_e32 0x80, v113
; %bb.7285:                             ;   in Loop: Header=BB6_6037 Depth=3
	s_xor_b32 s19, exec_lo, -1
; %bb.7286:                             ;   in Loop: Header=BB6_6037 Depth=3
	s_or_b32 exec_lo, exec_lo, s22
	s_and_b32 s19, s19, exec_lo
                                        ; implicit-def: $vgpr113
	s_or_saveexec_b32 s16, s16
	v_mov_b32_e32 v87, 0x7f800001
	s_xor_b32 exec_lo, exec_lo, s16
	s_cbranch_execnz .LBB6_7566
.LBB6_7287:                             ;   in Loop: Header=BB6_6037 Depth=3
	s_or_b32 exec_lo, exec_lo, s16
	s_and_saveexec_b32 s16, s19
	s_cbranch_execz .LBB6_7289
.LBB6_7288:                             ;   in Loop: Header=BB6_6037 Depth=3
	v_bfe_u32 v87, v11, 16, 2
	v_bfe_u32 v113, v11, 18, 5
	v_ffbh_u32_e32 v58, v87
	v_cmp_eq_u32_e32 vcc_lo, 0, v113
	v_min_u32_e32 v58, 32, v58
	v_subrev_nc_u32_e32 v79, 29, v58
	v_sub_nc_u32_e32 v58, 30, v58
	v_lshlrev_b32_sdwa v79, v79, v11 dst_sel:DWORD dst_unused:UNUSED_PAD src0_sel:DWORD src1_sel:WORD_1
	v_cndmask_b32_e32 v113, v113, v58, vcc_lo
	v_lshlrev_b32_e32 v58, 8, v11
	v_and_b32_e32 v79, 3, v79
	v_lshl_add_u32 v113, v113, 23, 0x37800000
	v_and_b32_e32 v58, 0x80000000, v58
	v_cndmask_b32_e32 v87, v87, v79, vcc_lo
	v_lshlrev_b32_e32 v87, 21, v87
	v_or3_b32 v87, v58, v113, v87
.LBB6_7289:                             ;   in Loop: Header=BB6_6037 Depth=3
	s_or_b32 exec_lo, exec_lo, s16
	v_mul_f32_e32 v58, v86, v87
	v_mov_b32_e32 v113, 0x80
	s_mov_b32 s19, exec_lo
	v_and_b32_e32 v86, 0x7f800000, v58
	v_cmpx_ne_u32_e32 0x7f800000, v86
	s_cbranch_execz .LBB6_7297
; %bb.7290:                             ;   in Loop: Header=BB6_6037 Depth=3
	v_mov_b32_e32 v113, 0
	s_mov_b32 s22, exec_lo
	v_cmpx_ne_u32_e32 0, v58
	s_cbranch_execz .LBB6_7296
; %bb.7291:                             ;   in Loop: Header=BB6_6037 Depth=3
	v_bfe_u32 v87, v58, 23, 8
	v_and_b32_e32 v86, 0x7fffff, v58
	v_cmp_gt_u32_e64 s16, 0x71, v87
	v_sub_nc_u32_e32 v113, 0x70, v87
	v_cmp_eq_u32_e32 vcc_lo, 0, v87
	v_or_b32_e32 v79, 0x800000, v86
	v_cndmask_b32_e64 v113, 0, v113, s16
	v_cndmask_b32_e32 v86, v79, v86, vcc_lo
	v_cndmask_b32_e64 v113, v113, 0x6f, vcc_lo
	v_lshl_add_u32 v79, 0x200000, v113, -1
	v_lshlrev_b32_e64 v90, v113, 0x100000
	v_and_b32_e32 v79, v79, v86
	v_cmp_eq_u32_e64 s16, v79, v90
	v_lshrrev_b32_e32 v79, v113, v86
	v_add_nc_u32_e32 v86, 0xffffff91, v87
                                        ; implicit-def: $vgpr90
	v_lshrrev_b32_e32 v87, 23, v79
	v_cndmask_b32_e64 v86, v86, 0xffffff92, vcc_lo
	v_xor_b32_e32 v87, 1, v87
	v_add_nc_u32_e32 v86, v113, v86
	v_bfe_u32 v113, v79, 21, 1
	v_add_nc_u32_e32 v113, -1, v113
	v_cndmask_b32_e64 v113, 0, v113, s16
	s_mov_b32 s16, exec_lo
	v_add_nc_u32_e32 v113, v113, v79
	v_and_b32_e32 v113, 0x1fffff, v113
	v_add_nc_u32_e32 v113, v113, v79
	v_cmpx_ne_u32_e64 v86, v87
	s_xor_b32 s16, exec_lo, s16
; %bb.7292:                             ;   in Loop: Header=BB6_6037 Depth=3
	v_cmp_lt_u32_e32 vcc_lo, 0xffffff, v113
	v_sub_nc_u32_e32 v86, v86, v87
	v_cndmask_b32_e64 v87, 0, 1, vcc_lo
	v_add_co_ci_u32_e64 v90, null, 0, v86, vcc_lo
	v_lshrrev_b32_e32 v113, v87, v113
; %bb.7293:                             ;   in Loop: Header=BB6_6037 Depth=3
	s_andn2_saveexec_b32 s16, s16
; %bb.7294:                             ;   in Loop: Header=BB6_6037 Depth=3
	v_bfe_u32 v90, v113, 23, 1
; %bb.7295:                             ;   in Loop: Header=BB6_6037 Depth=3
	s_or_b32 exec_lo, exec_lo, s16
	v_lshrrev_b32_e32 v87, 21, v113
	v_min_i32_e32 v113, 31, v90
	v_cmp_gt_i32_e32 vcc_lo, 32, v90
	v_and_b32_sdwa v86, v58, v60 dst_sel:DWORD dst_unused:UNUSED_PAD src0_sel:BYTE_3 src1_sel:DWORD
	v_lshlrev_b32_e32 v113, 2, v113
	v_cndmask_b32_e32 v87, 3, v87, vcc_lo
	v_and_b32_e32 v113, 0xfc, v113
	v_or_b32_e32 v58, v90, v87
	v_and_b32_e32 v87, 3, v87
	v_cmp_ne_u32_e32 vcc_lo, 0, v58
	v_or3_b32 v86, v113, v86, v87
	v_cndmask_b32_e32 v113, 0, v86, vcc_lo
.LBB6_7296:                             ;   in Loop: Header=BB6_6037 Depth=3
	s_or_b32 exec_lo, exec_lo, s22
.LBB6_7297:                             ;   in Loop: Header=BB6_6037 Depth=3
	s_or_b32 exec_lo, exec_lo, s19
	v_cmp_gt_i16_sdwa s19, v15, v59 src0_sel:BYTE_3 src1_sel:DWORD
	s_mov_b32 s16, 0
	s_and_saveexec_b32 s22, s19
	s_xor_b32 s19, exec_lo, s22
	s_cbranch_execz .LBB6_7567
; %bb.7298:                             ;   in Loop: Header=BB6_6037 Depth=3
	v_cmp_eq_u16_sdwa s23, v15, v60 src0_sel:BYTE_3 src1_sel:DWORD
	s_mov_b32 s16, -1
	s_and_saveexec_b32 s22, s23
; %bb.7299:                             ;   in Loop: Header=BB6_6037 Depth=3
	s_xor_b32 s16, exec_lo, -1
; %bb.7300:                             ;   in Loop: Header=BB6_6037 Depth=3
	s_or_b32 exec_lo, exec_lo, s22
	s_and_b32 s16, s16, exec_lo
	s_or_saveexec_b32 s19, s19
	v_mov_b32_e32 v86, 0x7f800001
	s_xor_b32 exec_lo, exec_lo, s19
	s_cbranch_execnz .LBB6_7568
.LBB6_7301:                             ;   in Loop: Header=BB6_6037 Depth=3
	s_or_b32 exec_lo, exec_lo, s19
	s_and_saveexec_b32 s19, s16
	s_cbranch_execz .LBB6_7303
.LBB6_7302:                             ;   in Loop: Header=BB6_6037 Depth=3
	v_bfe_u32 v86, v15, 24, 2
	v_bfe_u32 v79, v15, 26, 5
	v_ffbh_u32_e32 v87, v86
	v_cmp_eq_u32_e32 vcc_lo, 0, v79
	v_min_u32_e32 v87, 32, v87
	v_subrev_nc_u32_e32 v58, 29, v87
	v_sub_nc_u32_e32 v87, 30, v87
	v_lshlrev_b32_sdwa v58, v58, v15 dst_sel:DWORD dst_unused:UNUSED_PAD src0_sel:DWORD src1_sel:BYTE_3
	v_cndmask_b32_e32 v87, v79, v87, vcc_lo
	v_and_b32_e32 v15, 0x80000000, v15
	v_and_b32_e32 v58, 3, v58
	v_lshl_add_u32 v87, v87, 23, 0x37800000
	v_cndmask_b32_e32 v86, v86, v58, vcc_lo
	v_lshlrev_b32_e32 v86, 21, v86
	v_or3_b32 v86, v15, v87, v86
.LBB6_7303:                             ;   in Loop: Header=BB6_6037 Depth=3
	s_or_b32 exec_lo, exec_lo, s19
	v_cmp_gt_i16_sdwa s19, v11, v59 src0_sel:BYTE_3 src1_sel:DWORD
	s_mov_b32 s16, 0
	s_and_saveexec_b32 s22, s19
	s_xor_b32 s19, exec_lo, s22
	s_cbranch_execz .LBB6_7569
; %bb.7304:                             ;   in Loop: Header=BB6_6037 Depth=3
	v_cmp_eq_u16_sdwa s23, v11, v60 src0_sel:BYTE_3 src1_sel:DWORD
	s_mov_b32 s16, -1
	s_and_saveexec_b32 s22, s23
; %bb.7305:                             ;   in Loop: Header=BB6_6037 Depth=3
	s_xor_b32 s16, exec_lo, -1
; %bb.7306:                             ;   in Loop: Header=BB6_6037 Depth=3
	s_or_b32 exec_lo, exec_lo, s22
	s_and_b32 s16, s16, exec_lo
	s_or_saveexec_b32 s19, s19
	v_mov_b32_e32 v15, 0x7f800001
	s_xor_b32 exec_lo, exec_lo, s19
	s_cbranch_execnz .LBB6_7570
.LBB6_7307:                             ;   in Loop: Header=BB6_6037 Depth=3
	s_or_b32 exec_lo, exec_lo, s19
	s_and_saveexec_b32 s19, s16
	s_cbranch_execz .LBB6_7309
.LBB6_7308:                             ;   in Loop: Header=BB6_6037 Depth=3
	v_bfe_u32 v15, v11, 24, 2
	v_bfe_u32 v79, v11, 26, 5
	v_ffbh_u32_e32 v87, v15
	v_cmp_eq_u32_e32 vcc_lo, 0, v79
	v_min_u32_e32 v87, 32, v87
	v_subrev_nc_u32_e32 v58, 29, v87
	v_sub_nc_u32_e32 v87, 30, v87
	v_lshlrev_b32_sdwa v58, v58, v11 dst_sel:DWORD dst_unused:UNUSED_PAD src0_sel:DWORD src1_sel:BYTE_3
	v_cndmask_b32_e32 v87, v79, v87, vcc_lo
	v_and_b32_e32 v11, 0x80000000, v11
	v_and_b32_e32 v58, 3, v58
	v_lshl_add_u32 v87, v87, 23, 0x37800000
	v_cndmask_b32_e32 v15, v15, v58, vcc_lo
	v_lshlrev_b32_e32 v15, 21, v15
	v_or3_b32 v15, v11, v87, v15
.LBB6_7309:                             ;   in Loop: Header=BB6_6037 Depth=3
	s_or_b32 exec_lo, exec_lo, s19
	v_mul_f32_e32 v11, v86, v15
	v_and_b32_e32 v15, 0x7f800000, v11
	v_cmp_ne_u32_e32 vcc_lo, 0x7f800000, v15
	v_mov_b32_e32 v15, 0x8000
	s_and_saveexec_b32 s19, vcc_lo
	s_cbranch_execz .LBB6_6036
; %bb.7310:                             ;   in Loop: Header=BB6_6037 Depth=3
	v_mov_b32_e32 v15, 0
	s_mov_b32 s22, exec_lo
	v_cmpx_ne_u32_e32 0, v11
	s_cbranch_execz .LBB6_6035
; %bb.7311:                             ;   in Loop: Header=BB6_6037 Depth=3
	v_bfe_u32 v86, v11, 23, 8
	v_and_b32_e32 v15, 0x7fffff, v11
	v_cmp_gt_u32_e64 s16, 0x71, v86
	v_sub_nc_u32_e32 v87, 0x70, v86
	v_cmp_eq_u32_e32 vcc_lo, 0, v86
	v_or_b32_e32 v58, 0x800000, v15
	v_cndmask_b32_e64 v87, 0, v87, s16
	v_cndmask_b32_e32 v15, v58, v15, vcc_lo
	v_cndmask_b32_e64 v87, v87, 0x6f, vcc_lo
	v_lshl_add_u32 v58, 0x200000, v87, -1
	v_lshlrev_b32_e64 v79, v87, 0x100000
	v_and_b32_e32 v58, v58, v15
	v_cmp_eq_u32_e64 s16, v58, v79
	v_lshrrev_b32_e32 v58, v87, v15
	v_add_nc_u32_e32 v15, 0xffffff91, v86
	v_lshrrev_b32_e32 v86, 23, v58
	v_cndmask_b32_e64 v15, v15, 0xffffff92, vcc_lo
	v_xor_b32_e32 v86, 1, v86
	v_add_nc_u32_e32 v15, v87, v15
	v_bfe_u32 v87, v58, 21, 1
	v_add_nc_u32_e32 v87, -1, v87
	v_cndmask_b32_e64 v87, 0, v87, s16
	s_mov_b32 s16, exec_lo
	v_add_nc_u32_e32 v87, v87, v58
	v_and_b32_e32 v87, 0x1fffff, v87
	v_add_nc_u32_e32 v87, v87, v58
                                        ; implicit-def: $vgpr58
	v_cmpx_ne_u32_e64 v15, v86
	s_xor_b32 s16, exec_lo, s16
; %bb.7312:                             ;   in Loop: Header=BB6_6037 Depth=3
	v_cmp_lt_u32_e32 vcc_lo, 0xffffff, v87
	v_sub_nc_u32_e32 v15, v15, v86
	v_cndmask_b32_e64 v86, 0, 1, vcc_lo
	v_add_co_ci_u32_e64 v58, null, 0, v15, vcc_lo
	v_lshrrev_b32_e32 v87, v86, v87
; %bb.7313:                             ;   in Loop: Header=BB6_6037 Depth=3
	s_andn2_saveexec_b32 s16, s16
	s_cbranch_execz .LBB6_6034
; %bb.7314:                             ;   in Loop: Header=BB6_6037 Depth=3
	v_bfe_u32 v58, v87, 23, 1
	s_branch .LBB6_6034
.LBB6_7315:                             ;   in Loop: Header=BB6_6037 Depth=3
	s_or_saveexec_b32 s19, s19
	v_mov_b32_e32 v1, 0x7f800001
	s_xor_b32 exec_lo, exec_lo, s19
	s_cbranch_execz .LBB6_6041
.LBB6_7316:                             ;   in Loop: Header=BB6_6037 Depth=3
	v_cmp_ne_u16_sdwa s22, v48, v2 src0_sel:BYTE_0 src1_sel:DWORD
	v_mov_b32_e32 v1, 0
	s_andn2_b32 s16, s16, exec_lo
	s_and_b32 s22, s22, exec_lo
	s_or_b32 s16, s16, s22
	s_or_b32 exec_lo, exec_lo, s19
	s_and_saveexec_b32 s19, s16
	s_cbranch_execnz .LBB6_6042
	s_branch .LBB6_6043
.LBB6_7317:                             ;   in Loop: Header=BB6_6037 Depth=3
	s_or_saveexec_b32 s19, s19
	v_mov_b32_e32 v4, 0x7f800001
	s_xor_b32 exec_lo, exec_lo, s19
	s_cbranch_execz .LBB6_6047
.LBB6_7318:                             ;   in Loop: Header=BB6_6037 Depth=3
	v_cmp_ne_u16_sdwa s22, v36, v2 src0_sel:BYTE_0 src1_sel:DWORD
	v_mov_b32_e32 v4, 0
	s_andn2_b32 s16, s16, exec_lo
	s_and_b32 s22, s22, exec_lo
	s_or_b32 s16, s16, s22
	s_or_b32 exec_lo, exec_lo, s19
	s_and_saveexec_b32 s19, s16
	s_cbranch_execnz .LBB6_6048
	s_branch .LBB6_6049
.LBB6_7319:                             ;   in Loop: Header=BB6_6037 Depth=3
	s_or_saveexec_b32 s19, s19
	v_mov_b32_e32 v1, 0x7f800001
	s_xor_b32 exec_lo, exec_lo, s19
	s_cbranch_execz .LBB6_6061
.LBB6_7320:                             ;   in Loop: Header=BB6_6037 Depth=3
	v_cmp_ne_u16_sdwa s22, v48, v2 src0_sel:BYTE_1 src1_sel:DWORD
	v_mov_b32_e32 v1, 0
	s_andn2_b32 s16, s16, exec_lo
	s_and_b32 s22, s22, exec_lo
	s_or_b32 s16, s16, s22
	s_or_b32 exec_lo, exec_lo, s19
	s_and_saveexec_b32 s19, s16
	s_cbranch_execnz .LBB6_6062
	s_branch .LBB6_6063
.LBB6_7321:                             ;   in Loop: Header=BB6_6037 Depth=3
	s_or_saveexec_b32 s19, s19
	v_mov_b32_e32 v4, 0x7f800001
	s_xor_b32 exec_lo, exec_lo, s19
	s_cbranch_execz .LBB6_6067
.LBB6_7322:                             ;   in Loop: Header=BB6_6037 Depth=3
	v_cmp_ne_u16_sdwa s22, v36, v2 src0_sel:BYTE_1 src1_sel:DWORD
	v_mov_b32_e32 v4, 0
	s_andn2_b32 s16, s16, exec_lo
	s_and_b32 s22, s22, exec_lo
	s_or_b32 s16, s16, s22
	s_or_b32 exec_lo, exec_lo, s19
	s_and_saveexec_b32 s19, s16
	s_cbranch_execnz .LBB6_6068
	s_branch .LBB6_6069
.LBB6_7323:                             ;   in Loop: Header=BB6_6037 Depth=3
	s_or_saveexec_b32 s19, s19
	v_mov_b32_e32 v1, 0x7f800001
	s_xor_b32 exec_lo, exec_lo, s19
	s_cbranch_execz .LBB6_6081
.LBB6_7324:                             ;   in Loop: Header=BB6_6037 Depth=3
	v_cmp_ne_u16_e32 vcc_lo, 0, v4
	v_mov_b32_e32 v1, 0
	s_andn2_b32 s16, s16, exec_lo
	s_and_b32 s22, vcc_lo, exec_lo
	s_or_b32 s16, s16, s22
	s_or_b32 exec_lo, exec_lo, s19
	s_and_saveexec_b32 s19, s16
	s_cbranch_execnz .LBB6_6082
	s_branch .LBB6_6083
.LBB6_7325:                             ;   in Loop: Header=BB6_6037 Depth=3
	s_or_saveexec_b32 s16, s16
	v_mov_b32_e32 v4, 0x7f800001
	s_xor_b32 exec_lo, exec_lo, s16
	s_cbranch_execz .LBB6_6087
.LBB6_7326:                             ;   in Loop: Header=BB6_6037 Depth=3
	v_cmp_ne_u16_e32 vcc_lo, 0, v5
	v_mov_b32_e32 v4, 0
	s_andn2_b32 s19, s19, exec_lo
	s_and_b32 s22, vcc_lo, exec_lo
	s_or_b32 s19, s19, s22
	s_or_b32 exec_lo, exec_lo, s16
	s_and_saveexec_b32 s16, s19
	s_cbranch_execnz .LBB6_6088
	s_branch .LBB6_6089
.LBB6_7327:                             ;   in Loop: Header=BB6_6037 Depth=3
	s_or_saveexec_b32 s19, s19
	v_mov_b32_e32 v1, 0x7f800001
	s_xor_b32 exec_lo, exec_lo, s19
	s_cbranch_execz .LBB6_6101
.LBB6_7328:                             ;   in Loop: Header=BB6_6037 Depth=3
	v_cmp_ne_u16_sdwa s22, v48, v2 src0_sel:BYTE_3 src1_sel:DWORD
	v_mov_b32_e32 v1, 0
	s_andn2_b32 s16, s16, exec_lo
	s_and_b32 s22, s22, exec_lo
	s_or_b32 s16, s16, s22
	s_or_b32 exec_lo, exec_lo, s19
	s_and_saveexec_b32 s19, s16
	s_cbranch_execnz .LBB6_6102
	s_branch .LBB6_6103
.LBB6_7329:                             ;   in Loop: Header=BB6_6037 Depth=3
	s_or_saveexec_b32 s19, s19
	v_mov_b32_e32 v4, 0x7f800001
	s_xor_b32 exec_lo, exec_lo, s19
	s_cbranch_execz .LBB6_6107
.LBB6_7330:                             ;   in Loop: Header=BB6_6037 Depth=3
	v_cmp_ne_u16_sdwa s22, v36, v2 src0_sel:BYTE_3 src1_sel:DWORD
	v_mov_b32_e32 v4, 0
	s_andn2_b32 s16, s16, exec_lo
	s_and_b32 s22, s22, exec_lo
	s_or_b32 s16, s16, s22
	s_or_b32 exec_lo, exec_lo, s19
	s_and_saveexec_b32 s19, s16
	s_cbranch_execnz .LBB6_6108
	s_branch .LBB6_6109
.LBB6_7331:                             ;   in Loop: Header=BB6_6037 Depth=3
	s_or_saveexec_b32 s19, s19
	v_mov_b32_e32 v1, 0x7f800001
	s_xor_b32 exec_lo, exec_lo, s19
	s_cbranch_execz .LBB6_6121
.LBB6_7332:                             ;   in Loop: Header=BB6_6037 Depth=3
	v_cmp_ne_u16_sdwa s22, v49, v2 src0_sel:BYTE_0 src1_sel:DWORD
	v_mov_b32_e32 v1, 0
	s_andn2_b32 s16, s16, exec_lo
	s_and_b32 s22, s22, exec_lo
	s_or_b32 s16, s16, s22
	s_or_b32 exec_lo, exec_lo, s19
	s_and_saveexec_b32 s19, s16
	s_cbranch_execnz .LBB6_6122
	s_branch .LBB6_6123
.LBB6_7333:                             ;   in Loop: Header=BB6_6037 Depth=3
	s_or_saveexec_b32 s16, s16
	v_mov_b32_e32 v4, 0x7f800001
	s_xor_b32 exec_lo, exec_lo, s16
	s_cbranch_execz .LBB6_6127
.LBB6_7334:                             ;   in Loop: Header=BB6_6037 Depth=3
	v_cmp_ne_u16_sdwa s22, v37, v2 src0_sel:BYTE_0 src1_sel:DWORD
	v_mov_b32_e32 v4, 0
	s_andn2_b32 s19, s19, exec_lo
	s_and_b32 s22, s22, exec_lo
	s_or_b32 s19, s19, s22
	s_or_b32 exec_lo, exec_lo, s16
	s_and_saveexec_b32 s16, s19
	s_cbranch_execnz .LBB6_6128
	s_branch .LBB6_6129
.LBB6_7335:                             ;   in Loop: Header=BB6_6037 Depth=3
	s_or_saveexec_b32 s16, s16
	v_mov_b32_e32 v1, 0x7f800001
	s_xor_b32 exec_lo, exec_lo, s16
	s_cbranch_execz .LBB6_6141
.LBB6_7336:                             ;   in Loop: Header=BB6_6037 Depth=3
	v_cmp_ne_u16_sdwa s22, v49, v2 src0_sel:BYTE_1 src1_sel:DWORD
	v_mov_b32_e32 v1, 0
	s_andn2_b32 s19, s19, exec_lo
	s_and_b32 s22, s22, exec_lo
	s_or_b32 s19, s19, s22
	s_or_b32 exec_lo, exec_lo, s16
	s_and_saveexec_b32 s16, s19
	s_cbranch_execnz .LBB6_6142
	s_branch .LBB6_6143
.LBB6_7337:                             ;   in Loop: Header=BB6_6037 Depth=3
	s_or_saveexec_b32 s16, s16
	v_mov_b32_e32 v4, 0x7f800001
	s_xor_b32 exec_lo, exec_lo, s16
	s_cbranch_execz .LBB6_6147
.LBB6_7338:                             ;   in Loop: Header=BB6_6037 Depth=3
	v_cmp_ne_u16_sdwa s22, v37, v2 src0_sel:BYTE_1 src1_sel:DWORD
	v_mov_b32_e32 v4, 0
	s_andn2_b32 s19, s19, exec_lo
	s_and_b32 s22, s22, exec_lo
	s_or_b32 s19, s19, s22
	s_or_b32 exec_lo, exec_lo, s16
	s_and_saveexec_b32 s16, s19
	s_cbranch_execnz .LBB6_6148
	s_branch .LBB6_6149
.LBB6_7339:                             ;   in Loop: Header=BB6_6037 Depth=3
	s_or_saveexec_b32 s16, s16
	v_mov_b32_e32 v1, 0x7f800001
	s_xor_b32 exec_lo, exec_lo, s16
	s_cbranch_execz .LBB6_6161
.LBB6_7340:                             ;   in Loop: Header=BB6_6037 Depth=3
	v_cmp_ne_u16_e32 vcc_lo, 0, v4
	v_mov_b32_e32 v1, 0
	s_andn2_b32 s19, s19, exec_lo
	s_and_b32 s22, vcc_lo, exec_lo
	s_or_b32 s19, s19, s22
	s_or_b32 exec_lo, exec_lo, s16
	s_and_saveexec_b32 s16, s19
	s_cbranch_execnz .LBB6_6162
	s_branch .LBB6_6163
.LBB6_7341:                             ;   in Loop: Header=BB6_6037 Depth=3
	s_or_saveexec_b32 s16, s16
	v_mov_b32_e32 v4, 0x7f800001
	s_xor_b32 exec_lo, exec_lo, s16
	s_cbranch_execz .LBB6_6167
.LBB6_7342:                             ;   in Loop: Header=BB6_6037 Depth=3
	v_cmp_ne_u16_e32 vcc_lo, 0, v5
	v_mov_b32_e32 v4, 0
	s_andn2_b32 s19, s19, exec_lo
	s_and_b32 s22, vcc_lo, exec_lo
	s_or_b32 s19, s19, s22
	s_or_b32 exec_lo, exec_lo, s16
	s_and_saveexec_b32 s16, s19
	s_cbranch_execnz .LBB6_6168
	s_branch .LBB6_6169
.LBB6_7343:                             ;   in Loop: Header=BB6_6037 Depth=3
	s_or_saveexec_b32 s16, s16
	v_mov_b32_e32 v1, 0x7f800001
	s_xor_b32 exec_lo, exec_lo, s16
	s_cbranch_execz .LBB6_6181
.LBB6_7344:                             ;   in Loop: Header=BB6_6037 Depth=3
	v_cmp_ne_u16_sdwa s22, v49, v2 src0_sel:BYTE_3 src1_sel:DWORD
	v_mov_b32_e32 v1, 0
	s_andn2_b32 s19, s19, exec_lo
	s_and_b32 s22, s22, exec_lo
	s_or_b32 s19, s19, s22
	s_or_b32 exec_lo, exec_lo, s16
	s_and_saveexec_b32 s16, s19
	s_cbranch_execnz .LBB6_6182
	s_branch .LBB6_6183
.LBB6_7345:                             ;   in Loop: Header=BB6_6037 Depth=3
	s_or_saveexec_b32 s16, s16
	v_mov_b32_e32 v4, 0x7f800001
	s_xor_b32 exec_lo, exec_lo, s16
	s_cbranch_execz .LBB6_6187
.LBB6_7346:                             ;   in Loop: Header=BB6_6037 Depth=3
	v_cmp_ne_u16_sdwa s22, v37, v2 src0_sel:BYTE_3 src1_sel:DWORD
	v_mov_b32_e32 v4, 0
	s_andn2_b32 s19, s19, exec_lo
	s_and_b32 s22, s22, exec_lo
	s_or_b32 s19, s19, s22
	s_or_b32 exec_lo, exec_lo, s16
	s_and_saveexec_b32 s16, s19
	s_cbranch_execnz .LBB6_6188
	s_branch .LBB6_6189
.LBB6_7347:                             ;   in Loop: Header=BB6_6037 Depth=3
	s_or_saveexec_b32 s16, s16
	v_mov_b32_e32 v1, 0x7f800001
	s_xor_b32 exec_lo, exec_lo, s16
	s_cbranch_execz .LBB6_6201
.LBB6_7348:                             ;   in Loop: Header=BB6_6037 Depth=3
	v_cmp_ne_u16_sdwa s22, v50, v2 src0_sel:BYTE_0 src1_sel:DWORD
	v_mov_b32_e32 v1, 0
	s_andn2_b32 s19, s19, exec_lo
	s_and_b32 s22, s22, exec_lo
	s_or_b32 s19, s19, s22
	s_or_b32 exec_lo, exec_lo, s16
	s_and_saveexec_b32 s16, s19
	s_cbranch_execnz .LBB6_6202
	s_branch .LBB6_6203
.LBB6_7349:                             ;   in Loop: Header=BB6_6037 Depth=3
	s_or_saveexec_b32 s16, s16
	v_mov_b32_e32 v4, 0x7f800001
	s_xor_b32 exec_lo, exec_lo, s16
	s_cbranch_execz .LBB6_6207
.LBB6_7350:                             ;   in Loop: Header=BB6_6037 Depth=3
	v_cmp_ne_u16_sdwa s22, v38, v2 src0_sel:BYTE_0 src1_sel:DWORD
	v_mov_b32_e32 v4, 0
	s_andn2_b32 s19, s19, exec_lo
	s_and_b32 s22, s22, exec_lo
	s_or_b32 s19, s19, s22
	s_or_b32 exec_lo, exec_lo, s16
	s_and_saveexec_b32 s16, s19
	s_cbranch_execnz .LBB6_6208
	s_branch .LBB6_6209
.LBB6_7351:                             ;   in Loop: Header=BB6_6037 Depth=3
	s_or_saveexec_b32 s16, s16
	v_mov_b32_e32 v1, 0x7f800001
	s_xor_b32 exec_lo, exec_lo, s16
	s_cbranch_execz .LBB6_6221
.LBB6_7352:                             ;   in Loop: Header=BB6_6037 Depth=3
	v_cmp_ne_u16_sdwa s22, v50, v2 src0_sel:BYTE_1 src1_sel:DWORD
	v_mov_b32_e32 v1, 0
	s_andn2_b32 s19, s19, exec_lo
	s_and_b32 s22, s22, exec_lo
	s_or_b32 s19, s19, s22
	s_or_b32 exec_lo, exec_lo, s16
	s_and_saveexec_b32 s16, s19
	s_cbranch_execnz .LBB6_6222
	s_branch .LBB6_6223
.LBB6_7353:                             ;   in Loop: Header=BB6_6037 Depth=3
	s_or_saveexec_b32 s16, s16
	v_mov_b32_e32 v4, 0x7f800001
	s_xor_b32 exec_lo, exec_lo, s16
	s_cbranch_execz .LBB6_6227
.LBB6_7354:                             ;   in Loop: Header=BB6_6037 Depth=3
	v_cmp_ne_u16_sdwa s22, v38, v2 src0_sel:BYTE_1 src1_sel:DWORD
	v_mov_b32_e32 v4, 0
	s_andn2_b32 s19, s19, exec_lo
	s_and_b32 s22, s22, exec_lo
	s_or_b32 s19, s19, s22
	s_or_b32 exec_lo, exec_lo, s16
	s_and_saveexec_b32 s16, s19
	s_cbranch_execnz .LBB6_6228
	s_branch .LBB6_6229
.LBB6_7355:                             ;   in Loop: Header=BB6_6037 Depth=3
	s_or_saveexec_b32 s16, s16
	v_mov_b32_e32 v1, 0x7f800001
	s_xor_b32 exec_lo, exec_lo, s16
	s_cbranch_execz .LBB6_6241
.LBB6_7356:                             ;   in Loop: Header=BB6_6037 Depth=3
	v_cmp_ne_u16_e32 vcc_lo, 0, v4
	v_mov_b32_e32 v1, 0
	s_andn2_b32 s19, s19, exec_lo
	s_and_b32 s22, vcc_lo, exec_lo
	s_or_b32 s19, s19, s22
	s_or_b32 exec_lo, exec_lo, s16
	s_and_saveexec_b32 s16, s19
	s_cbranch_execnz .LBB6_6242
	s_branch .LBB6_6243
.LBB6_7357:                             ;   in Loop: Header=BB6_6037 Depth=3
	s_or_saveexec_b32 s16, s16
	v_mov_b32_e32 v4, 0x7f800001
	s_xor_b32 exec_lo, exec_lo, s16
	s_cbranch_execz .LBB6_6247
.LBB6_7358:                             ;   in Loop: Header=BB6_6037 Depth=3
	v_cmp_ne_u16_e32 vcc_lo, 0, v5
	v_mov_b32_e32 v4, 0
	s_andn2_b32 s19, s19, exec_lo
	s_and_b32 s22, vcc_lo, exec_lo
	s_or_b32 s19, s19, s22
	s_or_b32 exec_lo, exec_lo, s16
	s_and_saveexec_b32 s16, s19
	s_cbranch_execnz .LBB6_6248
	s_branch .LBB6_6249
.LBB6_7359:                             ;   in Loop: Header=BB6_6037 Depth=3
	s_or_saveexec_b32 s16, s16
	v_mov_b32_e32 v1, 0x7f800001
	s_xor_b32 exec_lo, exec_lo, s16
	s_cbranch_execz .LBB6_6261
.LBB6_7360:                             ;   in Loop: Header=BB6_6037 Depth=3
	v_cmp_ne_u16_sdwa s22, v50, v2 src0_sel:BYTE_3 src1_sel:DWORD
	v_mov_b32_e32 v1, 0
	s_andn2_b32 s19, s19, exec_lo
	s_and_b32 s22, s22, exec_lo
	s_or_b32 s19, s19, s22
	s_or_b32 exec_lo, exec_lo, s16
	s_and_saveexec_b32 s16, s19
	s_cbranch_execnz .LBB6_6262
	s_branch .LBB6_6263
.LBB6_7361:                             ;   in Loop: Header=BB6_6037 Depth=3
	s_or_saveexec_b32 s16, s16
	v_mov_b32_e32 v4, 0x7f800001
	s_xor_b32 exec_lo, exec_lo, s16
	s_cbranch_execz .LBB6_6267
.LBB6_7362:                             ;   in Loop: Header=BB6_6037 Depth=3
	v_cmp_ne_u16_sdwa s22, v38, v2 src0_sel:BYTE_3 src1_sel:DWORD
	v_mov_b32_e32 v4, 0
	s_andn2_b32 s19, s19, exec_lo
	s_and_b32 s22, s22, exec_lo
	s_or_b32 s19, s19, s22
	s_or_b32 exec_lo, exec_lo, s16
	s_and_saveexec_b32 s16, s19
	s_cbranch_execnz .LBB6_6268
	s_branch .LBB6_6269
.LBB6_7363:                             ;   in Loop: Header=BB6_6037 Depth=3
	s_or_saveexec_b32 s16, s16
	v_mov_b32_e32 v1, 0x7f800001
	s_xor_b32 exec_lo, exec_lo, s16
	s_cbranch_execz .LBB6_6281
.LBB6_7364:                             ;   in Loop: Header=BB6_6037 Depth=3
	v_cmp_ne_u16_sdwa s22, v51, v2 src0_sel:BYTE_0 src1_sel:DWORD
	v_mov_b32_e32 v1, 0
	s_andn2_b32 s19, s19, exec_lo
	s_and_b32 s22, s22, exec_lo
	s_or_b32 s19, s19, s22
	s_or_b32 exec_lo, exec_lo, s16
	s_and_saveexec_b32 s16, s19
	s_cbranch_execnz .LBB6_6282
	s_branch .LBB6_6283
.LBB6_7365:                             ;   in Loop: Header=BB6_6037 Depth=3
	s_or_saveexec_b32 s16, s16
	v_mov_b32_e32 v4, 0x7f800001
	s_xor_b32 exec_lo, exec_lo, s16
	s_cbranch_execz .LBB6_6287
.LBB6_7366:                             ;   in Loop: Header=BB6_6037 Depth=3
	v_cmp_ne_u16_sdwa s22, v39, v2 src0_sel:BYTE_0 src1_sel:DWORD
	v_mov_b32_e32 v4, 0
	s_andn2_b32 s19, s19, exec_lo
	s_and_b32 s22, s22, exec_lo
	s_or_b32 s19, s19, s22
	s_or_b32 exec_lo, exec_lo, s16
	s_and_saveexec_b32 s16, s19
	s_cbranch_execnz .LBB6_6288
	s_branch .LBB6_6289
.LBB6_7367:                             ;   in Loop: Header=BB6_6037 Depth=3
	s_or_saveexec_b32 s16, s16
	v_mov_b32_e32 v1, 0x7f800001
	s_xor_b32 exec_lo, exec_lo, s16
	s_cbranch_execz .LBB6_6301
.LBB6_7368:                             ;   in Loop: Header=BB6_6037 Depth=3
	v_cmp_ne_u16_sdwa s22, v51, v2 src0_sel:BYTE_1 src1_sel:DWORD
	v_mov_b32_e32 v1, 0
	s_andn2_b32 s19, s19, exec_lo
	s_and_b32 s22, s22, exec_lo
	s_or_b32 s19, s19, s22
	s_or_b32 exec_lo, exec_lo, s16
	s_and_saveexec_b32 s16, s19
	s_cbranch_execnz .LBB6_6302
	s_branch .LBB6_6303
.LBB6_7369:                             ;   in Loop: Header=BB6_6037 Depth=3
	s_or_saveexec_b32 s16, s16
	v_mov_b32_e32 v4, 0x7f800001
	s_xor_b32 exec_lo, exec_lo, s16
	s_cbranch_execz .LBB6_6307
.LBB6_7370:                             ;   in Loop: Header=BB6_6037 Depth=3
	v_cmp_ne_u16_sdwa s22, v39, v2 src0_sel:BYTE_1 src1_sel:DWORD
	v_mov_b32_e32 v4, 0
	s_andn2_b32 s19, s19, exec_lo
	s_and_b32 s22, s22, exec_lo
	s_or_b32 s19, s19, s22
	s_or_b32 exec_lo, exec_lo, s16
	s_and_saveexec_b32 s16, s19
	s_cbranch_execnz .LBB6_6308
	s_branch .LBB6_6309
.LBB6_7371:                             ;   in Loop: Header=BB6_6037 Depth=3
	s_or_saveexec_b32 s16, s16
	v_mov_b32_e32 v1, 0x7f800001
	s_xor_b32 exec_lo, exec_lo, s16
	s_cbranch_execz .LBB6_6321
.LBB6_7372:                             ;   in Loop: Header=BB6_6037 Depth=3
	v_cmp_ne_u16_e32 vcc_lo, 0, v4
	v_mov_b32_e32 v1, 0
	s_andn2_b32 s19, s19, exec_lo
	s_and_b32 s22, vcc_lo, exec_lo
	s_or_b32 s19, s19, s22
	s_or_b32 exec_lo, exec_lo, s16
	s_and_saveexec_b32 s16, s19
	s_cbranch_execnz .LBB6_6322
	s_branch .LBB6_6323
.LBB6_7373:                             ;   in Loop: Header=BB6_6037 Depth=3
	s_or_saveexec_b32 s16, s16
	v_mov_b32_e32 v4, 0x7f800001
	s_xor_b32 exec_lo, exec_lo, s16
	s_cbranch_execz .LBB6_6327
.LBB6_7374:                             ;   in Loop: Header=BB6_6037 Depth=3
	v_cmp_ne_u16_e32 vcc_lo, 0, v5
	v_mov_b32_e32 v4, 0
	s_andn2_b32 s19, s19, exec_lo
	s_and_b32 s22, vcc_lo, exec_lo
	s_or_b32 s19, s19, s22
	s_or_b32 exec_lo, exec_lo, s16
	s_and_saveexec_b32 s16, s19
	s_cbranch_execnz .LBB6_6328
	s_branch .LBB6_6329
.LBB6_7375:                             ;   in Loop: Header=BB6_6037 Depth=3
	s_or_saveexec_b32 s16, s16
	v_mov_b32_e32 v1, 0x7f800001
	s_xor_b32 exec_lo, exec_lo, s16
	s_cbranch_execz .LBB6_6341
.LBB6_7376:                             ;   in Loop: Header=BB6_6037 Depth=3
	v_cmp_ne_u16_sdwa s22, v51, v2 src0_sel:BYTE_3 src1_sel:DWORD
	v_mov_b32_e32 v1, 0
	s_andn2_b32 s19, s19, exec_lo
	s_and_b32 s22, s22, exec_lo
	s_or_b32 s19, s19, s22
	s_or_b32 exec_lo, exec_lo, s16
	s_and_saveexec_b32 s16, s19
	s_cbranch_execnz .LBB6_6342
	s_branch .LBB6_6343
.LBB6_7377:                             ;   in Loop: Header=BB6_6037 Depth=3
	s_or_saveexec_b32 s16, s16
	v_mov_b32_e32 v4, 0x7f800001
	s_xor_b32 exec_lo, exec_lo, s16
	s_cbranch_execz .LBB6_6347
.LBB6_7378:                             ;   in Loop: Header=BB6_6037 Depth=3
	v_cmp_ne_u16_sdwa s22, v39, v2 src0_sel:BYTE_3 src1_sel:DWORD
	v_mov_b32_e32 v4, 0
	s_andn2_b32 s19, s19, exec_lo
	s_and_b32 s22, s22, exec_lo
	s_or_b32 s19, s19, s22
	s_or_b32 exec_lo, exec_lo, s16
	s_and_saveexec_b32 s16, s19
	s_cbranch_execnz .LBB6_6348
	s_branch .LBB6_6349
.LBB6_7379:                             ;   in Loop: Header=BB6_6037 Depth=3
	s_or_saveexec_b32 s16, s16
	v_mov_b32_e32 v1, 0x7f800001
	s_xor_b32 exec_lo, exec_lo, s16
	s_cbranch_execz .LBB6_6361
.LBB6_7380:                             ;   in Loop: Header=BB6_6037 Depth=3
	v_cmp_ne_u16_sdwa s22, v32, v2 src0_sel:BYTE_0 src1_sel:DWORD
	v_mov_b32_e32 v1, 0
	s_andn2_b32 s19, s19, exec_lo
	s_and_b32 s22, s22, exec_lo
	s_or_b32 s19, s19, s22
	s_or_b32 exec_lo, exec_lo, s16
	s_and_saveexec_b32 s16, s19
	s_cbranch_execnz .LBB6_6362
	s_branch .LBB6_6363
.LBB6_7381:                             ;   in Loop: Header=BB6_6037 Depth=3
	s_or_saveexec_b32 s16, s16
	v_mov_b32_e32 v4, 0x7f800001
	s_xor_b32 exec_lo, exec_lo, s16
	s_cbranch_execz .LBB6_6367
.LBB6_7382:                             ;   in Loop: Header=BB6_6037 Depth=3
	v_cmp_ne_u16_sdwa s22, v24, v2 src0_sel:BYTE_0 src1_sel:DWORD
	v_mov_b32_e32 v4, 0
	s_andn2_b32 s19, s19, exec_lo
	s_and_b32 s22, s22, exec_lo
	s_or_b32 s19, s19, s22
	s_or_b32 exec_lo, exec_lo, s16
	s_and_saveexec_b32 s16, s19
	s_cbranch_execnz .LBB6_6368
	s_branch .LBB6_6369
.LBB6_7383:                             ;   in Loop: Header=BB6_6037 Depth=3
	s_or_saveexec_b32 s19, s19
	v_mov_b32_e32 v1, 0x7f800001
	s_xor_b32 exec_lo, exec_lo, s19
	s_cbranch_execz .LBB6_6381
.LBB6_7384:                             ;   in Loop: Header=BB6_6037 Depth=3
	v_cmp_ne_u16_sdwa s22, v32, v2 src0_sel:BYTE_1 src1_sel:DWORD
	v_mov_b32_e32 v1, 0
	s_andn2_b32 s16, s16, exec_lo
	s_and_b32 s22, s22, exec_lo
	s_or_b32 s16, s16, s22
	s_or_b32 exec_lo, exec_lo, s19
	s_and_saveexec_b32 s19, s16
	s_cbranch_execnz .LBB6_6382
	s_branch .LBB6_6383
.LBB6_7385:                             ;   in Loop: Header=BB6_6037 Depth=3
	s_or_saveexec_b32 s19, s19
	v_mov_b32_e32 v4, 0x7f800001
	s_xor_b32 exec_lo, exec_lo, s19
	s_cbranch_execz .LBB6_6387
.LBB6_7386:                             ;   in Loop: Header=BB6_6037 Depth=3
	v_cmp_ne_u16_sdwa s22, v24, v2 src0_sel:BYTE_1 src1_sel:DWORD
	v_mov_b32_e32 v4, 0
	s_andn2_b32 s16, s16, exec_lo
	s_and_b32 s22, s22, exec_lo
	s_or_b32 s16, s16, s22
	s_or_b32 exec_lo, exec_lo, s19
	s_and_saveexec_b32 s19, s16
	s_cbranch_execnz .LBB6_6388
	s_branch .LBB6_6389
.LBB6_7387:                             ;   in Loop: Header=BB6_6037 Depth=3
	s_or_saveexec_b32 s16, s16
	v_mov_b32_e32 v1, 0x7f800001
	s_xor_b32 exec_lo, exec_lo, s16
	s_cbranch_execz .LBB6_6401
.LBB6_7388:                             ;   in Loop: Header=BB6_6037 Depth=3
	v_cmp_ne_u16_e32 vcc_lo, 0, v4
	v_mov_b32_e32 v1, 0
	s_andn2_b32 s19, s19, exec_lo
	s_and_b32 s22, vcc_lo, exec_lo
	s_or_b32 s19, s19, s22
	s_or_b32 exec_lo, exec_lo, s16
	s_and_saveexec_b32 s16, s19
	s_cbranch_execnz .LBB6_6402
	s_branch .LBB6_6403
.LBB6_7389:                             ;   in Loop: Header=BB6_6037 Depth=3
	s_or_saveexec_b32 s16, s16
	v_mov_b32_e32 v4, 0x7f800001
	s_xor_b32 exec_lo, exec_lo, s16
	s_cbranch_execz .LBB6_6407
.LBB6_7390:                             ;   in Loop: Header=BB6_6037 Depth=3
	v_cmp_ne_u16_e32 vcc_lo, 0, v5
	v_mov_b32_e32 v4, 0
	s_andn2_b32 s19, s19, exec_lo
	s_and_b32 s22, vcc_lo, exec_lo
	s_or_b32 s19, s19, s22
	s_or_b32 exec_lo, exec_lo, s16
	s_and_saveexec_b32 s16, s19
	s_cbranch_execnz .LBB6_6408
	s_branch .LBB6_6409
.LBB6_7391:                             ;   in Loop: Header=BB6_6037 Depth=3
	s_or_saveexec_b32 s19, s19
	v_mov_b32_e32 v1, 0x7f800001
	s_xor_b32 exec_lo, exec_lo, s19
	s_cbranch_execz .LBB6_6421
.LBB6_7392:                             ;   in Loop: Header=BB6_6037 Depth=3
	v_cmp_ne_u16_sdwa s22, v32, v2 src0_sel:BYTE_3 src1_sel:DWORD
	v_mov_b32_e32 v1, 0
	s_andn2_b32 s16, s16, exec_lo
	s_and_b32 s22, s22, exec_lo
	s_or_b32 s16, s16, s22
	s_or_b32 exec_lo, exec_lo, s19
	s_and_saveexec_b32 s19, s16
	s_cbranch_execnz .LBB6_6422
	s_branch .LBB6_6423
.LBB6_7393:                             ;   in Loop: Header=BB6_6037 Depth=3
	s_or_saveexec_b32 s19, s19
	v_mov_b32_e32 v4, 0x7f800001
	s_xor_b32 exec_lo, exec_lo, s19
	s_cbranch_execz .LBB6_6427
.LBB6_7394:                             ;   in Loop: Header=BB6_6037 Depth=3
	v_cmp_ne_u16_sdwa s22, v24, v2 src0_sel:BYTE_3 src1_sel:DWORD
	v_mov_b32_e32 v4, 0
	s_andn2_b32 s16, s16, exec_lo
	s_and_b32 s22, s22, exec_lo
	s_or_b32 s16, s16, s22
	s_or_b32 exec_lo, exec_lo, s19
	s_and_saveexec_b32 s19, s16
	s_cbranch_execnz .LBB6_6428
	s_branch .LBB6_6429
.LBB6_7395:                             ;   in Loop: Header=BB6_6037 Depth=3
	s_or_saveexec_b32 s16, s16
	v_mov_b32_e32 v1, 0x7f800001
	s_xor_b32 exec_lo, exec_lo, s16
	s_cbranch_execz .LBB6_6441
.LBB6_7396:                             ;   in Loop: Header=BB6_6037 Depth=3
	v_cmp_ne_u16_sdwa s22, v33, v2 src0_sel:BYTE_0 src1_sel:DWORD
	v_mov_b32_e32 v1, 0
	s_andn2_b32 s19, s19, exec_lo
	s_and_b32 s22, s22, exec_lo
	s_or_b32 s19, s19, s22
	s_or_b32 exec_lo, exec_lo, s16
	s_and_saveexec_b32 s16, s19
	s_cbranch_execnz .LBB6_6442
	s_branch .LBB6_6443
.LBB6_7397:                             ;   in Loop: Header=BB6_6037 Depth=3
	s_or_saveexec_b32 s16, s16
	v_mov_b32_e32 v4, 0x7f800001
	s_xor_b32 exec_lo, exec_lo, s16
	s_cbranch_execz .LBB6_6447
.LBB6_7398:                             ;   in Loop: Header=BB6_6037 Depth=3
	v_cmp_ne_u16_sdwa s22, v25, v2 src0_sel:BYTE_0 src1_sel:DWORD
	v_mov_b32_e32 v4, 0
	s_andn2_b32 s19, s19, exec_lo
	s_and_b32 s22, s22, exec_lo
	s_or_b32 s19, s19, s22
	s_or_b32 exec_lo, exec_lo, s16
	s_and_saveexec_b32 s16, s19
	s_cbranch_execnz .LBB6_6448
	s_branch .LBB6_6449
.LBB6_7399:                             ;   in Loop: Header=BB6_6037 Depth=3
	s_or_saveexec_b32 s19, s19
	v_mov_b32_e32 v1, 0x7f800001
	s_xor_b32 exec_lo, exec_lo, s19
	s_cbranch_execz .LBB6_6461
.LBB6_7400:                             ;   in Loop: Header=BB6_6037 Depth=3
	v_cmp_ne_u16_sdwa s22, v33, v2 src0_sel:BYTE_1 src1_sel:DWORD
	v_mov_b32_e32 v1, 0
	s_andn2_b32 s16, s16, exec_lo
	s_and_b32 s22, s22, exec_lo
	s_or_b32 s16, s16, s22
	s_or_b32 exec_lo, exec_lo, s19
	s_and_saveexec_b32 s19, s16
	s_cbranch_execnz .LBB6_6462
	s_branch .LBB6_6463
.LBB6_7401:                             ;   in Loop: Header=BB6_6037 Depth=3
	s_or_saveexec_b32 s19, s19
	v_mov_b32_e32 v4, 0x7f800001
	s_xor_b32 exec_lo, exec_lo, s19
	s_cbranch_execz .LBB6_6467
.LBB6_7402:                             ;   in Loop: Header=BB6_6037 Depth=3
	v_cmp_ne_u16_sdwa s22, v25, v2 src0_sel:BYTE_1 src1_sel:DWORD
	v_mov_b32_e32 v4, 0
	s_andn2_b32 s16, s16, exec_lo
	s_and_b32 s22, s22, exec_lo
	s_or_b32 s16, s16, s22
	s_or_b32 exec_lo, exec_lo, s19
	s_and_saveexec_b32 s19, s16
	s_cbranch_execnz .LBB6_6468
	s_branch .LBB6_6469
.LBB6_7403:                             ;   in Loop: Header=BB6_6037 Depth=3
	s_or_saveexec_b32 s16, s16
	v_mov_b32_e32 v1, 0x7f800001
	s_xor_b32 exec_lo, exec_lo, s16
	s_cbranch_execz .LBB6_6481
.LBB6_7404:                             ;   in Loop: Header=BB6_6037 Depth=3
	v_cmp_ne_u16_e32 vcc_lo, 0, v4
	v_mov_b32_e32 v1, 0
	s_andn2_b32 s19, s19, exec_lo
	s_and_b32 s22, vcc_lo, exec_lo
	s_or_b32 s19, s19, s22
	s_or_b32 exec_lo, exec_lo, s16
	s_and_saveexec_b32 s16, s19
	s_cbranch_execnz .LBB6_6482
	s_branch .LBB6_6483
.LBB6_7405:                             ;   in Loop: Header=BB6_6037 Depth=3
	s_or_saveexec_b32 s16, s16
	v_mov_b32_e32 v4, 0x7f800001
	s_xor_b32 exec_lo, exec_lo, s16
	s_cbranch_execz .LBB6_6487
.LBB6_7406:                             ;   in Loop: Header=BB6_6037 Depth=3
	v_cmp_ne_u16_e32 vcc_lo, 0, v5
	v_mov_b32_e32 v4, 0
	s_andn2_b32 s19, s19, exec_lo
	s_and_b32 s22, vcc_lo, exec_lo
	s_or_b32 s19, s19, s22
	s_or_b32 exec_lo, exec_lo, s16
	s_and_saveexec_b32 s16, s19
	s_cbranch_execnz .LBB6_6488
	s_branch .LBB6_6489
.LBB6_7407:                             ;   in Loop: Header=BB6_6037 Depth=3
	s_or_saveexec_b32 s19, s19
	v_mov_b32_e32 v1, 0x7f800001
	s_xor_b32 exec_lo, exec_lo, s19
	s_cbranch_execz .LBB6_6501
.LBB6_7408:                             ;   in Loop: Header=BB6_6037 Depth=3
	v_cmp_ne_u16_sdwa s22, v33, v2 src0_sel:BYTE_3 src1_sel:DWORD
	v_mov_b32_e32 v1, 0
	s_andn2_b32 s16, s16, exec_lo
	s_and_b32 s22, s22, exec_lo
	s_or_b32 s16, s16, s22
	s_or_b32 exec_lo, exec_lo, s19
	s_and_saveexec_b32 s19, s16
	s_cbranch_execnz .LBB6_6502
	s_branch .LBB6_6503
.LBB6_7409:                             ;   in Loop: Header=BB6_6037 Depth=3
	s_or_saveexec_b32 s19, s19
	v_mov_b32_e32 v4, 0x7f800001
	s_xor_b32 exec_lo, exec_lo, s19
	s_cbranch_execz .LBB6_6507
.LBB6_7410:                             ;   in Loop: Header=BB6_6037 Depth=3
	v_cmp_ne_u16_sdwa s22, v25, v2 src0_sel:BYTE_3 src1_sel:DWORD
	v_mov_b32_e32 v4, 0
	s_andn2_b32 s16, s16, exec_lo
	s_and_b32 s22, s22, exec_lo
	s_or_b32 s16, s16, s22
	s_or_b32 exec_lo, exec_lo, s19
	s_and_saveexec_b32 s19, s16
	s_cbranch_execnz .LBB6_6508
	s_branch .LBB6_6509
.LBB6_7411:                             ;   in Loop: Header=BB6_6037 Depth=3
	s_or_saveexec_b32 s16, s16
	v_mov_b32_e32 v1, 0x7f800001
	s_xor_b32 exec_lo, exec_lo, s16
	s_cbranch_execz .LBB6_6521
.LBB6_7412:                             ;   in Loop: Header=BB6_6037 Depth=3
	v_cmp_ne_u16_sdwa s22, v34, v2 src0_sel:BYTE_0 src1_sel:DWORD
	v_mov_b32_e32 v1, 0
	s_andn2_b32 s19, s19, exec_lo
	s_and_b32 s22, s22, exec_lo
	s_or_b32 s19, s19, s22
	s_or_b32 exec_lo, exec_lo, s16
	s_and_saveexec_b32 s16, s19
	s_cbranch_execnz .LBB6_6522
	s_branch .LBB6_6523
.LBB6_7413:                             ;   in Loop: Header=BB6_6037 Depth=3
	s_or_saveexec_b32 s16, s16
	v_mov_b32_e32 v4, 0x7f800001
	s_xor_b32 exec_lo, exec_lo, s16
	s_cbranch_execz .LBB6_6527
.LBB6_7414:                             ;   in Loop: Header=BB6_6037 Depth=3
	v_cmp_ne_u16_sdwa s22, v26, v2 src0_sel:BYTE_0 src1_sel:DWORD
	v_mov_b32_e32 v4, 0
	s_andn2_b32 s19, s19, exec_lo
	s_and_b32 s22, s22, exec_lo
	s_or_b32 s19, s19, s22
	s_or_b32 exec_lo, exec_lo, s16
	s_and_saveexec_b32 s16, s19
	s_cbranch_execnz .LBB6_6528
	s_branch .LBB6_6529
.LBB6_7415:                             ;   in Loop: Header=BB6_6037 Depth=3
	s_or_saveexec_b32 s19, s19
	v_mov_b32_e32 v1, 0x7f800001
	s_xor_b32 exec_lo, exec_lo, s19
	s_cbranch_execz .LBB6_6541
.LBB6_7416:                             ;   in Loop: Header=BB6_6037 Depth=3
	v_cmp_ne_u16_sdwa s22, v34, v2 src0_sel:BYTE_1 src1_sel:DWORD
	v_mov_b32_e32 v1, 0
	s_andn2_b32 s16, s16, exec_lo
	s_and_b32 s22, s22, exec_lo
	s_or_b32 s16, s16, s22
	s_or_b32 exec_lo, exec_lo, s19
	s_and_saveexec_b32 s19, s16
	s_cbranch_execnz .LBB6_6542
	s_branch .LBB6_6543
.LBB6_7417:                             ;   in Loop: Header=BB6_6037 Depth=3
	s_or_saveexec_b32 s19, s19
	v_mov_b32_e32 v4, 0x7f800001
	s_xor_b32 exec_lo, exec_lo, s19
	s_cbranch_execz .LBB6_6547
.LBB6_7418:                             ;   in Loop: Header=BB6_6037 Depth=3
	v_cmp_ne_u16_sdwa s22, v26, v2 src0_sel:BYTE_1 src1_sel:DWORD
	v_mov_b32_e32 v4, 0
	s_andn2_b32 s16, s16, exec_lo
	s_and_b32 s22, s22, exec_lo
	s_or_b32 s16, s16, s22
	s_or_b32 exec_lo, exec_lo, s19
	s_and_saveexec_b32 s19, s16
	s_cbranch_execnz .LBB6_6548
	s_branch .LBB6_6549
.LBB6_7419:                             ;   in Loop: Header=BB6_6037 Depth=3
	s_or_saveexec_b32 s16, s16
	v_mov_b32_e32 v1, 0x7f800001
	s_xor_b32 exec_lo, exec_lo, s16
	s_cbranch_execz .LBB6_6561
.LBB6_7420:                             ;   in Loop: Header=BB6_6037 Depth=3
	v_cmp_ne_u16_e32 vcc_lo, 0, v4
	v_mov_b32_e32 v1, 0
	s_andn2_b32 s19, s19, exec_lo
	s_and_b32 s22, vcc_lo, exec_lo
	s_or_b32 s19, s19, s22
	s_or_b32 exec_lo, exec_lo, s16
	s_and_saveexec_b32 s16, s19
	s_cbranch_execnz .LBB6_6562
	s_branch .LBB6_6563
.LBB6_7421:                             ;   in Loop: Header=BB6_6037 Depth=3
	s_or_saveexec_b32 s16, s16
	v_mov_b32_e32 v4, 0x7f800001
	s_xor_b32 exec_lo, exec_lo, s16
	s_cbranch_execz .LBB6_6567
.LBB6_7422:                             ;   in Loop: Header=BB6_6037 Depth=3
	v_cmp_ne_u16_e32 vcc_lo, 0, v5
	v_mov_b32_e32 v4, 0
	s_andn2_b32 s19, s19, exec_lo
	s_and_b32 s22, vcc_lo, exec_lo
	s_or_b32 s19, s19, s22
	s_or_b32 exec_lo, exec_lo, s16
	s_and_saveexec_b32 s16, s19
	s_cbranch_execnz .LBB6_6568
	s_branch .LBB6_6569
.LBB6_7423:                             ;   in Loop: Header=BB6_6037 Depth=3
	s_or_saveexec_b32 s19, s19
	v_mov_b32_e32 v1, 0x7f800001
	s_xor_b32 exec_lo, exec_lo, s19
	s_cbranch_execz .LBB6_6581
.LBB6_7424:                             ;   in Loop: Header=BB6_6037 Depth=3
	v_cmp_ne_u16_sdwa s22, v34, v2 src0_sel:BYTE_3 src1_sel:DWORD
	v_mov_b32_e32 v1, 0
	s_andn2_b32 s16, s16, exec_lo
	s_and_b32 s22, s22, exec_lo
	s_or_b32 s16, s16, s22
	s_or_b32 exec_lo, exec_lo, s19
	s_and_saveexec_b32 s19, s16
	s_cbranch_execnz .LBB6_6582
	s_branch .LBB6_6583
.LBB6_7425:                             ;   in Loop: Header=BB6_6037 Depth=3
	s_or_saveexec_b32 s19, s19
	v_mov_b32_e32 v5, 0x7f800001
	s_xor_b32 exec_lo, exec_lo, s19
	s_cbranch_execz .LBB6_6587
.LBB6_7426:                             ;   in Loop: Header=BB6_6037 Depth=3
	v_cmp_ne_u16_sdwa s22, v26, v2 src0_sel:BYTE_3 src1_sel:DWORD
	v_mov_b32_e32 v5, 0
	s_andn2_b32 s16, s16, exec_lo
	s_and_b32 s22, s22, exec_lo
	s_or_b32 s16, s16, s22
	s_or_b32 exec_lo, exec_lo, s19
	s_and_saveexec_b32 s19, s16
	s_cbranch_execnz .LBB6_6588
	s_branch .LBB6_6589
.LBB6_7427:                             ;   in Loop: Header=BB6_6037 Depth=3
	s_or_saveexec_b32 s16, s16
	v_mov_b32_e32 v1, 0x7f800001
	s_xor_b32 exec_lo, exec_lo, s16
	s_cbranch_execz .LBB6_6601
.LBB6_7428:                             ;   in Loop: Header=BB6_6037 Depth=3
	v_cmp_ne_u16_sdwa s22, v35, v2 src0_sel:BYTE_0 src1_sel:DWORD
	v_mov_b32_e32 v1, 0
	s_andn2_b32 s19, s19, exec_lo
	s_and_b32 s22, s22, exec_lo
	s_or_b32 s19, s19, s22
	s_or_b32 exec_lo, exec_lo, s16
	s_and_saveexec_b32 s16, s19
	s_cbranch_execnz .LBB6_6602
	s_branch .LBB6_6603
.LBB6_7429:                             ;   in Loop: Header=BB6_6037 Depth=3
	s_or_saveexec_b32 s16, s16
	v_mov_b32_e32 v26, 0x7f800001
	s_xor_b32 exec_lo, exec_lo, s16
	s_cbranch_execz .LBB6_6607
.LBB6_7430:                             ;   in Loop: Header=BB6_6037 Depth=3
	v_cmp_ne_u16_sdwa s22, v27, v2 src0_sel:BYTE_0 src1_sel:DWORD
	v_mov_b32_e32 v26, 0
	s_andn2_b32 s19, s19, exec_lo
	s_and_b32 s22, s22, exec_lo
	s_or_b32 s19, s19, s22
	s_or_b32 exec_lo, exec_lo, s16
	s_and_saveexec_b32 s16, s19
	s_cbranch_execnz .LBB6_6608
	s_branch .LBB6_6609
.LBB6_7431:                             ;   in Loop: Header=BB6_6037 Depth=3
	s_or_saveexec_b32 s19, s19
	v_mov_b32_e32 v1, 0x7f800001
	s_xor_b32 exec_lo, exec_lo, s19
	s_cbranch_execz .LBB6_6621
.LBB6_7432:                             ;   in Loop: Header=BB6_6037 Depth=3
	v_cmp_ne_u16_sdwa s22, v35, v2 src0_sel:BYTE_1 src1_sel:DWORD
	v_mov_b32_e32 v1, 0
	s_andn2_b32 s16, s16, exec_lo
	s_and_b32 s22, s22, exec_lo
	s_or_b32 s16, s16, s22
	s_or_b32 exec_lo, exec_lo, s19
	s_and_saveexec_b32 s19, s16
	s_cbranch_execnz .LBB6_6622
	s_branch .LBB6_6623
.LBB6_7433:                             ;   in Loop: Header=BB6_6037 Depth=3
	s_or_saveexec_b32 s19, s19
	v_mov_b32_e32 v31, 0x7f800001
	s_xor_b32 exec_lo, exec_lo, s19
	s_cbranch_execz .LBB6_6627
.LBB6_7434:                             ;   in Loop: Header=BB6_6037 Depth=3
	v_cmp_ne_u16_sdwa s22, v27, v2 src0_sel:BYTE_1 src1_sel:DWORD
	v_mov_b32_e32 v31, 0
	s_andn2_b32 s16, s16, exec_lo
	s_and_b32 s22, s22, exec_lo
	s_or_b32 s16, s16, s22
	s_or_b32 exec_lo, exec_lo, s19
	s_and_saveexec_b32 s19, s16
	s_cbranch_execnz .LBB6_6628
	s_branch .LBB6_6629
.LBB6_7435:                             ;   in Loop: Header=BB6_6037 Depth=3
	s_or_saveexec_b32 s16, s16
	v_mov_b32_e32 v1, 0x7f800001
	s_xor_b32 exec_lo, exec_lo, s16
	s_cbranch_execz .LBB6_6641
.LBB6_7436:                             ;   in Loop: Header=BB6_6037 Depth=3
	v_cmp_ne_u16_e32 vcc_lo, 0, v31
	v_mov_b32_e32 v1, 0
	s_andn2_b32 s19, s19, exec_lo
	s_and_b32 s22, vcc_lo, exec_lo
	s_or_b32 s19, s19, s22
	s_or_b32 exec_lo, exec_lo, s16
	s_and_saveexec_b32 s16, s19
	s_cbranch_execnz .LBB6_6642
	s_branch .LBB6_6643
.LBB6_7437:                             ;   in Loop: Header=BB6_6037 Depth=3
	s_or_saveexec_b32 s16, s16
	v_mov_b32_e32 v31, 0x7f800001
	s_xor_b32 exec_lo, exec_lo, s16
	s_cbranch_execz .LBB6_6647
.LBB6_7438:                             ;   in Loop: Header=BB6_6037 Depth=3
	v_cmp_ne_u16_e32 vcc_lo, 0, v82
	v_mov_b32_e32 v31, 0
	s_andn2_b32 s19, s19, exec_lo
	s_and_b32 s22, vcc_lo, exec_lo
	s_or_b32 s19, s19, s22
	s_or_b32 exec_lo, exec_lo, s16
	s_and_saveexec_b32 s16, s19
	s_cbranch_execnz .LBB6_6648
	s_branch .LBB6_6649
.LBB6_7439:                             ;   in Loop: Header=BB6_6037 Depth=3
	s_or_saveexec_b32 s19, s19
	v_mov_b32_e32 v1, 0x7f800001
	s_xor_b32 exec_lo, exec_lo, s19
	s_cbranch_execz .LBB6_6661
.LBB6_7440:                             ;   in Loop: Header=BB6_6037 Depth=3
	v_cmp_ne_u16_sdwa s22, v35, v2 src0_sel:BYTE_3 src1_sel:DWORD
	v_mov_b32_e32 v1, 0
	s_andn2_b32 s16, s16, exec_lo
	s_and_b32 s22, s22, exec_lo
	s_or_b32 s16, s16, s22
	s_or_b32 exec_lo, exec_lo, s19
	s_and_saveexec_b32 s19, s16
	s_cbranch_execnz .LBB6_6662
	s_branch .LBB6_6663
.LBB6_7441:                             ;   in Loop: Header=BB6_6037 Depth=3
	s_or_saveexec_b32 s19, s19
	v_mov_b32_e32 v31, 0x7f800001
	s_xor_b32 exec_lo, exec_lo, s19
	s_cbranch_execz .LBB6_6667
.LBB6_7442:                             ;   in Loop: Header=BB6_6037 Depth=3
	v_cmp_ne_u16_sdwa s22, v27, v2 src0_sel:BYTE_3 src1_sel:DWORD
	v_mov_b32_e32 v31, 0
	s_andn2_b32 s16, s16, exec_lo
	s_and_b32 s22, s22, exec_lo
	s_or_b32 s16, s16, s22
	s_or_b32 exec_lo, exec_lo, s19
	s_and_saveexec_b32 s19, s16
	s_cbranch_execnz .LBB6_6668
	s_branch .LBB6_6669
.LBB6_7443:                             ;   in Loop: Header=BB6_6037 Depth=3
	s_or_saveexec_b32 s16, s16
	v_mov_b32_e32 v1, 0x7f800001
	s_xor_b32 exec_lo, exec_lo, s16
	s_cbranch_execz .LBB6_6681
.LBB6_7444:                             ;   in Loop: Header=BB6_6037 Depth=3
	v_cmp_ne_u16_sdwa s22, v20, v2 src0_sel:BYTE_0 src1_sel:DWORD
	v_mov_b32_e32 v1, 0
	s_andn2_b32 s19, s19, exec_lo
	s_and_b32 s22, s22, exec_lo
	s_or_b32 s19, s19, s22
	s_or_b32 exec_lo, exec_lo, s16
	s_and_saveexec_b32 s16, s19
	s_cbranch_execnz .LBB6_6682
	s_branch .LBB6_6683
.LBB6_7445:                             ;   in Loop: Header=BB6_6037 Depth=3
	s_or_saveexec_b32 s16, s16
	v_mov_b32_e32 v31, 0x7f800001
	s_xor_b32 exec_lo, exec_lo, s16
	s_cbranch_execz .LBB6_6687
.LBB6_7446:                             ;   in Loop: Header=BB6_6037 Depth=3
	v_cmp_ne_u16_sdwa s22, v16, v2 src0_sel:BYTE_0 src1_sel:DWORD
	v_mov_b32_e32 v31, 0
	s_andn2_b32 s19, s19, exec_lo
	s_and_b32 s22, s22, exec_lo
	s_or_b32 s19, s19, s22
	s_or_b32 exec_lo, exec_lo, s16
	s_and_saveexec_b32 s16, s19
	s_cbranch_execnz .LBB6_6688
	s_branch .LBB6_6689
.LBB6_7447:                             ;   in Loop: Header=BB6_6037 Depth=3
	s_or_saveexec_b32 s19, s19
	v_mov_b32_e32 v1, 0x7f800001
	s_xor_b32 exec_lo, exec_lo, s19
	s_cbranch_execz .LBB6_6701
.LBB6_7448:                             ;   in Loop: Header=BB6_6037 Depth=3
	v_cmp_ne_u16_sdwa s22, v20, v2 src0_sel:BYTE_1 src1_sel:DWORD
	v_mov_b32_e32 v1, 0
	s_andn2_b32 s16, s16, exec_lo
	s_and_b32 s22, s22, exec_lo
	s_or_b32 s16, s16, s22
	s_or_b32 exec_lo, exec_lo, s19
	s_and_saveexec_b32 s19, s16
	s_cbranch_execnz .LBB6_6702
	s_branch .LBB6_6703
.LBB6_7449:                             ;   in Loop: Header=BB6_6037 Depth=3
	s_or_saveexec_b32 s19, s19
	v_mov_b32_e32 v31, 0x7f800001
	s_xor_b32 exec_lo, exec_lo, s19
	s_cbranch_execz .LBB6_6707
.LBB6_7450:                             ;   in Loop: Header=BB6_6037 Depth=3
	v_cmp_ne_u16_sdwa s22, v16, v2 src0_sel:BYTE_1 src1_sel:DWORD
	v_mov_b32_e32 v31, 0
	s_andn2_b32 s16, s16, exec_lo
	s_and_b32 s22, s22, exec_lo
	s_or_b32 s16, s16, s22
	s_or_b32 exec_lo, exec_lo, s19
	s_and_saveexec_b32 s19, s16
	s_cbranch_execnz .LBB6_6708
	s_branch .LBB6_6709
.LBB6_7451:                             ;   in Loop: Header=BB6_6037 Depth=3
	s_or_saveexec_b32 s16, s16
	v_mov_b32_e32 v1, 0x7f800001
	s_xor_b32 exec_lo, exec_lo, s16
	s_cbranch_execz .LBB6_6721
.LBB6_7452:                             ;   in Loop: Header=BB6_6037 Depth=3
	v_cmp_ne_u16_e32 vcc_lo, 0, v31
	v_mov_b32_e32 v1, 0
	s_andn2_b32 s19, s19, exec_lo
	s_and_b32 s22, vcc_lo, exec_lo
	s_or_b32 s19, s19, s22
	s_or_b32 exec_lo, exec_lo, s16
	s_and_saveexec_b32 s16, s19
	s_cbranch_execnz .LBB6_6722
	s_branch .LBB6_6723
.LBB6_7453:                             ;   in Loop: Header=BB6_6037 Depth=3
	s_or_saveexec_b32 s16, s16
	v_mov_b32_e32 v31, 0x7f800001
	s_xor_b32 exec_lo, exec_lo, s16
	s_cbranch_execz .LBB6_6727
.LBB6_7454:                             ;   in Loop: Header=BB6_6037 Depth=3
	v_cmp_ne_u16_e32 vcc_lo, 0, v86
	v_mov_b32_e32 v31, 0
	s_andn2_b32 s19, s19, exec_lo
	s_and_b32 s22, vcc_lo, exec_lo
	s_or_b32 s19, s19, s22
	s_or_b32 exec_lo, exec_lo, s16
	s_and_saveexec_b32 s16, s19
	s_cbranch_execnz .LBB6_6728
	s_branch .LBB6_6729
.LBB6_7455:                             ;   in Loop: Header=BB6_6037 Depth=3
	s_or_saveexec_b32 s19, s19
	v_mov_b32_e32 v1, 0x7f800001
	s_xor_b32 exec_lo, exec_lo, s19
	s_cbranch_execz .LBB6_6741
.LBB6_7456:                             ;   in Loop: Header=BB6_6037 Depth=3
	v_cmp_ne_u16_sdwa s22, v20, v2 src0_sel:BYTE_3 src1_sel:DWORD
	v_mov_b32_e32 v1, 0
	s_andn2_b32 s16, s16, exec_lo
	s_and_b32 s22, s22, exec_lo
	s_or_b32 s16, s16, s22
	s_or_b32 exec_lo, exec_lo, s19
	s_and_saveexec_b32 s19, s16
	s_cbranch_execnz .LBB6_6742
	s_branch .LBB6_6743
.LBB6_7457:                             ;   in Loop: Header=BB6_6037 Depth=3
	s_or_saveexec_b32 s19, s19
	v_mov_b32_e32 v20, 0x7f800001
	s_xor_b32 exec_lo, exec_lo, s19
	s_cbranch_execz .LBB6_6747
.LBB6_7458:                             ;   in Loop: Header=BB6_6037 Depth=3
	v_cmp_ne_u16_sdwa s22, v16, v2 src0_sel:BYTE_3 src1_sel:DWORD
	v_mov_b32_e32 v20, 0
	s_andn2_b32 s16, s16, exec_lo
	s_and_b32 s22, s22, exec_lo
	s_or_b32 s16, s16, s22
	s_or_b32 exec_lo, exec_lo, s19
	s_and_saveexec_b32 s19, s16
	s_cbranch_execnz .LBB6_6748
	s_branch .LBB6_6749
.LBB6_7459:                             ;   in Loop: Header=BB6_6037 Depth=3
	s_or_saveexec_b32 s16, s16
	v_mov_b32_e32 v16, 0x7f800001
	s_xor_b32 exec_lo, exec_lo, s16
	s_cbranch_execz .LBB6_6761
.LBB6_7460:                             ;   in Loop: Header=BB6_6037 Depth=3
	v_cmp_ne_u16_sdwa s22, v21, v2 src0_sel:BYTE_0 src1_sel:DWORD
	v_mov_b32_e32 v16, 0
	s_andn2_b32 s19, s19, exec_lo
	s_and_b32 s22, s22, exec_lo
	s_or_b32 s19, s19, s22
	s_or_b32 exec_lo, exec_lo, s16
	s_and_saveexec_b32 s16, s19
	s_cbranch_execnz .LBB6_6762
	s_branch .LBB6_6763
.LBB6_7461:                             ;   in Loop: Header=BB6_6037 Depth=3
	s_or_saveexec_b32 s16, s16
	v_mov_b32_e32 v20, 0x7f800001
	s_xor_b32 exec_lo, exec_lo, s16
	s_cbranch_execz .LBB6_6767
.LBB6_7462:                             ;   in Loop: Header=BB6_6037 Depth=3
	v_cmp_ne_u16_sdwa s22, v17, v2 src0_sel:BYTE_0 src1_sel:DWORD
	v_mov_b32_e32 v20, 0
	s_andn2_b32 s19, s19, exec_lo
	s_and_b32 s22, s22, exec_lo
	s_or_b32 s19, s19, s22
	s_or_b32 exec_lo, exec_lo, s16
	s_and_saveexec_b32 s16, s19
	s_cbranch_execnz .LBB6_6768
	s_branch .LBB6_6769
.LBB6_7463:                             ;   in Loop: Header=BB6_6037 Depth=3
	s_or_saveexec_b32 s19, s19
	v_mov_b32_e32 v20, 0x7f800001
	s_xor_b32 exec_lo, exec_lo, s19
	s_cbranch_execz .LBB6_6781
.LBB6_7464:                             ;   in Loop: Header=BB6_6037 Depth=3
	v_cmp_ne_u16_sdwa s22, v21, v2 src0_sel:BYTE_1 src1_sel:DWORD
	v_mov_b32_e32 v20, 0
	s_andn2_b32 s16, s16, exec_lo
	s_and_b32 s22, s22, exec_lo
	s_or_b32 s16, s16, s22
	s_or_b32 exec_lo, exec_lo, s19
	s_and_saveexec_b32 s19, s16
	s_cbranch_execnz .LBB6_6782
	s_branch .LBB6_6783
.LBB6_7465:                             ;   in Loop: Header=BB6_6037 Depth=3
	s_or_saveexec_b32 s19, s19
	v_mov_b32_e32 v86, 0x7f800001
	s_xor_b32 exec_lo, exec_lo, s19
	s_cbranch_execz .LBB6_6787
.LBB6_7466:                             ;   in Loop: Header=BB6_6037 Depth=3
	v_cmp_ne_u16_sdwa s22, v17, v2 src0_sel:BYTE_1 src1_sel:DWORD
	v_mov_b32_e32 v86, 0
	s_andn2_b32 s16, s16, exec_lo
	s_and_b32 s22, s22, exec_lo
	s_or_b32 s16, s16, s22
	s_or_b32 exec_lo, exec_lo, s19
	s_and_saveexec_b32 s19, s16
	s_cbranch_execnz .LBB6_6788
	s_branch .LBB6_6789
.LBB6_7467:                             ;   in Loop: Header=BB6_6037 Depth=3
	s_or_saveexec_b32 s16, s16
	v_mov_b32_e32 v86, 0x7f800001
	s_xor_b32 exec_lo, exec_lo, s16
	s_cbranch_execz .LBB6_6801
.LBB6_7468:                             ;   in Loop: Header=BB6_6037 Depth=3
	v_cmp_ne_u16_e32 vcc_lo, 0, v87
	v_mov_b32_e32 v86, 0
	s_andn2_b32 s19, s19, exec_lo
	s_and_b32 s22, vcc_lo, exec_lo
	s_or_b32 s19, s19, s22
	s_or_b32 exec_lo, exec_lo, s16
	s_and_saveexec_b32 s16, s19
	s_cbranch_execnz .LBB6_6802
	s_branch .LBB6_6803
.LBB6_7469:                             ;   in Loop: Header=BB6_6037 Depth=3
	s_or_saveexec_b32 s16, s16
	v_mov_b32_e32 v87, 0x7f800001
	s_xor_b32 exec_lo, exec_lo, s16
	s_cbranch_execz .LBB6_6807
.LBB6_7470:                             ;   in Loop: Header=BB6_6037 Depth=3
	v_cmp_ne_u16_e32 vcc_lo, 0, v98
	v_mov_b32_e32 v87, 0
	s_andn2_b32 s19, s19, exec_lo
	s_and_b32 s22, vcc_lo, exec_lo
	s_or_b32 s19, s19, s22
	s_or_b32 exec_lo, exec_lo, s16
	s_and_saveexec_b32 s16, s19
	s_cbranch_execnz .LBB6_6808
	s_branch .LBB6_6809
.LBB6_7471:                             ;   in Loop: Header=BB6_6037 Depth=3
	s_or_saveexec_b32 s19, s19
	v_mov_b32_e32 v86, 0x7f800001
	s_xor_b32 exec_lo, exec_lo, s19
	s_cbranch_execz .LBB6_6821
.LBB6_7472:                             ;   in Loop: Header=BB6_6037 Depth=3
	v_cmp_ne_u16_sdwa s22, v21, v2 src0_sel:BYTE_3 src1_sel:DWORD
	v_mov_b32_e32 v86, 0
	s_andn2_b32 s16, s16, exec_lo
	s_and_b32 s22, s22, exec_lo
	s_or_b32 s16, s16, s22
	s_or_b32 exec_lo, exec_lo, s19
	s_and_saveexec_b32 s19, s16
	s_cbranch_execnz .LBB6_6822
	s_branch .LBB6_6823
.LBB6_7473:                             ;   in Loop: Header=BB6_6037 Depth=3
	s_or_saveexec_b32 s19, s19
	v_mov_b32_e32 v21, 0x7f800001
	s_xor_b32 exec_lo, exec_lo, s19
	s_cbranch_execz .LBB6_6827
.LBB6_7474:                             ;   in Loop: Header=BB6_6037 Depth=3
	v_cmp_ne_u16_sdwa s22, v17, v2 src0_sel:BYTE_3 src1_sel:DWORD
	v_mov_b32_e32 v21, 0
	s_andn2_b32 s16, s16, exec_lo
	s_and_b32 s22, s22, exec_lo
	s_or_b32 s16, s16, s22
	s_or_b32 exec_lo, exec_lo, s19
	s_and_saveexec_b32 s19, s16
	s_cbranch_execnz .LBB6_6828
	s_branch .LBB6_6829
.LBB6_7475:                             ;   in Loop: Header=BB6_6037 Depth=3
	s_or_saveexec_b32 s16, s16
	v_mov_b32_e32 v21, 0x7f800001
	s_xor_b32 exec_lo, exec_lo, s16
	s_cbranch_execz .LBB6_6841
.LBB6_7476:                             ;   in Loop: Header=BB6_6037 Depth=3
	v_cmp_ne_u16_sdwa s22, v22, v2 src0_sel:BYTE_0 src1_sel:DWORD
	v_mov_b32_e32 v21, 0
	s_andn2_b32 s19, s19, exec_lo
	s_and_b32 s22, s22, exec_lo
	s_or_b32 s19, s19, s22
	s_or_b32 exec_lo, exec_lo, s16
	s_and_saveexec_b32 s16, s19
	s_cbranch_execnz .LBB6_6842
	s_branch .LBB6_6843
.LBB6_7477:                             ;   in Loop: Header=BB6_6037 Depth=3
	s_or_saveexec_b32 s16, s16
	v_mov_b32_e32 v86, 0x7f800001
	s_xor_b32 exec_lo, exec_lo, s16
	s_cbranch_execz .LBB6_6847
.LBB6_7478:                             ;   in Loop: Header=BB6_6037 Depth=3
	v_cmp_ne_u16_sdwa s22, v18, v2 src0_sel:BYTE_0 src1_sel:DWORD
	v_mov_b32_e32 v86, 0
	s_andn2_b32 s19, s19, exec_lo
	s_and_b32 s22, s22, exec_lo
	s_or_b32 s19, s19, s22
	s_or_b32 exec_lo, exec_lo, s16
	s_and_saveexec_b32 s16, s19
	s_cbranch_execnz .LBB6_6848
	s_branch .LBB6_6849
.LBB6_7479:                             ;   in Loop: Header=BB6_6037 Depth=3
	s_or_saveexec_b32 s19, s19
	v_mov_b32_e32 v86, 0x7f800001
	s_xor_b32 exec_lo, exec_lo, s19
	s_cbranch_execz .LBB6_6861
.LBB6_7480:                             ;   in Loop: Header=BB6_6037 Depth=3
	v_cmp_ne_u16_sdwa s22, v22, v2 src0_sel:BYTE_1 src1_sel:DWORD
	v_mov_b32_e32 v86, 0
	s_andn2_b32 s16, s16, exec_lo
	s_and_b32 s22, s22, exec_lo
	s_or_b32 s16, s16, s22
	s_or_b32 exec_lo, exec_lo, s19
	s_and_saveexec_b32 s19, s16
	s_cbranch_execnz .LBB6_6862
	s_branch .LBB6_6863
.LBB6_7481:                             ;   in Loop: Header=BB6_6037 Depth=3
	s_or_saveexec_b32 s19, s19
	v_mov_b32_e32 v87, 0x7f800001
	s_xor_b32 exec_lo, exec_lo, s19
	s_cbranch_execz .LBB6_6867
.LBB6_7482:                             ;   in Loop: Header=BB6_6037 Depth=3
	v_cmp_ne_u16_sdwa s22, v18, v2 src0_sel:BYTE_1 src1_sel:DWORD
	v_mov_b32_e32 v87, 0
	s_andn2_b32 s16, s16, exec_lo
	s_and_b32 s22, s22, exec_lo
	s_or_b32 s16, s16, s22
	s_or_b32 exec_lo, exec_lo, s19
	s_and_saveexec_b32 s19, s16
	s_cbranch_execnz .LBB6_6868
	s_branch .LBB6_6869
.LBB6_7483:                             ;   in Loop: Header=BB6_6037 Depth=3
	s_or_saveexec_b32 s16, s16
	v_mov_b32_e32 v86, 0x7f800001
	s_xor_b32 exec_lo, exec_lo, s16
	s_cbranch_execz .LBB6_6881
.LBB6_7484:                             ;   in Loop: Header=BB6_6037 Depth=3
	v_cmp_ne_u16_e32 vcc_lo, 0, v87
	v_mov_b32_e32 v86, 0
	s_andn2_b32 s19, s19, exec_lo
	s_and_b32 s22, vcc_lo, exec_lo
	s_or_b32 s19, s19, s22
	s_or_b32 exec_lo, exec_lo, s16
	s_and_saveexec_b32 s16, s19
	s_cbranch_execnz .LBB6_6882
	s_branch .LBB6_6883
.LBB6_7485:                             ;   in Loop: Header=BB6_6037 Depth=3
	s_or_saveexec_b32 s16, s16
	v_mov_b32_e32 v87, 0x7f800001
	s_xor_b32 exec_lo, exec_lo, s16
	s_cbranch_execz .LBB6_6887
.LBB6_7486:                             ;   in Loop: Header=BB6_6037 Depth=3
	v_cmp_ne_u16_e32 vcc_lo, 0, v98
	v_mov_b32_e32 v87, 0
	s_andn2_b32 s19, s19, exec_lo
	s_and_b32 s22, vcc_lo, exec_lo
	s_or_b32 s19, s19, s22
	s_or_b32 exec_lo, exec_lo, s16
	s_and_saveexec_b32 s16, s19
	s_cbranch_execnz .LBB6_6888
	s_branch .LBB6_6889
.LBB6_7487:                             ;   in Loop: Header=BB6_6037 Depth=3
	s_or_saveexec_b32 s19, s19
	v_mov_b32_e32 v86, 0x7f800001
	s_xor_b32 exec_lo, exec_lo, s19
	s_cbranch_execz .LBB6_6901
.LBB6_7488:                             ;   in Loop: Header=BB6_6037 Depth=3
	v_cmp_ne_u16_sdwa s22, v22, v2 src0_sel:BYTE_3 src1_sel:DWORD
	v_mov_b32_e32 v86, 0
	s_andn2_b32 s16, s16, exec_lo
	s_and_b32 s22, s22, exec_lo
	s_or_b32 s16, s16, s22
	s_or_b32 exec_lo, exec_lo, s19
	s_and_saveexec_b32 s19, s16
	s_cbranch_execnz .LBB6_6902
	s_branch .LBB6_6903
.LBB6_7489:                             ;   in Loop: Header=BB6_6037 Depth=3
	s_or_saveexec_b32 s19, s19
	v_mov_b32_e32 v22, 0x7f800001
	s_xor_b32 exec_lo, exec_lo, s19
	s_cbranch_execz .LBB6_6907
.LBB6_7490:                             ;   in Loop: Header=BB6_6037 Depth=3
	v_cmp_ne_u16_sdwa s22, v18, v2 src0_sel:BYTE_3 src1_sel:DWORD
	v_mov_b32_e32 v22, 0
	s_andn2_b32 s16, s16, exec_lo
	s_and_b32 s22, s22, exec_lo
	s_or_b32 s16, s16, s22
	s_or_b32 exec_lo, exec_lo, s19
	s_and_saveexec_b32 s19, s16
	s_cbranch_execnz .LBB6_6908
	s_branch .LBB6_6909
.LBB6_7491:                             ;   in Loop: Header=BB6_6037 Depth=3
	s_or_saveexec_b32 s16, s16
	v_mov_b32_e32 v22, 0x7f800001
	s_xor_b32 exec_lo, exec_lo, s16
	s_cbranch_execz .LBB6_6921
.LBB6_7492:                             ;   in Loop: Header=BB6_6037 Depth=3
	v_cmp_ne_u16_sdwa s22, v23, v2 src0_sel:BYTE_0 src1_sel:DWORD
	v_mov_b32_e32 v22, 0
	s_andn2_b32 s19, s19, exec_lo
	s_and_b32 s22, s22, exec_lo
	s_or_b32 s19, s19, s22
	s_or_b32 exec_lo, exec_lo, s16
	s_and_saveexec_b32 s16, s19
	s_cbranch_execnz .LBB6_6922
	s_branch .LBB6_6923
.LBB6_7493:                             ;   in Loop: Header=BB6_6037 Depth=3
	s_or_saveexec_b32 s16, s16
	v_mov_b32_e32 v86, 0x7f800001
	s_xor_b32 exec_lo, exec_lo, s16
	s_cbranch_execz .LBB6_6927
.LBB6_7494:                             ;   in Loop: Header=BB6_6037 Depth=3
	v_cmp_ne_u16_sdwa s22, v19, v2 src0_sel:BYTE_0 src1_sel:DWORD
	v_mov_b32_e32 v86, 0
	s_andn2_b32 s19, s19, exec_lo
	s_and_b32 s22, s22, exec_lo
	s_or_b32 s19, s19, s22
	s_or_b32 exec_lo, exec_lo, s16
	s_and_saveexec_b32 s16, s19
	s_cbranch_execnz .LBB6_6928
	s_branch .LBB6_6929
.LBB6_7495:                             ;   in Loop: Header=BB6_6037 Depth=3
	s_or_saveexec_b32 s19, s19
	v_mov_b32_e32 v86, 0x7f800001
	s_xor_b32 exec_lo, exec_lo, s19
	s_cbranch_execz .LBB6_6941
.LBB6_7496:                             ;   in Loop: Header=BB6_6037 Depth=3
	v_cmp_ne_u16_sdwa s22, v23, v2 src0_sel:BYTE_1 src1_sel:DWORD
	v_mov_b32_e32 v86, 0
	s_andn2_b32 s16, s16, exec_lo
	s_and_b32 s22, s22, exec_lo
	s_or_b32 s16, s16, s22
	s_or_b32 exec_lo, exec_lo, s19
	s_and_saveexec_b32 s19, s16
	s_cbranch_execnz .LBB6_6942
	s_branch .LBB6_6943
.LBB6_7497:                             ;   in Loop: Header=BB6_6037 Depth=3
	s_or_saveexec_b32 s19, s19
	v_mov_b32_e32 v87, 0x7f800001
	s_xor_b32 exec_lo, exec_lo, s19
	s_cbranch_execz .LBB6_6947
.LBB6_7498:                             ;   in Loop: Header=BB6_6037 Depth=3
	v_cmp_ne_u16_sdwa s22, v19, v2 src0_sel:BYTE_1 src1_sel:DWORD
	v_mov_b32_e32 v87, 0
	s_andn2_b32 s16, s16, exec_lo
	s_and_b32 s22, s22, exec_lo
	s_or_b32 s16, s16, s22
	s_or_b32 exec_lo, exec_lo, s19
	s_and_saveexec_b32 s19, s16
	s_cbranch_execnz .LBB6_6948
	s_branch .LBB6_6949
.LBB6_7499:                             ;   in Loop: Header=BB6_6037 Depth=3
	s_or_saveexec_b32 s16, s16
	v_mov_b32_e32 v86, 0x7f800001
	s_xor_b32 exec_lo, exec_lo, s16
	s_cbranch_execz .LBB6_6961
.LBB6_7500:                             ;   in Loop: Header=BB6_6037 Depth=3
	v_cmp_ne_u16_e32 vcc_lo, 0, v87
	v_mov_b32_e32 v86, 0
	s_andn2_b32 s19, s19, exec_lo
	s_and_b32 s22, vcc_lo, exec_lo
	s_or_b32 s19, s19, s22
	s_or_b32 exec_lo, exec_lo, s16
	s_and_saveexec_b32 s16, s19
	s_cbranch_execnz .LBB6_6962
	s_branch .LBB6_6963
.LBB6_7501:                             ;   in Loop: Header=BB6_6037 Depth=3
	s_or_saveexec_b32 s16, s16
	v_mov_b32_e32 v87, 0x7f800001
	s_xor_b32 exec_lo, exec_lo, s16
	s_cbranch_execz .LBB6_6967
.LBB6_7502:                             ;   in Loop: Header=BB6_6037 Depth=3
	v_cmp_ne_u16_e32 vcc_lo, 0, v98
	v_mov_b32_e32 v87, 0
	s_andn2_b32 s19, s19, exec_lo
	s_and_b32 s22, vcc_lo, exec_lo
	s_or_b32 s19, s19, s22
	s_or_b32 exec_lo, exec_lo, s16
	s_and_saveexec_b32 s16, s19
	s_cbranch_execnz .LBB6_6968
	s_branch .LBB6_6969
.LBB6_7503:                             ;   in Loop: Header=BB6_6037 Depth=3
	s_or_saveexec_b32 s19, s19
	v_mov_b32_e32 v86, 0x7f800001
	s_xor_b32 exec_lo, exec_lo, s19
	s_cbranch_execz .LBB6_6981
.LBB6_7504:                             ;   in Loop: Header=BB6_6037 Depth=3
	v_cmp_ne_u16_sdwa s22, v23, v2 src0_sel:BYTE_3 src1_sel:DWORD
	v_mov_b32_e32 v86, 0
	s_andn2_b32 s16, s16, exec_lo
	s_and_b32 s22, s22, exec_lo
	s_or_b32 s16, s16, s22
	s_or_b32 exec_lo, exec_lo, s19
	s_and_saveexec_b32 s19, s16
	s_cbranch_execnz .LBB6_6982
	s_branch .LBB6_6983
.LBB6_7505:                             ;   in Loop: Header=BB6_6037 Depth=3
	s_or_saveexec_b32 s19, s19
	v_mov_b32_e32 v23, 0x7f800001
	s_xor_b32 exec_lo, exec_lo, s19
	s_cbranch_execz .LBB6_6987
.LBB6_7506:                             ;   in Loop: Header=BB6_6037 Depth=3
	v_cmp_ne_u16_sdwa s22, v19, v2 src0_sel:BYTE_3 src1_sel:DWORD
	v_mov_b32_e32 v23, 0
	s_andn2_b32 s16, s16, exec_lo
	s_and_b32 s22, s22, exec_lo
	s_or_b32 s16, s16, s22
	s_or_b32 exec_lo, exec_lo, s19
	s_and_saveexec_b32 s19, s16
	s_cbranch_execnz .LBB6_6988
	s_branch .LBB6_6989
.LBB6_7507:                             ;   in Loop: Header=BB6_6037 Depth=3
	s_or_saveexec_b32 s16, s16
	v_mov_b32_e32 v23, 0x7f800001
	s_xor_b32 exec_lo, exec_lo, s16
	s_cbranch_execz .LBB6_7001
.LBB6_7508:                             ;   in Loop: Header=BB6_6037 Depth=3
	v_cmp_ne_u16_sdwa s22, v12, v2 src0_sel:BYTE_0 src1_sel:DWORD
	v_mov_b32_e32 v23, 0
	s_andn2_b32 s19, s19, exec_lo
	s_and_b32 s22, s22, exec_lo
	s_or_b32 s19, s19, s22
	s_or_b32 exec_lo, exec_lo, s16
	s_and_saveexec_b32 s16, s19
	s_cbranch_execnz .LBB6_7002
	s_branch .LBB6_7003
.LBB6_7509:                             ;   in Loop: Header=BB6_6037 Depth=3
	s_or_saveexec_b32 s16, s16
	v_mov_b32_e32 v86, 0x7f800001
	s_xor_b32 exec_lo, exec_lo, s16
	s_cbranch_execz .LBB6_7007
.LBB6_7510:                             ;   in Loop: Header=BB6_6037 Depth=3
	v_cmp_ne_u16_sdwa s22, v8, v2 src0_sel:BYTE_0 src1_sel:DWORD
	v_mov_b32_e32 v86, 0
	s_andn2_b32 s19, s19, exec_lo
	s_and_b32 s22, s22, exec_lo
	s_or_b32 s19, s19, s22
	s_or_b32 exec_lo, exec_lo, s16
	s_and_saveexec_b32 s16, s19
	s_cbranch_execnz .LBB6_7008
	s_branch .LBB6_7009
.LBB6_7511:                             ;   in Loop: Header=BB6_6037 Depth=3
	s_or_saveexec_b32 s19, s19
	v_mov_b32_e32 v86, 0x7f800001
	s_xor_b32 exec_lo, exec_lo, s19
	s_cbranch_execz .LBB6_7021
.LBB6_7512:                             ;   in Loop: Header=BB6_6037 Depth=3
	v_cmp_ne_u16_sdwa s22, v12, v2 src0_sel:BYTE_1 src1_sel:DWORD
	v_mov_b32_e32 v86, 0
	s_andn2_b32 s16, s16, exec_lo
	s_and_b32 s22, s22, exec_lo
	s_or_b32 s16, s16, s22
	s_or_b32 exec_lo, exec_lo, s19
	s_and_saveexec_b32 s19, s16
	s_cbranch_execnz .LBB6_7022
	s_branch .LBB6_7023
.LBB6_7513:                             ;   in Loop: Header=BB6_6037 Depth=3
	s_or_saveexec_b32 s19, s19
	v_mov_b32_e32 v87, 0x7f800001
	s_xor_b32 exec_lo, exec_lo, s19
	s_cbranch_execz .LBB6_7027
.LBB6_7514:                             ;   in Loop: Header=BB6_6037 Depth=3
	v_cmp_ne_u16_sdwa s22, v8, v2 src0_sel:BYTE_1 src1_sel:DWORD
	v_mov_b32_e32 v87, 0
	s_andn2_b32 s16, s16, exec_lo
	s_and_b32 s22, s22, exec_lo
	s_or_b32 s16, s16, s22
	s_or_b32 exec_lo, exec_lo, s19
	s_and_saveexec_b32 s19, s16
	s_cbranch_execnz .LBB6_7028
	s_branch .LBB6_7029
.LBB6_7515:                             ;   in Loop: Header=BB6_6037 Depth=3
	s_or_saveexec_b32 s16, s16
	v_mov_b32_e32 v86, 0x7f800001
	s_xor_b32 exec_lo, exec_lo, s16
	s_cbranch_execz .LBB6_7041
.LBB6_7516:                             ;   in Loop: Header=BB6_6037 Depth=3
	v_cmp_ne_u16_e32 vcc_lo, 0, v87
	v_mov_b32_e32 v86, 0
	s_andn2_b32 s19, s19, exec_lo
	s_and_b32 s22, vcc_lo, exec_lo
	s_or_b32 s19, s19, s22
	s_or_b32 exec_lo, exec_lo, s16
	s_and_saveexec_b32 s16, s19
	s_cbranch_execnz .LBB6_7042
	s_branch .LBB6_7043
.LBB6_7517:                             ;   in Loop: Header=BB6_6037 Depth=3
	s_or_saveexec_b32 s16, s16
	v_mov_b32_e32 v87, 0x7f800001
	s_xor_b32 exec_lo, exec_lo, s16
	s_cbranch_execz .LBB6_7047
.LBB6_7518:                             ;   in Loop: Header=BB6_6037 Depth=3
	v_cmp_ne_u16_e32 vcc_lo, 0, v98
	v_mov_b32_e32 v87, 0
	s_andn2_b32 s19, s19, exec_lo
	s_and_b32 s22, vcc_lo, exec_lo
	s_or_b32 s19, s19, s22
	s_or_b32 exec_lo, exec_lo, s16
	s_and_saveexec_b32 s16, s19
	s_cbranch_execnz .LBB6_7048
	s_branch .LBB6_7049
.LBB6_7519:                             ;   in Loop: Header=BB6_6037 Depth=3
	s_or_saveexec_b32 s19, s19
	v_mov_b32_e32 v86, 0x7f800001
	s_xor_b32 exec_lo, exec_lo, s19
	s_cbranch_execz .LBB6_7061
.LBB6_7520:                             ;   in Loop: Header=BB6_6037 Depth=3
	v_cmp_ne_u16_sdwa s22, v12, v2 src0_sel:BYTE_3 src1_sel:DWORD
	v_mov_b32_e32 v86, 0
	s_andn2_b32 s16, s16, exec_lo
	s_and_b32 s22, s22, exec_lo
	s_or_b32 s16, s16, s22
	s_or_b32 exec_lo, exec_lo, s19
	s_and_saveexec_b32 s19, s16
	s_cbranch_execnz .LBB6_7062
	s_branch .LBB6_7063
.LBB6_7521:                             ;   in Loop: Header=BB6_6037 Depth=3
	s_or_saveexec_b32 s19, s19
	v_mov_b32_e32 v12, 0x7f800001
	s_xor_b32 exec_lo, exec_lo, s19
	s_cbranch_execz .LBB6_7067
.LBB6_7522:                             ;   in Loop: Header=BB6_6037 Depth=3
	v_cmp_ne_u16_sdwa s22, v8, v2 src0_sel:BYTE_3 src1_sel:DWORD
	v_mov_b32_e32 v12, 0
	s_andn2_b32 s16, s16, exec_lo
	s_and_b32 s22, s22, exec_lo
	s_or_b32 s16, s16, s22
	s_or_b32 exec_lo, exec_lo, s19
	s_and_saveexec_b32 s19, s16
	s_cbranch_execnz .LBB6_7068
	s_branch .LBB6_7069
.LBB6_7523:                             ;   in Loop: Header=BB6_6037 Depth=3
	s_or_saveexec_b32 s16, s16
	v_mov_b32_e32 v12, 0x7f800001
	s_xor_b32 exec_lo, exec_lo, s16
	s_cbranch_execz .LBB6_7081
.LBB6_7524:                             ;   in Loop: Header=BB6_6037 Depth=3
	v_cmp_ne_u16_sdwa s22, v13, v2 src0_sel:BYTE_0 src1_sel:DWORD
	v_mov_b32_e32 v12, 0
	s_andn2_b32 s19, s19, exec_lo
	s_and_b32 s22, s22, exec_lo
	s_or_b32 s19, s19, s22
	s_or_b32 exec_lo, exec_lo, s16
	s_and_saveexec_b32 s16, s19
	s_cbranch_execnz .LBB6_7082
	s_branch .LBB6_7083
.LBB6_7525:                             ;   in Loop: Header=BB6_6037 Depth=3
	s_or_saveexec_b32 s16, s16
	v_mov_b32_e32 v86, 0x7f800001
	s_xor_b32 exec_lo, exec_lo, s16
	s_cbranch_execz .LBB6_7087
.LBB6_7526:                             ;   in Loop: Header=BB6_6037 Depth=3
	v_cmp_ne_u16_sdwa s22, v9, v2 src0_sel:BYTE_0 src1_sel:DWORD
	v_mov_b32_e32 v86, 0
	s_andn2_b32 s19, s19, exec_lo
	s_and_b32 s22, s22, exec_lo
	s_or_b32 s19, s19, s22
	s_or_b32 exec_lo, exec_lo, s16
	s_and_saveexec_b32 s16, s19
	s_cbranch_execnz .LBB6_7088
	s_branch .LBB6_7089
.LBB6_7527:                             ;   in Loop: Header=BB6_6037 Depth=3
	s_or_saveexec_b32 s19, s19
	v_mov_b32_e32 v86, 0x7f800001
	s_xor_b32 exec_lo, exec_lo, s19
	s_cbranch_execz .LBB6_7101
.LBB6_7528:                             ;   in Loop: Header=BB6_6037 Depth=3
	v_cmp_ne_u16_sdwa s22, v13, v2 src0_sel:BYTE_1 src1_sel:DWORD
	v_mov_b32_e32 v86, 0
	s_andn2_b32 s16, s16, exec_lo
	s_and_b32 s22, s22, exec_lo
	s_or_b32 s16, s16, s22
	s_or_b32 exec_lo, exec_lo, s19
	s_and_saveexec_b32 s19, s16
	s_cbranch_execnz .LBB6_7102
	s_branch .LBB6_7103
.LBB6_7529:                             ;   in Loop: Header=BB6_6037 Depth=3
	s_or_saveexec_b32 s19, s19
	v_mov_b32_e32 v87, 0x7f800001
	s_xor_b32 exec_lo, exec_lo, s19
	s_cbranch_execz .LBB6_7107
.LBB6_7530:                             ;   in Loop: Header=BB6_6037 Depth=3
	v_cmp_ne_u16_sdwa s22, v9, v2 src0_sel:BYTE_1 src1_sel:DWORD
	v_mov_b32_e32 v87, 0
	s_andn2_b32 s16, s16, exec_lo
	s_and_b32 s22, s22, exec_lo
	s_or_b32 s16, s16, s22
	s_or_b32 exec_lo, exec_lo, s19
	s_and_saveexec_b32 s19, s16
	s_cbranch_execnz .LBB6_7108
	s_branch .LBB6_7109
.LBB6_7531:                             ;   in Loop: Header=BB6_6037 Depth=3
	s_or_saveexec_b32 s16, s16
	v_mov_b32_e32 v86, 0x7f800001
	s_xor_b32 exec_lo, exec_lo, s16
	s_cbranch_execz .LBB6_7121
.LBB6_7532:                             ;   in Loop: Header=BB6_6037 Depth=3
	v_cmp_ne_u16_e32 vcc_lo, 0, v87
	v_mov_b32_e32 v86, 0
	s_andn2_b32 s19, s19, exec_lo
	s_and_b32 s22, vcc_lo, exec_lo
	s_or_b32 s19, s19, s22
	s_or_b32 exec_lo, exec_lo, s16
	s_and_saveexec_b32 s16, s19
	s_cbranch_execnz .LBB6_7122
	s_branch .LBB6_7123
.LBB6_7533:                             ;   in Loop: Header=BB6_6037 Depth=3
	s_or_saveexec_b32 s16, s16
	v_mov_b32_e32 v87, 0x7f800001
	s_xor_b32 exec_lo, exec_lo, s16
	s_cbranch_execz .LBB6_7127
.LBB6_7534:                             ;   in Loop: Header=BB6_6037 Depth=3
	v_cmp_ne_u16_e32 vcc_lo, 0, v112
	v_mov_b32_e32 v87, 0
	s_andn2_b32 s19, s19, exec_lo
	s_and_b32 s22, vcc_lo, exec_lo
	s_or_b32 s19, s19, s22
	s_or_b32 exec_lo, exec_lo, s16
	s_and_saveexec_b32 s16, s19
	s_cbranch_execnz .LBB6_7128
	s_branch .LBB6_7129
.LBB6_7535:                             ;   in Loop: Header=BB6_6037 Depth=3
	s_or_saveexec_b32 s19, s19
	v_mov_b32_e32 v86, 0x7f800001
	s_xor_b32 exec_lo, exec_lo, s19
	s_cbranch_execz .LBB6_7141
.LBB6_7536:                             ;   in Loop: Header=BB6_6037 Depth=3
	v_cmp_ne_u16_sdwa s22, v13, v2 src0_sel:BYTE_3 src1_sel:DWORD
	v_mov_b32_e32 v86, 0
	s_andn2_b32 s16, s16, exec_lo
	s_and_b32 s22, s22, exec_lo
	s_or_b32 s16, s16, s22
	s_or_b32 exec_lo, exec_lo, s19
	s_and_saveexec_b32 s19, s16
	s_cbranch_execnz .LBB6_7142
	s_branch .LBB6_7143
.LBB6_7537:                             ;   in Loop: Header=BB6_6037 Depth=3
	s_or_saveexec_b32 s19, s19
	v_mov_b32_e32 v13, 0x7f800001
	s_xor_b32 exec_lo, exec_lo, s19
	s_cbranch_execz .LBB6_7147
.LBB6_7538:                             ;   in Loop: Header=BB6_6037 Depth=3
	v_cmp_ne_u16_sdwa s22, v9, v2 src0_sel:BYTE_3 src1_sel:DWORD
	v_mov_b32_e32 v13, 0
	s_andn2_b32 s16, s16, exec_lo
	s_and_b32 s22, s22, exec_lo
	s_or_b32 s16, s16, s22
	s_or_b32 exec_lo, exec_lo, s19
	s_and_saveexec_b32 s19, s16
	s_cbranch_execnz .LBB6_7148
	s_branch .LBB6_7149
.LBB6_7539:                             ;   in Loop: Header=BB6_6037 Depth=3
	s_or_saveexec_b32 s16, s16
	v_mov_b32_e32 v13, 0x7f800001
	s_xor_b32 exec_lo, exec_lo, s16
	s_cbranch_execz .LBB6_7161
.LBB6_7540:                             ;   in Loop: Header=BB6_6037 Depth=3
	v_cmp_ne_u16_sdwa s22, v14, v2 src0_sel:BYTE_0 src1_sel:DWORD
	v_mov_b32_e32 v13, 0
	s_andn2_b32 s19, s19, exec_lo
	s_and_b32 s22, s22, exec_lo
	s_or_b32 s19, s19, s22
	s_or_b32 exec_lo, exec_lo, s16
	s_and_saveexec_b32 s16, s19
	s_cbranch_execnz .LBB6_7162
	s_branch .LBB6_7163
.LBB6_7541:                             ;   in Loop: Header=BB6_6037 Depth=3
	s_or_saveexec_b32 s16, s16
	v_mov_b32_e32 v86, 0x7f800001
	s_xor_b32 exec_lo, exec_lo, s16
	s_cbranch_execz .LBB6_7167
.LBB6_7542:                             ;   in Loop: Header=BB6_6037 Depth=3
	v_cmp_ne_u16_sdwa s22, v10, v2 src0_sel:BYTE_0 src1_sel:DWORD
	v_mov_b32_e32 v86, 0
	s_andn2_b32 s19, s19, exec_lo
	s_and_b32 s22, s22, exec_lo
	s_or_b32 s19, s19, s22
	s_or_b32 exec_lo, exec_lo, s16
	s_and_saveexec_b32 s16, s19
	s_cbranch_execnz .LBB6_7168
	s_branch .LBB6_7169
.LBB6_7543:                             ;   in Loop: Header=BB6_6037 Depth=3
	s_or_saveexec_b32 s19, s19
	v_mov_b32_e32 v86, 0x7f800001
	s_xor_b32 exec_lo, exec_lo, s19
	s_cbranch_execz .LBB6_7181
.LBB6_7544:                             ;   in Loop: Header=BB6_6037 Depth=3
	v_cmp_ne_u16_sdwa s22, v14, v2 src0_sel:BYTE_1 src1_sel:DWORD
	v_mov_b32_e32 v86, 0
	s_andn2_b32 s16, s16, exec_lo
	s_and_b32 s22, s22, exec_lo
	s_or_b32 s16, s16, s22
	s_or_b32 exec_lo, exec_lo, s19
	s_and_saveexec_b32 s19, s16
	s_cbranch_execnz .LBB6_7182
	s_branch .LBB6_7183
.LBB6_7545:                             ;   in Loop: Header=BB6_6037 Depth=3
	s_or_saveexec_b32 s19, s19
	v_mov_b32_e32 v87, 0x7f800001
	s_xor_b32 exec_lo, exec_lo, s19
	s_cbranch_execz .LBB6_7187
.LBB6_7546:                             ;   in Loop: Header=BB6_6037 Depth=3
	v_cmp_ne_u16_sdwa s22, v10, v2 src0_sel:BYTE_1 src1_sel:DWORD
	v_mov_b32_e32 v87, 0
	s_andn2_b32 s16, s16, exec_lo
	s_and_b32 s22, s22, exec_lo
	s_or_b32 s16, s16, s22
	s_or_b32 exec_lo, exec_lo, s19
	s_and_saveexec_b32 s19, s16
	s_cbranch_execnz .LBB6_7188
	s_branch .LBB6_7189
.LBB6_7547:                             ;   in Loop: Header=BB6_6037 Depth=3
	s_or_saveexec_b32 s16, s16
	v_mov_b32_e32 v86, 0x7f800001
	s_xor_b32 exec_lo, exec_lo, s16
	s_cbranch_execz .LBB6_7201
.LBB6_7548:                             ;   in Loop: Header=BB6_6037 Depth=3
	v_cmp_ne_u16_e32 vcc_lo, 0, v87
	v_mov_b32_e32 v86, 0
	s_andn2_b32 s19, s19, exec_lo
	s_and_b32 s22, vcc_lo, exec_lo
	s_or_b32 s19, s19, s22
	s_or_b32 exec_lo, exec_lo, s16
	s_and_saveexec_b32 s16, s19
	s_cbranch_execnz .LBB6_7202
	s_branch .LBB6_7203
.LBB6_7549:                             ;   in Loop: Header=BB6_6037 Depth=3
	s_or_saveexec_b32 s16, s16
	v_mov_b32_e32 v87, 0x7f800001
	s_xor_b32 exec_lo, exec_lo, s16
	s_cbranch_execz .LBB6_7207
.LBB6_7550:                             ;   in Loop: Header=BB6_6037 Depth=3
	v_cmp_ne_u16_e32 vcc_lo, 0, v112
	v_mov_b32_e32 v87, 0
	s_andn2_b32 s19, s19, exec_lo
	s_and_b32 s22, vcc_lo, exec_lo
	s_or_b32 s19, s19, s22
	s_or_b32 exec_lo, exec_lo, s16
	s_and_saveexec_b32 s16, s19
	s_cbranch_execnz .LBB6_7208
	s_branch .LBB6_7209
.LBB6_7551:                             ;   in Loop: Header=BB6_6037 Depth=3
	s_or_saveexec_b32 s19, s19
	v_mov_b32_e32 v86, 0x7f800001
	s_xor_b32 exec_lo, exec_lo, s19
	s_cbranch_execz .LBB6_7221
.LBB6_7552:                             ;   in Loop: Header=BB6_6037 Depth=3
	v_cmp_ne_u16_sdwa s22, v14, v2 src0_sel:BYTE_3 src1_sel:DWORD
	v_mov_b32_e32 v86, 0
	s_andn2_b32 s16, s16, exec_lo
	s_and_b32 s22, s22, exec_lo
	s_or_b32 s16, s16, s22
	s_or_b32 exec_lo, exec_lo, s19
	s_and_saveexec_b32 s19, s16
	s_cbranch_execnz .LBB6_7222
	s_branch .LBB6_7223
.LBB6_7553:                             ;   in Loop: Header=BB6_6037 Depth=3
	s_or_saveexec_b32 s19, s19
	v_mov_b32_e32 v14, 0x7f800001
	s_xor_b32 exec_lo, exec_lo, s19
	s_cbranch_execz .LBB6_7227
.LBB6_7554:                             ;   in Loop: Header=BB6_6037 Depth=3
	v_cmp_ne_u16_sdwa s22, v10, v2 src0_sel:BYTE_3 src1_sel:DWORD
	v_mov_b32_e32 v14, 0
	s_andn2_b32 s16, s16, exec_lo
	s_and_b32 s22, s22, exec_lo
	s_or_b32 s16, s16, s22
	s_or_b32 exec_lo, exec_lo, s19
	s_and_saveexec_b32 s19, s16
	s_cbranch_execnz .LBB6_7228
	s_branch .LBB6_7229
.LBB6_7555:                             ;   in Loop: Header=BB6_6037 Depth=3
	s_or_saveexec_b32 s16, s16
	v_mov_b32_e32 v14, 0x7f800001
	s_xor_b32 exec_lo, exec_lo, s16
	s_cbranch_execz .LBB6_7241
.LBB6_7556:                             ;   in Loop: Header=BB6_6037 Depth=3
	v_cmp_ne_u16_sdwa s22, v15, v2 src0_sel:BYTE_0 src1_sel:DWORD
	v_mov_b32_e32 v14, 0
	s_andn2_b32 s19, s19, exec_lo
	s_and_b32 s22, s22, exec_lo
	s_or_b32 s19, s19, s22
	s_or_b32 exec_lo, exec_lo, s16
	s_and_saveexec_b32 s16, s19
	s_cbranch_execnz .LBB6_7242
	s_branch .LBB6_7243
.LBB6_7557:                             ;   in Loop: Header=BB6_6037 Depth=3
	s_or_saveexec_b32 s16, s16
	v_mov_b32_e32 v86, 0x7f800001
	s_xor_b32 exec_lo, exec_lo, s16
	s_cbranch_execz .LBB6_7247
.LBB6_7558:                             ;   in Loop: Header=BB6_6037 Depth=3
	v_cmp_ne_u16_sdwa s22, v11, v2 src0_sel:BYTE_0 src1_sel:DWORD
	v_mov_b32_e32 v86, 0
	s_andn2_b32 s19, s19, exec_lo
	s_and_b32 s22, s22, exec_lo
	s_or_b32 s19, s19, s22
	s_or_b32 exec_lo, exec_lo, s16
	s_and_saveexec_b32 s16, s19
	s_cbranch_execnz .LBB6_7248
	s_branch .LBB6_7249
.LBB6_7559:                             ;   in Loop: Header=BB6_6037 Depth=3
	s_or_saveexec_b32 s19, s19
	v_mov_b32_e32 v86, 0x7f800001
	s_xor_b32 exec_lo, exec_lo, s19
	s_cbranch_execz .LBB6_7261
.LBB6_7560:                             ;   in Loop: Header=BB6_6037 Depth=3
	v_cmp_ne_u16_sdwa s22, v15, v2 src0_sel:BYTE_1 src1_sel:DWORD
	v_mov_b32_e32 v86, 0
	s_andn2_b32 s16, s16, exec_lo
	s_and_b32 s22, s22, exec_lo
	s_or_b32 s16, s16, s22
	s_or_b32 exec_lo, exec_lo, s19
	s_and_saveexec_b32 s19, s16
	s_cbranch_execnz .LBB6_7262
	s_branch .LBB6_7263
.LBB6_7561:                             ;   in Loop: Header=BB6_6037 Depth=3
	s_or_saveexec_b32 s19, s19
	v_mov_b32_e32 v87, 0x7f800001
	s_xor_b32 exec_lo, exec_lo, s19
	s_cbranch_execz .LBB6_7267
.LBB6_7562:                             ;   in Loop: Header=BB6_6037 Depth=3
	v_cmp_ne_u16_sdwa s22, v11, v2 src0_sel:BYTE_1 src1_sel:DWORD
	v_mov_b32_e32 v87, 0
	s_andn2_b32 s16, s16, exec_lo
	s_and_b32 s22, s22, exec_lo
	s_or_b32 s16, s16, s22
	s_or_b32 exec_lo, exec_lo, s19
	s_and_saveexec_b32 s19, s16
	s_cbranch_execnz .LBB6_7268
	s_branch .LBB6_7269
.LBB6_7563:                             ;   in Loop: Header=BB6_6037 Depth=3
	s_or_saveexec_b32 s16, s16
	v_mov_b32_e32 v86, 0x7f800001
	s_xor_b32 exec_lo, exec_lo, s16
	s_cbranch_execz .LBB6_7281
.LBB6_7564:                             ;   in Loop: Header=BB6_6037 Depth=3
	v_cmp_ne_u16_e32 vcc_lo, 0, v87
	v_mov_b32_e32 v86, 0
	s_andn2_b32 s19, s19, exec_lo
	s_and_b32 s22, vcc_lo, exec_lo
	s_or_b32 s19, s19, s22
	s_or_b32 exec_lo, exec_lo, s16
	s_and_saveexec_b32 s16, s19
	s_cbranch_execnz .LBB6_7282
	s_branch .LBB6_7283
.LBB6_7565:                             ;   in Loop: Header=BB6_6037 Depth=3
	s_or_saveexec_b32 s16, s16
	v_mov_b32_e32 v87, 0x7f800001
	s_xor_b32 exec_lo, exec_lo, s16
	s_cbranch_execz .LBB6_7287
.LBB6_7566:                             ;   in Loop: Header=BB6_6037 Depth=3
	v_cmp_ne_u16_e32 vcc_lo, 0, v113
	v_mov_b32_e32 v87, 0
	s_andn2_b32 s19, s19, exec_lo
	s_and_b32 s22, vcc_lo, exec_lo
	s_or_b32 s19, s19, s22
	s_or_b32 exec_lo, exec_lo, s16
	s_and_saveexec_b32 s16, s19
	s_cbranch_execnz .LBB6_7288
	s_branch .LBB6_7289
.LBB6_7567:                             ;   in Loop: Header=BB6_6037 Depth=3
	s_or_saveexec_b32 s19, s19
	v_mov_b32_e32 v86, 0x7f800001
	s_xor_b32 exec_lo, exec_lo, s19
	s_cbranch_execz .LBB6_7301
.LBB6_7568:                             ;   in Loop: Header=BB6_6037 Depth=3
	v_cmp_ne_u16_sdwa s22, v15, v2 src0_sel:BYTE_3 src1_sel:DWORD
	v_mov_b32_e32 v86, 0
	s_andn2_b32 s16, s16, exec_lo
	s_and_b32 s22, s22, exec_lo
	s_or_b32 s16, s16, s22
	s_or_b32 exec_lo, exec_lo, s19
	s_and_saveexec_b32 s19, s16
	s_cbranch_execnz .LBB6_7302
	s_branch .LBB6_7303
.LBB6_7569:                             ;   in Loop: Header=BB6_6037 Depth=3
	s_or_saveexec_b32 s19, s19
	v_mov_b32_e32 v15, 0x7f800001
	s_xor_b32 exec_lo, exec_lo, s19
	s_cbranch_execz .LBB6_7307
.LBB6_7570:                             ;   in Loop: Header=BB6_6037 Depth=3
	v_cmp_ne_u16_sdwa s22, v11, v2 src0_sel:BYTE_3 src1_sel:DWORD
	v_mov_b32_e32 v15, 0
	s_andn2_b32 s16, s16, exec_lo
	s_and_b32 s22, s22, exec_lo
	s_or_b32 s16, s16, s22
	s_or_b32 exec_lo, exec_lo, s19
	s_and_saveexec_b32 s19, s16
	s_cbranch_execnz .LBB6_7308
	s_branch .LBB6_7309
.LBB6_7571:                             ;   in Loop: Header=BB6_3207 Depth=2
	s_or_b32 exec_lo, exec_lo, s18
.LBB6_7572:                             ;   in Loop: Header=BB6_3207 Depth=2
	s_or_b32 exec_lo, exec_lo, s17
	v_lshlrev_b32_e32 v1, 11, v41
	v_mov_b32_e32 v4, 0
	s_mov_b32 s16, 0
	s_mov_b32 s18, exec_lo
                                        ; implicit-def: $vgpr5
                                        ; implicit-def: $vgpr14
                                        ; implicit-def: $vgpr8
	v_cmpx_ne_u32_e64 v95, v1
	s_cbranch_execz .LBB6_7964
; %bb.7573:                             ;   in Loop: Header=BB6_3207 Depth=2
	buffer_load_dword v5, off, s[0:3], s33 offset:200 ; 4-byte Folded Reload
	v_lshlrev_b32_e32 v4, 5, v40
	v_sub_nc_u32_e32 v8, v95, v1
	s_mov_b32 s19, exec_lo
	s_waitcnt vmcnt(1)
	v_ashrrev_i32_e32 v9, 31, v8
	v_lshrrev_b32_e32 v9, 23, v9
	v_add_nc_u32_e32 v9, v8, v9
	v_and_b32_e32 v22, 0xfffffe00, v9
	v_ashrrev_i32_e32 v9, 9, v9
	v_sub_nc_u32_e32 v24, v8, v22
	v_cmp_lt_i32_e32 vcc_lo, 15, v24
	v_add_co_ci_u32_e64 v9, null, 0, v9, vcc_lo
	s_waitcnt vmcnt(0)
	v_sub_nc_u32_e32 v4, v5, v4
	v_ashrrev_i32_e32 v5, 31, v4
	v_lshrrev_b32_e32 v5, 27, v5
	v_add_nc_u32_e32 v5, v4, v5
	v_and_b32_e32 v10, 0xffffffe0, v5
	v_sub_nc_u32_e32 v23, v4, v10
	v_ashrrev_i32_e32 v10, 5, v5
	v_lshlrev_b32_e32 v4, 4, v23
	v_sub_nc_u32_e32 v25, v9, v10
	v_lshl_add_u32 v5, v10, 9, v4
	v_sub_nc_u32_e32 v4, v8, v5
	v_cmpx_lt_i32_e32 15, v4
	s_cbranch_execz .LBB6_7961
; %bb.7574:                             ;   in Loop: Header=BB6_3207 Depth=2
	s_trap 2
	ds_read_b64 v[8:9], v0
	v_add_nc_u32_e32 v5, v5, v1
	s_mov_b32 s22, 0
	v_ashrrev_i32_e32 v10, 31, v5
	v_add_co_u32 v16, s16, v5, v101
	v_add_co_ci_u32_e64 v17, null, v10, v102, s16
	s_waitcnt lgkmcnt(0)
	v_add_co_u32 v18, s16, v8, v5
	v_add_co_ci_u32_e64 v19, null, v9, v10, s16
	s_clause 0x1
	buffer_load_dword v8, off, s[0:3], s33 offset:232
	buffer_load_dword v9, off, s[0:3], s33 offset:236
	s_waitcnt vmcnt(1)
	v_add_co_u32 v20, s16, v5, v8
	s_waitcnt vmcnt(0)
	v_add_co_ci_u32_e64 v21, null, v10, v9, s16
	s_branch .LBB6_7578
.LBB6_7575:                             ;   in Loop: Header=BB6_7578 Depth=3
	s_or_b32 exec_lo, exec_lo, s16
	v_lshrrev_b32_e32 v34, 21, v34
	v_min_i32_e32 v35, 31, v15
	v_cmp_gt_i32_e64 s16, 32, v15
	v_and_b32_sdwa v11, v11, v60 dst_sel:DWORD dst_unused:UNUSED_PAD src0_sel:BYTE_3 src1_sel:DWORD
	v_lshlrev_b32_e32 v35, 2, v35
	v_cndmask_b32_e64 v34, 3, v34, s16
	v_and_b32_e32 v35, 0xfc, v35
	v_and_b32_e32 v36, 3, v34
	v_or_b32_e32 v15, v15, v34
	v_or3_b32 v11, v11, v35, v36
	v_cmp_ne_u32_e64 s16, 0, v15
	v_lshlrev_b32_e32 v11, 8, v11
	v_cndmask_b32_e64 v15, 0, v11, s16
.LBB6_7576:                             ;   in Loop: Header=BB6_7578 Depth=3
	s_or_b32 exec_lo, exec_lo, s72
.LBB6_7577:                             ;   in Loop: Header=BB6_7578 Depth=3
	s_or_b32 exec_lo, exec_lo, s23
	v_or_b32_sdwa v9, v9, v29 dst_sel:WORD_1 dst_unused:UNUSED_PAD src0_sel:DWORD src1_sel:DWORD
	v_or_b32_sdwa v8, v8, v27 dst_sel:WORD_1 dst_unused:UNUSED_PAD src0_sel:DWORD src1_sel:DWORD
	;; [unrolled: 1-line block ×4, first 2 shown]
	v_sub_nc_u32_e32 v4, v4, v75
	v_or3_b32 v9, v28, v12, v9
	v_or3_b32 v8, v26, v5, v8
	;; [unrolled: 1-line block ×4, first 2 shown]
	v_add_co_u32 v16, s16, v16, v75
	v_add_co_ci_u32_e64 v17, null, 0, v17, s16
	v_add_co_u32 v18, s16, v18, v75
	global_store_dwordx4 v[20:21], v[8:11], off glc slc
	v_add_co_ci_u32_e64 v19, null, 0, v19, s16
	v_cmp_gt_i32_e64 s16, 16, v4
	v_add_co_u32 v20, s17, v20, v75
	v_add_co_ci_u32_e64 v21, null, 0, v21, s17
	v_sub_nc_u32_e32 v25, v25, v47
	s_or_b32 s22, s16, s22
	s_andn2_b32 exec_lo, exec_lo, s22
	s_cbranch_execz .LBB6_7960
.LBB6_7578:                             ;   Parent Loop BB6_47 Depth=1
                                        ;     Parent Loop BB6_3207 Depth=2
                                        ; =>    This Inner Loop Header: Depth=3
	global_load_dwordx4 v[12:15], v[16:17], off slc
	global_load_dwordx4 v[8:11], v[18:19], off slc
	s_mov_b32 s16, 0
	s_waitcnt vmcnt(1)
	v_cmp_gt_i16_sdwa s17, v12, v59 src0_sel:BYTE_0 src1_sel:DWORD
	s_and_saveexec_b32 s23, s17
	s_xor_b32 s17, exec_lo, s23
	s_cbranch_execz .LBB6_7896
; %bb.7579:                             ;   in Loop: Header=BB6_7578 Depth=3
	v_cmp_eq_u16_sdwa s72, v12, v60 src0_sel:BYTE_0 src1_sel:DWORD
	s_mov_b32 s16, -1
	s_and_saveexec_b32 s23, s72
; %bb.7580:                             ;   in Loop: Header=BB6_7578 Depth=3
	s_xor_b32 s16, exec_lo, -1
; %bb.7581:                             ;   in Loop: Header=BB6_7578 Depth=3
	s_or_b32 exec_lo, exec_lo, s23
	s_and_b32 s16, s16, exec_lo
	s_or_saveexec_b32 s17, s17
	v_mov_b32_e32 v5, 0x7f800001
	s_xor_b32 exec_lo, exec_lo, s17
	s_cbranch_execnz .LBB6_7897
.LBB6_7582:                             ;   in Loop: Header=BB6_7578 Depth=3
	s_or_b32 exec_lo, exec_lo, s17
	s_and_saveexec_b32 s17, s16
	s_cbranch_execz .LBB6_7584
.LBB6_7583:                             ;   in Loop: Header=BB6_7578 Depth=3
	v_and_b32_e32 v5, 3, v12
	v_bfe_u32 v28, v12, 2, 5
	v_lshlrev_b32_e32 v29, 24, v12
	v_ffbh_u32_e32 v26, v5
	v_cmp_eq_u32_e64 s16, 0, v28
	v_min_u32_e32 v26, 32, v26
	v_subrev_nc_u32_e32 v27, 29, v26
	v_sub_nc_u32_e32 v26, 30, v26
	v_lshlrev_b32_e32 v27, v27, v12
	v_cndmask_b32_e64 v26, v28, v26, s16
	v_and_b32_e32 v27, 3, v27
	v_lshl_add_u32 v26, v26, 23, 0x37800000
	v_cndmask_b32_e64 v5, v5, v27, s16
	v_and_b32_e32 v27, 0x80000000, v29
	v_lshlrev_b32_e32 v5, 21, v5
	v_or3_b32 v5, v27, v26, v5
.LBB6_7584:                             ;   in Loop: Header=BB6_7578 Depth=3
	s_or_b32 exec_lo, exec_lo, s17
	s_waitcnt vmcnt(0)
	v_cmp_gt_i16_sdwa s17, v8, v59 src0_sel:BYTE_0 src1_sel:DWORD
	s_mov_b32 s16, 0
	s_and_saveexec_b32 s23, s17
	s_xor_b32 s17, exec_lo, s23
	s_cbranch_execz .LBB6_7898
; %bb.7585:                             ;   in Loop: Header=BB6_7578 Depth=3
	v_cmp_eq_u16_sdwa s72, v8, v60 src0_sel:BYTE_0 src1_sel:DWORD
	s_mov_b32 s16, -1
	s_and_saveexec_b32 s23, s72
; %bb.7586:                             ;   in Loop: Header=BB6_7578 Depth=3
	s_xor_b32 s16, exec_lo, -1
; %bb.7587:                             ;   in Loop: Header=BB6_7578 Depth=3
	s_or_b32 exec_lo, exec_lo, s23
	s_and_b32 s16, s16, exec_lo
	s_or_saveexec_b32 s17, s17
	v_mov_b32_e32 v26, 0x7f800001
	s_xor_b32 exec_lo, exec_lo, s17
	s_cbranch_execnz .LBB6_7899
.LBB6_7588:                             ;   in Loop: Header=BB6_7578 Depth=3
	s_or_b32 exec_lo, exec_lo, s17
	s_and_saveexec_b32 s17, s16
	s_cbranch_execz .LBB6_7590
.LBB6_7589:                             ;   in Loop: Header=BB6_7578 Depth=3
	v_and_b32_e32 v26, 3, v8
	v_bfe_u32 v29, v8, 2, 5
	v_lshlrev_b32_e32 v30, 24, v8
	v_ffbh_u32_e32 v27, v26
	v_cmp_eq_u32_e64 s16, 0, v29
	v_min_u32_e32 v27, 32, v27
	v_subrev_nc_u32_e32 v28, 29, v27
	v_sub_nc_u32_e32 v27, 30, v27
	v_lshlrev_b32_e32 v28, v28, v8
	v_cndmask_b32_e64 v27, v29, v27, s16
	v_and_b32_e32 v28, 3, v28
	v_lshl_add_u32 v27, v27, 23, 0x37800000
	v_cndmask_b32_e64 v26, v26, v28, s16
	v_and_b32_e32 v28, 0x80000000, v30
	v_lshlrev_b32_e32 v26, 21, v26
	v_or3_b32 v26, v28, v27, v26
.LBB6_7590:                             ;   in Loop: Header=BB6_7578 Depth=3
	s_or_b32 exec_lo, exec_lo, s17
	v_mul_f32_e32 v26, v5, v26
	v_and_b32_e32 v5, 0x7f800000, v26
	v_cmp_ne_u32_e64 s16, 0x7f800000, v5
	v_mov_b32_e32 v5, 0x80
	s_and_saveexec_b32 s23, s16
	s_cbranch_execz .LBB6_7598
; %bb.7591:                             ;   in Loop: Header=BB6_7578 Depth=3
	v_mov_b32_e32 v5, 0
	s_mov_b32 s72, exec_lo
	v_cmpx_ne_u32_e32 0, v26
	s_cbranch_execz .LBB6_7597
; %bb.7592:                             ;   in Loop: Header=BB6_7578 Depth=3
	v_bfe_u32 v5, v26, 23, 8
	v_and_b32_e32 v27, 0x7fffff, v26
	v_sub_nc_u32_e32 v28, 0x70, v5
	v_cmp_gt_u32_e64 s16, 0x71, v5
	v_or_b32_e32 v29, 0x800000, v27
	v_cndmask_b32_e64 v28, 0, v28, s16
	v_cmp_eq_u32_e64 s16, 0, v5
	v_add_nc_u32_e32 v5, 0xffffff91, v5
	v_cndmask_b32_e64 v28, v28, 0x6f, s16
	v_cndmask_b32_e64 v27, v29, v27, s16
	;; [unrolled: 1-line block ×3, first 2 shown]
	v_lshl_add_u32 v29, 0x200000, v28, -1
	v_lshrrev_b32_e32 v30, v28, v27
	v_lshlrev_b32_e64 v32, v28, 0x100000
	v_add_nc_u32_e32 v28, v28, v5
	v_and_b32_e32 v27, v29, v27
	v_bfe_u32 v31, v30, 21, 1
	v_cmp_eq_u32_e64 s17, v27, v32
	v_add_nc_u32_e32 v29, -1, v31
	v_cndmask_b32_e64 v27, 0, v29, s17
	v_lshrrev_b32_e32 v29, 23, v30
	s_mov_b32 s17, exec_lo
	v_add_nc_u32_e32 v27, v27, v30
	v_xor_b32_e32 v29, 1, v29
	v_and_b32_e32 v5, 0x1fffff, v27
	v_add_nc_u32_e32 v27, v5, v30
                                        ; implicit-def: $vgpr5
	v_cmpx_ne_u32_e64 v28, v29
	s_xor_b32 s17, exec_lo, s17
; %bb.7593:                             ;   in Loop: Header=BB6_7578 Depth=3
	v_cmp_lt_u32_e64 s16, 0xffffff, v27
	v_sub_nc_u32_e32 v5, v28, v29
	v_cndmask_b32_e64 v28, 0, 1, s16
	v_add_co_ci_u32_e64 v5, null, 0, v5, s16
	v_lshrrev_b32_e32 v27, v28, v27
; %bb.7594:                             ;   in Loop: Header=BB6_7578 Depth=3
	s_andn2_saveexec_b32 s16, s17
; %bb.7595:                             ;   in Loop: Header=BB6_7578 Depth=3
	v_bfe_u32 v5, v27, 23, 1
; %bb.7596:                             ;   in Loop: Header=BB6_7578 Depth=3
	s_or_b32 exec_lo, exec_lo, s16
	v_lshrrev_b32_e32 v27, 21, v27
	v_min_i32_e32 v28, 31, v5
	v_cmp_gt_i32_e64 s16, 32, v5
	v_and_b32_sdwa v26, v26, v60 dst_sel:DWORD dst_unused:UNUSED_PAD src0_sel:BYTE_3 src1_sel:DWORD
	v_lshlrev_b32_e32 v28, 2, v28
	v_cndmask_b32_e64 v27, 3, v27, s16
	v_and_b32_e32 v28, 0xfc, v28
	v_and_b32_e32 v29, 3, v27
	v_or_b32_e32 v5, v5, v27
	v_or3_b32 v26, v28, v26, v29
	v_cmp_ne_u32_e64 s16, 0, v5
	v_cndmask_b32_e64 v5, 0, v26, s16
.LBB6_7597:                             ;   in Loop: Header=BB6_7578 Depth=3
	s_or_b32 exec_lo, exec_lo, s72
.LBB6_7598:                             ;   in Loop: Header=BB6_7578 Depth=3
	s_or_b32 exec_lo, exec_lo, s23
	v_cmp_gt_i16_sdwa s17, v12, v59 src0_sel:BYTE_1 src1_sel:DWORD
	s_mov_b32 s16, 0
	s_and_saveexec_b32 s23, s17
	s_xor_b32 s17, exec_lo, s23
	s_cbranch_execz .LBB6_7900
; %bb.7599:                             ;   in Loop: Header=BB6_7578 Depth=3
	v_cmp_eq_u16_sdwa s72, v12, v60 src0_sel:BYTE_1 src1_sel:DWORD
	s_mov_b32 s16, -1
	s_and_saveexec_b32 s23, s72
; %bb.7600:                             ;   in Loop: Header=BB6_7578 Depth=3
	s_xor_b32 s16, exec_lo, -1
; %bb.7601:                             ;   in Loop: Header=BB6_7578 Depth=3
	s_or_b32 exec_lo, exec_lo, s23
	s_and_b32 s16, s16, exec_lo
	s_or_saveexec_b32 s17, s17
	v_mov_b32_e32 v26, 0x7f800001
	s_xor_b32 exec_lo, exec_lo, s17
	s_cbranch_execnz .LBB6_7901
.LBB6_7602:                             ;   in Loop: Header=BB6_7578 Depth=3
	s_or_b32 exec_lo, exec_lo, s17
	s_and_saveexec_b32 s17, s16
	s_cbranch_execz .LBB6_7604
.LBB6_7603:                             ;   in Loop: Header=BB6_7578 Depth=3
	v_and_b32_sdwa v26, v61, v12 dst_sel:DWORD dst_unused:UNUSED_PAD src0_sel:DWORD src1_sel:BYTE_1
	v_and_b32_e32 v27, 3, v26
	v_bfe_u32 v30, v26, 2, 5
	v_ffbh_u32_e32 v28, v27
	v_cmp_eq_u32_e64 s16, 0, v30
	v_min_u32_e32 v28, 32, v28
	v_subrev_nc_u32_e32 v29, 29, v28
	v_sub_nc_u32_e32 v28, 30, v28
	v_lshlrev_b32_e32 v26, v29, v26
	v_lshlrev_b32_sdwa v29, v62, v12 dst_sel:DWORD dst_unused:UNUSED_PAD src0_sel:DWORD src1_sel:BYTE_1
	v_cndmask_b32_e64 v28, v30, v28, s16
	v_and_b32_e32 v26, 3, v26
	v_lshl_add_u32 v28, v28, 23, 0x37800000
	v_cndmask_b32_e64 v26, v27, v26, s16
	v_and_b32_e32 v27, 0x80000000, v29
	v_lshlrev_b32_e32 v26, 21, v26
	v_or3_b32 v26, v27, v28, v26
.LBB6_7604:                             ;   in Loop: Header=BB6_7578 Depth=3
	s_or_b32 exec_lo, exec_lo, s17
	v_cmp_gt_i16_sdwa s17, v8, v59 src0_sel:BYTE_1 src1_sel:DWORD
	s_mov_b32 s16, 0
	s_and_saveexec_b32 s23, s17
	s_xor_b32 s17, exec_lo, s23
	s_cbranch_execz .LBB6_7902
; %bb.7605:                             ;   in Loop: Header=BB6_7578 Depth=3
	v_cmp_eq_u16_sdwa s72, v8, v60 src0_sel:BYTE_1 src1_sel:DWORD
	s_mov_b32 s16, -1
	s_and_saveexec_b32 s23, s72
; %bb.7606:                             ;   in Loop: Header=BB6_7578 Depth=3
	s_xor_b32 s16, exec_lo, -1
; %bb.7607:                             ;   in Loop: Header=BB6_7578 Depth=3
	s_or_b32 exec_lo, exec_lo, s23
	s_and_b32 s16, s16, exec_lo
	s_or_saveexec_b32 s17, s17
	v_mov_b32_e32 v27, 0x7f800001
	s_xor_b32 exec_lo, exec_lo, s17
	s_cbranch_execnz .LBB6_7903
.LBB6_7608:                             ;   in Loop: Header=BB6_7578 Depth=3
	s_or_b32 exec_lo, exec_lo, s17
	s_and_saveexec_b32 s17, s16
	s_cbranch_execz .LBB6_7610
.LBB6_7609:                             ;   in Loop: Header=BB6_7578 Depth=3
	v_and_b32_sdwa v27, v61, v8 dst_sel:DWORD dst_unused:UNUSED_PAD src0_sel:DWORD src1_sel:BYTE_1
	v_and_b32_e32 v28, 3, v27
	v_bfe_u32 v31, v27, 2, 5
	v_ffbh_u32_e32 v29, v28
	v_cmp_eq_u32_e64 s16, 0, v31
	v_min_u32_e32 v29, 32, v29
	v_subrev_nc_u32_e32 v30, 29, v29
	v_sub_nc_u32_e32 v29, 30, v29
	v_lshlrev_b32_e32 v27, v30, v27
	v_lshlrev_b32_sdwa v30, v62, v8 dst_sel:DWORD dst_unused:UNUSED_PAD src0_sel:DWORD src1_sel:BYTE_1
	v_cndmask_b32_e64 v29, v31, v29, s16
	v_and_b32_e32 v27, 3, v27
	v_lshl_add_u32 v29, v29, 23, 0x37800000
	v_cndmask_b32_e64 v27, v28, v27, s16
	v_and_b32_e32 v28, 0x80000000, v30
	v_lshlrev_b32_e32 v27, 21, v27
	v_or3_b32 v27, v28, v29, v27
.LBB6_7610:                             ;   in Loop: Header=BB6_7578 Depth=3
	s_or_b32 exec_lo, exec_lo, s17
	v_mul_f32_e32 v27, v26, v27
	v_and_b32_e32 v26, 0x7f800000, v27
	v_cmp_ne_u32_e64 s16, 0x7f800000, v26
	v_mov_b32_e32 v26, 0x8000
	s_and_saveexec_b32 s23, s16
	s_cbranch_execz .LBB6_7618
; %bb.7611:                             ;   in Loop: Header=BB6_7578 Depth=3
	v_mov_b32_e32 v26, 0
	s_mov_b32 s72, exec_lo
	v_cmpx_ne_u32_e32 0, v27
	s_cbranch_execz .LBB6_7617
; %bb.7612:                             ;   in Loop: Header=BB6_7578 Depth=3
	v_bfe_u32 v26, v27, 23, 8
	v_and_b32_e32 v28, 0x7fffff, v27
	v_sub_nc_u32_e32 v29, 0x70, v26
	v_cmp_gt_u32_e64 s16, 0x71, v26
	v_or_b32_e32 v30, 0x800000, v28
	v_cndmask_b32_e64 v29, 0, v29, s16
	v_cmp_eq_u32_e64 s16, 0, v26
	v_add_nc_u32_e32 v26, 0xffffff91, v26
	v_cndmask_b32_e64 v29, v29, 0x6f, s16
	v_cndmask_b32_e64 v28, v30, v28, s16
	;; [unrolled: 1-line block ×3, first 2 shown]
	v_lshl_add_u32 v30, 0x200000, v29, -1
	v_lshrrev_b32_e32 v31, v29, v28
	v_lshlrev_b32_e64 v33, v29, 0x100000
	v_add_nc_u32_e32 v29, v29, v26
	v_and_b32_e32 v28, v30, v28
	v_bfe_u32 v32, v31, 21, 1
	v_cmp_eq_u32_e64 s17, v28, v33
	v_add_nc_u32_e32 v30, -1, v32
	v_cndmask_b32_e64 v28, 0, v30, s17
	v_lshrrev_b32_e32 v30, 23, v31
	s_mov_b32 s17, exec_lo
	v_add_nc_u32_e32 v28, v28, v31
	v_xor_b32_e32 v30, 1, v30
	v_and_b32_e32 v26, 0x1fffff, v28
	v_add_nc_u32_e32 v28, v26, v31
                                        ; implicit-def: $vgpr26
	v_cmpx_ne_u32_e64 v29, v30
	s_xor_b32 s17, exec_lo, s17
; %bb.7613:                             ;   in Loop: Header=BB6_7578 Depth=3
	v_cmp_lt_u32_e64 s16, 0xffffff, v28
	v_sub_nc_u32_e32 v26, v29, v30
	v_cndmask_b32_e64 v29, 0, 1, s16
	v_add_co_ci_u32_e64 v26, null, 0, v26, s16
	v_lshrrev_b32_e32 v28, v29, v28
; %bb.7614:                             ;   in Loop: Header=BB6_7578 Depth=3
	s_andn2_saveexec_b32 s16, s17
; %bb.7615:                             ;   in Loop: Header=BB6_7578 Depth=3
	v_bfe_u32 v26, v28, 23, 1
; %bb.7616:                             ;   in Loop: Header=BB6_7578 Depth=3
	s_or_b32 exec_lo, exec_lo, s16
	v_lshrrev_b32_e32 v28, 21, v28
	v_min_i32_e32 v29, 31, v26
	v_cmp_gt_i32_e64 s16, 32, v26
	v_and_b32_sdwa v27, v27, v60 dst_sel:DWORD dst_unused:UNUSED_PAD src0_sel:BYTE_3 src1_sel:DWORD
	v_lshlrev_b32_e32 v29, 2, v29
	v_cndmask_b32_e64 v28, 3, v28, s16
	v_and_b32_e32 v29, 0xfc, v29
	v_and_b32_e32 v30, 3, v28
	v_or_b32_e32 v26, v26, v28
	v_or3_b32 v27, v27, v29, v30
	v_cmp_ne_u32_e64 s16, 0, v26
	v_lshlrev_b32_e32 v27, 8, v27
	v_cndmask_b32_e64 v26, 0, v27, s16
.LBB6_7617:                             ;   in Loop: Header=BB6_7578 Depth=3
	s_or_b32 exec_lo, exec_lo, s72
.LBB6_7618:                             ;   in Loop: Header=BB6_7578 Depth=3
	s_or_b32 exec_lo, exec_lo, s23
	v_and_b32_sdwa v28, v12, v63 dst_sel:DWORD dst_unused:UNUSED_PAD src0_sel:WORD_1 src1_sel:DWORD
	s_mov_b32 s17, 0
	s_mov_b32 s23, exec_lo
	v_cmpx_lt_i16_e32 0x7f, v28
	s_xor_b32 s23, exec_lo, s23
	s_cbranch_execz .LBB6_7904
; %bb.7619:                             ;   in Loop: Header=BB6_7578 Depth=3
	s_mov_b32 s17, -1
	s_mov_b32 s72, exec_lo
	v_cmpx_eq_u16_e32 0x80, v28
; %bb.7620:                             ;   in Loop: Header=BB6_7578 Depth=3
	s_xor_b32 s17, exec_lo, -1
; %bb.7621:                             ;   in Loop: Header=BB6_7578 Depth=3
	s_or_b32 exec_lo, exec_lo, s72
	s_and_b32 s17, s17, exec_lo
                                        ; implicit-def: $vgpr28
	s_or_saveexec_b32 s23, s23
	v_mov_b32_e32 v27, 0x7f800001
	s_xor_b32 exec_lo, exec_lo, s23
	s_cbranch_execnz .LBB6_7905
.LBB6_7622:                             ;   in Loop: Header=BB6_7578 Depth=3
	s_or_b32 exec_lo, exec_lo, s23
	s_and_saveexec_b32 s23, s17
	s_cbranch_execz .LBB6_7624
.LBB6_7623:                             ;   in Loop: Header=BB6_7578 Depth=3
	v_bfe_u32 v27, v12, 16, 2
	v_bfe_u32 v30, v12, 18, 5
	v_lshlrev_b32_e32 v31, 8, v12
	v_ffbh_u32_e32 v28, v27
	v_cmp_eq_u32_e64 s16, 0, v30
	v_min_u32_e32 v28, 32, v28
	v_subrev_nc_u32_e32 v29, 29, v28
	v_sub_nc_u32_e32 v28, 30, v28
	v_lshlrev_b32_sdwa v29, v29, v12 dst_sel:DWORD dst_unused:UNUSED_PAD src0_sel:DWORD src1_sel:WORD_1
	v_cndmask_b32_e64 v28, v30, v28, s16
	v_and_b32_e32 v29, 3, v29
	v_lshl_add_u32 v28, v28, 23, 0x37800000
	v_cndmask_b32_e64 v27, v27, v29, s16
	v_and_b32_e32 v29, 0x80000000, v31
	v_lshlrev_b32_e32 v27, 21, v27
	v_or3_b32 v27, v29, v28, v27
.LBB6_7624:                             ;   in Loop: Header=BB6_7578 Depth=3
	s_or_b32 exec_lo, exec_lo, s23
	v_and_b32_sdwa v29, v8, v63 dst_sel:DWORD dst_unused:UNUSED_PAD src0_sel:WORD_1 src1_sel:DWORD
	s_mov_b32 s17, 0
	s_mov_b32 s23, exec_lo
	v_cmpx_lt_i16_e32 0x7f, v29
	s_xor_b32 s23, exec_lo, s23
	s_cbranch_execz .LBB6_7906
; %bb.7625:                             ;   in Loop: Header=BB6_7578 Depth=3
	s_mov_b32 s17, -1
	s_mov_b32 s72, exec_lo
	v_cmpx_eq_u16_e32 0x80, v29
; %bb.7626:                             ;   in Loop: Header=BB6_7578 Depth=3
	s_xor_b32 s17, exec_lo, -1
; %bb.7627:                             ;   in Loop: Header=BB6_7578 Depth=3
	s_or_b32 exec_lo, exec_lo, s72
	s_and_b32 s17, s17, exec_lo
                                        ; implicit-def: $vgpr29
	s_or_saveexec_b32 s23, s23
	v_mov_b32_e32 v28, 0x7f800001
	s_xor_b32 exec_lo, exec_lo, s23
	s_cbranch_execnz .LBB6_7907
.LBB6_7628:                             ;   in Loop: Header=BB6_7578 Depth=3
	s_or_b32 exec_lo, exec_lo, s23
	s_and_saveexec_b32 s23, s17
	s_cbranch_execz .LBB6_7630
.LBB6_7629:                             ;   in Loop: Header=BB6_7578 Depth=3
	v_and_b32_sdwa v28, v8, v72 dst_sel:DWORD dst_unused:UNUSED_PAD src0_sel:WORD_1 src1_sel:DWORD
	v_bfe_u32 v31, v8, 18, 5
	v_lshlrev_b32_sdwa v32, v62, v8 dst_sel:DWORD dst_unused:UNUSED_PAD src0_sel:DWORD src1_sel:WORD_1
	v_ffbh_u32_e32 v29, v28
	v_cmp_eq_u32_e64 s16, 0, v31
	v_min_u32_e32 v29, 32, v29
	v_subrev_nc_u32_e32 v30, 29, v29
	v_sub_nc_u32_e32 v29, 30, v29
	v_lshlrev_b32_sdwa v30, v30, v8 dst_sel:DWORD dst_unused:UNUSED_PAD src0_sel:DWORD src1_sel:WORD_1
	v_cndmask_b32_e64 v29, v31, v29, s16
	v_and_b32_e32 v30, 3, v30
	v_lshl_add_u32 v29, v29, 23, 0x37800000
	v_cndmask_b32_e64 v28, v28, v30, s16
	v_and_b32_e32 v30, 0x80000000, v32
	v_lshlrev_b32_e32 v28, 21, v28
	v_or3_b32 v28, v30, v29, v28
.LBB6_7630:                             ;   in Loop: Header=BB6_7578 Depth=3
	s_or_b32 exec_lo, exec_lo, s23
	v_mul_f32_e32 v28, v27, v28
	v_and_b32_e32 v27, 0x7f800000, v28
	v_cmp_ne_u32_e64 s16, 0x7f800000, v27
	v_mov_b32_e32 v27, 0x80
	s_and_saveexec_b32 s23, s16
	s_cbranch_execz .LBB6_7638
; %bb.7631:                             ;   in Loop: Header=BB6_7578 Depth=3
	v_mov_b32_e32 v27, 0
	s_mov_b32 s72, exec_lo
	v_cmpx_ne_u32_e32 0, v28
	s_cbranch_execz .LBB6_7637
; %bb.7632:                             ;   in Loop: Header=BB6_7578 Depth=3
	v_bfe_u32 v27, v28, 23, 8
	v_and_b32_e32 v29, 0x7fffff, v28
	v_sub_nc_u32_e32 v30, 0x70, v27
	v_cmp_gt_u32_e64 s16, 0x71, v27
	v_or_b32_e32 v31, 0x800000, v29
	v_cndmask_b32_e64 v30, 0, v30, s16
	v_cmp_eq_u32_e64 s16, 0, v27
	v_add_nc_u32_e32 v27, 0xffffff91, v27
	v_cndmask_b32_e64 v30, v30, 0x6f, s16
	v_cndmask_b32_e64 v29, v31, v29, s16
	;; [unrolled: 1-line block ×3, first 2 shown]
	v_lshl_add_u32 v31, 0x200000, v30, -1
	v_lshrrev_b32_e32 v32, v30, v29
	v_lshlrev_b32_e64 v34, v30, 0x100000
	v_add_nc_u32_e32 v30, v30, v27
	v_and_b32_e32 v29, v31, v29
	v_bfe_u32 v33, v32, 21, 1
	v_cmp_eq_u32_e64 s17, v29, v34
	v_add_nc_u32_e32 v31, -1, v33
	v_cndmask_b32_e64 v29, 0, v31, s17
	v_lshrrev_b32_e32 v31, 23, v32
	s_mov_b32 s17, exec_lo
	v_add_nc_u32_e32 v29, v29, v32
	v_xor_b32_e32 v31, 1, v31
	v_and_b32_e32 v27, 0x1fffff, v29
	v_add_nc_u32_e32 v29, v27, v32
                                        ; implicit-def: $vgpr27
	v_cmpx_ne_u32_e64 v30, v31
	s_xor_b32 s17, exec_lo, s17
; %bb.7633:                             ;   in Loop: Header=BB6_7578 Depth=3
	v_cmp_lt_u32_e64 s16, 0xffffff, v29
	v_sub_nc_u32_e32 v27, v30, v31
	v_cndmask_b32_e64 v30, 0, 1, s16
	v_add_co_ci_u32_e64 v27, null, 0, v27, s16
	v_lshrrev_b32_e32 v29, v30, v29
; %bb.7634:                             ;   in Loop: Header=BB6_7578 Depth=3
	s_andn2_saveexec_b32 s16, s17
; %bb.7635:                             ;   in Loop: Header=BB6_7578 Depth=3
	v_bfe_u32 v27, v29, 23, 1
; %bb.7636:                             ;   in Loop: Header=BB6_7578 Depth=3
	s_or_b32 exec_lo, exec_lo, s16
	v_lshrrev_b32_e32 v29, 21, v29
	v_min_i32_e32 v30, 31, v27
	v_cmp_gt_i32_e64 s16, 32, v27
	v_and_b32_sdwa v28, v28, v60 dst_sel:DWORD dst_unused:UNUSED_PAD src0_sel:BYTE_3 src1_sel:DWORD
	v_lshlrev_b32_e32 v30, 2, v30
	v_cndmask_b32_e64 v29, 3, v29, s16
	v_and_b32_e32 v30, 0xfc, v30
	v_and_b32_e32 v31, 3, v29
	v_or_b32_e32 v27, v27, v29
	v_or3_b32 v28, v30, v28, v31
	v_cmp_ne_u32_e64 s16, 0, v27
	v_cndmask_b32_e64 v27, 0, v28, s16
.LBB6_7637:                             ;   in Loop: Header=BB6_7578 Depth=3
	s_or_b32 exec_lo, exec_lo, s72
.LBB6_7638:                             ;   in Loop: Header=BB6_7578 Depth=3
	s_or_b32 exec_lo, exec_lo, s23
	v_cmp_gt_i16_sdwa s17, v12, v59 src0_sel:BYTE_3 src1_sel:DWORD
	s_mov_b32 s16, 0
	s_and_saveexec_b32 s23, s17
	s_xor_b32 s17, exec_lo, s23
	s_cbranch_execz .LBB6_7908
; %bb.7639:                             ;   in Loop: Header=BB6_7578 Depth=3
	v_cmp_eq_u16_sdwa s72, v12, v60 src0_sel:BYTE_3 src1_sel:DWORD
	s_mov_b32 s16, -1
	s_and_saveexec_b32 s23, s72
; %bb.7640:                             ;   in Loop: Header=BB6_7578 Depth=3
	s_xor_b32 s16, exec_lo, -1
; %bb.7641:                             ;   in Loop: Header=BB6_7578 Depth=3
	s_or_b32 exec_lo, exec_lo, s23
	s_and_b32 s16, s16, exec_lo
	s_or_saveexec_b32 s17, s17
	v_mov_b32_e32 v28, 0x7f800001
	s_xor_b32 exec_lo, exec_lo, s17
	s_cbranch_execnz .LBB6_7909
.LBB6_7642:                             ;   in Loop: Header=BB6_7578 Depth=3
	s_or_b32 exec_lo, exec_lo, s17
	s_and_saveexec_b32 s17, s16
	s_cbranch_execz .LBB6_7644
.LBB6_7643:                             ;   in Loop: Header=BB6_7578 Depth=3
	v_bfe_u32 v28, v12, 24, 2
	v_bfe_u32 v31, v12, 26, 5
	v_ffbh_u32_e32 v29, v28
	v_cmp_eq_u32_e64 s16, 0, v31
	v_min_u32_e32 v29, 32, v29
	v_subrev_nc_u32_e32 v30, 29, v29
	v_sub_nc_u32_e32 v29, 30, v29
	v_lshlrev_b32_sdwa v30, v30, v12 dst_sel:DWORD dst_unused:UNUSED_PAD src0_sel:DWORD src1_sel:BYTE_3
	v_cndmask_b32_e64 v29, v31, v29, s16
	v_and_b32_e32 v12, 0x80000000, v12
	v_and_b32_e32 v30, 3, v30
	v_lshl_add_u32 v29, v29, 23, 0x37800000
	v_cndmask_b32_e64 v28, v28, v30, s16
	v_lshlrev_b32_e32 v28, 21, v28
	v_or3_b32 v28, v12, v29, v28
.LBB6_7644:                             ;   in Loop: Header=BB6_7578 Depth=3
	s_or_b32 exec_lo, exec_lo, s17
	v_cmp_gt_i16_sdwa s17, v8, v59 src0_sel:BYTE_3 src1_sel:DWORD
	s_mov_b32 s16, 0
	s_and_saveexec_b32 s23, s17
	s_xor_b32 s17, exec_lo, s23
	s_cbranch_execz .LBB6_7910
; %bb.7645:                             ;   in Loop: Header=BB6_7578 Depth=3
	v_cmp_eq_u16_sdwa s72, v8, v60 src0_sel:BYTE_3 src1_sel:DWORD
	s_mov_b32 s16, -1
	s_and_saveexec_b32 s23, s72
; %bb.7646:                             ;   in Loop: Header=BB6_7578 Depth=3
	s_xor_b32 s16, exec_lo, -1
; %bb.7647:                             ;   in Loop: Header=BB6_7578 Depth=3
	s_or_b32 exec_lo, exec_lo, s23
	s_and_b32 s16, s16, exec_lo
	s_or_saveexec_b32 s17, s17
	v_mov_b32_e32 v12, 0x7f800001
	s_xor_b32 exec_lo, exec_lo, s17
	s_cbranch_execnz .LBB6_7911
.LBB6_7648:                             ;   in Loop: Header=BB6_7578 Depth=3
	s_or_b32 exec_lo, exec_lo, s17
	s_and_saveexec_b32 s17, s16
	s_cbranch_execz .LBB6_7650
.LBB6_7649:                             ;   in Loop: Header=BB6_7578 Depth=3
	v_and_b32_sdwa v12, v8, v72 dst_sel:DWORD dst_unused:UNUSED_PAD src0_sel:BYTE_3 src1_sel:DWORD
	v_bfe_u32 v31, v8, 26, 5
	v_ffbh_u32_e32 v29, v12
	v_cmp_eq_u32_e64 s16, 0, v31
	v_min_u32_e32 v29, 32, v29
	v_subrev_nc_u32_e32 v30, 29, v29
	v_sub_nc_u32_e32 v29, 30, v29
	v_lshlrev_b32_sdwa v30, v30, v8 dst_sel:DWORD dst_unused:UNUSED_PAD src0_sel:DWORD src1_sel:BYTE_3
	v_cndmask_b32_e64 v29, v31, v29, s16
	v_and_b32_e32 v8, 0x80000000, v8
	v_and_b32_e32 v30, 3, v30
	v_lshl_add_u32 v29, v29, 23, 0x37800000
	v_cndmask_b32_e64 v12, v12, v30, s16
	v_lshlrev_b32_e32 v12, 21, v12
	v_or3_b32 v12, v8, v29, v12
.LBB6_7650:                             ;   in Loop: Header=BB6_7578 Depth=3
	s_or_b32 exec_lo, exec_lo, s17
	v_mul_f32_e32 v12, v28, v12
	v_and_b32_e32 v8, 0x7f800000, v12
	v_cmp_ne_u32_e64 s16, 0x7f800000, v8
	v_mov_b32_e32 v8, 0x8000
	s_and_saveexec_b32 s23, s16
	s_cbranch_execz .LBB6_7658
; %bb.7651:                             ;   in Loop: Header=BB6_7578 Depth=3
	v_mov_b32_e32 v8, 0
	s_mov_b32 s72, exec_lo
	v_cmpx_ne_u32_e32 0, v12
	s_cbranch_execz .LBB6_7657
; %bb.7652:                             ;   in Loop: Header=BB6_7578 Depth=3
	v_bfe_u32 v8, v12, 23, 8
	v_and_b32_e32 v28, 0x7fffff, v12
	v_sub_nc_u32_e32 v29, 0x70, v8
	v_cmp_gt_u32_e64 s16, 0x71, v8
	v_or_b32_e32 v30, 0x800000, v28
	v_cndmask_b32_e64 v29, 0, v29, s16
	v_cmp_eq_u32_e64 s16, 0, v8
	v_add_nc_u32_e32 v8, 0xffffff91, v8
	v_cndmask_b32_e64 v29, v29, 0x6f, s16
	v_cndmask_b32_e64 v28, v30, v28, s16
	v_cndmask_b32_e64 v8, v8, 0xffffff92, s16
	v_lshl_add_u32 v30, 0x200000, v29, -1
	v_lshrrev_b32_e32 v31, v29, v28
	v_lshlrev_b32_e64 v33, v29, 0x100000
	v_add_nc_u32_e32 v29, v29, v8
	v_and_b32_e32 v28, v30, v28
	v_bfe_u32 v32, v31, 21, 1
	v_cmp_eq_u32_e64 s17, v28, v33
	v_add_nc_u32_e32 v30, -1, v32
	v_cndmask_b32_e64 v28, 0, v30, s17
	v_lshrrev_b32_e32 v30, 23, v31
	s_mov_b32 s17, exec_lo
	v_add_nc_u32_e32 v28, v28, v31
	v_xor_b32_e32 v30, 1, v30
	v_and_b32_e32 v8, 0x1fffff, v28
	v_add_nc_u32_e32 v28, v8, v31
                                        ; implicit-def: $vgpr8
	v_cmpx_ne_u32_e64 v29, v30
	s_xor_b32 s17, exec_lo, s17
; %bb.7653:                             ;   in Loop: Header=BB6_7578 Depth=3
	v_cmp_lt_u32_e64 s16, 0xffffff, v28
	v_sub_nc_u32_e32 v8, v29, v30
	v_cndmask_b32_e64 v29, 0, 1, s16
	v_add_co_ci_u32_e64 v8, null, 0, v8, s16
	v_lshrrev_b32_e32 v28, v29, v28
; %bb.7654:                             ;   in Loop: Header=BB6_7578 Depth=3
	s_andn2_saveexec_b32 s16, s17
; %bb.7655:                             ;   in Loop: Header=BB6_7578 Depth=3
	v_bfe_u32 v8, v28, 23, 1
; %bb.7656:                             ;   in Loop: Header=BB6_7578 Depth=3
	s_or_b32 exec_lo, exec_lo, s16
	v_lshrrev_b32_e32 v28, 21, v28
	v_min_i32_e32 v29, 31, v8
	v_cmp_gt_i32_e64 s16, 32, v8
	v_and_b32_sdwa v12, v12, v60 dst_sel:DWORD dst_unused:UNUSED_PAD src0_sel:BYTE_3 src1_sel:DWORD
	v_lshlrev_b32_e32 v29, 2, v29
	v_cndmask_b32_e64 v28, 3, v28, s16
	v_and_b32_e32 v29, 0xfc, v29
	v_and_b32_e32 v30, 3, v28
	v_or_b32_e32 v8, v8, v28
	v_or3_b32 v12, v12, v29, v30
	v_cmp_ne_u32_e64 s16, 0, v8
	v_lshlrev_b32_e32 v12, 8, v12
	v_cndmask_b32_e64 v8, 0, v12, s16
.LBB6_7657:                             ;   in Loop: Header=BB6_7578 Depth=3
	s_or_b32 exec_lo, exec_lo, s72
.LBB6_7658:                             ;   in Loop: Header=BB6_7578 Depth=3
	s_or_b32 exec_lo, exec_lo, s23
	v_cmp_gt_i16_sdwa s17, v13, v59 src0_sel:BYTE_0 src1_sel:DWORD
	s_mov_b32 s16, 0
	s_and_saveexec_b32 s23, s17
	s_xor_b32 s17, exec_lo, s23
	s_cbranch_execz .LBB6_7912
; %bb.7659:                             ;   in Loop: Header=BB6_7578 Depth=3
	v_cmp_eq_u16_sdwa s72, v13, v60 src0_sel:BYTE_0 src1_sel:DWORD
	s_mov_b32 s16, -1
	s_and_saveexec_b32 s23, s72
; %bb.7660:                             ;   in Loop: Header=BB6_7578 Depth=3
	s_xor_b32 s16, exec_lo, -1
; %bb.7661:                             ;   in Loop: Header=BB6_7578 Depth=3
	s_or_b32 exec_lo, exec_lo, s23
	s_and_b32 s16, s16, exec_lo
	s_or_saveexec_b32 s17, s17
	v_mov_b32_e32 v12, 0x7f800001
	s_xor_b32 exec_lo, exec_lo, s17
	s_cbranch_execnz .LBB6_7913
.LBB6_7662:                             ;   in Loop: Header=BB6_7578 Depth=3
	s_or_b32 exec_lo, exec_lo, s17
	s_and_saveexec_b32 s17, s16
	s_cbranch_execz .LBB6_7664
.LBB6_7663:                             ;   in Loop: Header=BB6_7578 Depth=3
	v_and_b32_e32 v12, 3, v13
	v_bfe_u32 v30, v13, 2, 5
	v_lshlrev_b32_e32 v31, 24, v13
	v_ffbh_u32_e32 v28, v12
	v_cmp_eq_u32_e64 s16, 0, v30
	v_min_u32_e32 v28, 32, v28
	v_subrev_nc_u32_e32 v29, 29, v28
	v_sub_nc_u32_e32 v28, 30, v28
	v_lshlrev_b32_e32 v29, v29, v13
	v_cndmask_b32_e64 v28, v30, v28, s16
	v_and_b32_e32 v29, 3, v29
	v_lshl_add_u32 v28, v28, 23, 0x37800000
	v_cndmask_b32_e64 v12, v12, v29, s16
	v_and_b32_e32 v29, 0x80000000, v31
	v_lshlrev_b32_e32 v12, 21, v12
	v_or3_b32 v12, v29, v28, v12
.LBB6_7664:                             ;   in Loop: Header=BB6_7578 Depth=3
	s_or_b32 exec_lo, exec_lo, s17
	v_cmp_gt_i16_sdwa s17, v9, v59 src0_sel:BYTE_0 src1_sel:DWORD
	s_mov_b32 s16, 0
	s_and_saveexec_b32 s23, s17
	s_xor_b32 s17, exec_lo, s23
	s_cbranch_execz .LBB6_7914
; %bb.7665:                             ;   in Loop: Header=BB6_7578 Depth=3
	v_cmp_eq_u16_sdwa s72, v9, v60 src0_sel:BYTE_0 src1_sel:DWORD
	s_mov_b32 s16, -1
	s_and_saveexec_b32 s23, s72
; %bb.7666:                             ;   in Loop: Header=BB6_7578 Depth=3
	s_xor_b32 s16, exec_lo, -1
; %bb.7667:                             ;   in Loop: Header=BB6_7578 Depth=3
	s_or_b32 exec_lo, exec_lo, s23
	s_and_b32 s16, s16, exec_lo
	s_or_saveexec_b32 s17, s17
	v_mov_b32_e32 v28, 0x7f800001
	s_xor_b32 exec_lo, exec_lo, s17
	s_cbranch_execnz .LBB6_7915
.LBB6_7668:                             ;   in Loop: Header=BB6_7578 Depth=3
	s_or_b32 exec_lo, exec_lo, s17
	s_and_saveexec_b32 s17, s16
	s_cbranch_execz .LBB6_7670
.LBB6_7669:                             ;   in Loop: Header=BB6_7578 Depth=3
	v_and_b32_e32 v28, 3, v9
	v_bfe_u32 v31, v9, 2, 5
	v_lshlrev_b32_e32 v32, 24, v9
	v_ffbh_u32_e32 v29, v28
	v_cmp_eq_u32_e64 s16, 0, v31
	v_min_u32_e32 v29, 32, v29
	v_subrev_nc_u32_e32 v30, 29, v29
	v_sub_nc_u32_e32 v29, 30, v29
	v_lshlrev_b32_e32 v30, v30, v9
	v_cndmask_b32_e64 v29, v31, v29, s16
	v_and_b32_e32 v30, 3, v30
	v_lshl_add_u32 v29, v29, 23, 0x37800000
	v_cndmask_b32_e64 v28, v28, v30, s16
	v_and_b32_e32 v30, 0x80000000, v32
	v_lshlrev_b32_e32 v28, 21, v28
	v_or3_b32 v28, v30, v29, v28
.LBB6_7670:                             ;   in Loop: Header=BB6_7578 Depth=3
	s_or_b32 exec_lo, exec_lo, s17
	v_mul_f32_e32 v28, v12, v28
	v_and_b32_e32 v12, 0x7f800000, v28
	v_cmp_ne_u32_e64 s16, 0x7f800000, v12
	v_mov_b32_e32 v12, 0x80
	s_and_saveexec_b32 s23, s16
	s_cbranch_execz .LBB6_7678
; %bb.7671:                             ;   in Loop: Header=BB6_7578 Depth=3
	v_mov_b32_e32 v12, 0
	s_mov_b32 s72, exec_lo
	v_cmpx_ne_u32_e32 0, v28
	s_cbranch_execz .LBB6_7677
; %bb.7672:                             ;   in Loop: Header=BB6_7578 Depth=3
	v_bfe_u32 v12, v28, 23, 8
	v_and_b32_e32 v29, 0x7fffff, v28
	v_sub_nc_u32_e32 v30, 0x70, v12
	v_cmp_gt_u32_e64 s16, 0x71, v12
	v_or_b32_e32 v31, 0x800000, v29
	v_cndmask_b32_e64 v30, 0, v30, s16
	v_cmp_eq_u32_e64 s16, 0, v12
	v_add_nc_u32_e32 v12, 0xffffff91, v12
	v_cndmask_b32_e64 v30, v30, 0x6f, s16
	v_cndmask_b32_e64 v29, v31, v29, s16
	v_cndmask_b32_e64 v12, v12, 0xffffff92, s16
	v_lshl_add_u32 v31, 0x200000, v30, -1
	v_lshrrev_b32_e32 v32, v30, v29
	v_lshlrev_b32_e64 v34, v30, 0x100000
	v_add_nc_u32_e32 v30, v30, v12
	v_and_b32_e32 v29, v31, v29
	v_bfe_u32 v33, v32, 21, 1
	v_cmp_eq_u32_e64 s17, v29, v34
	v_add_nc_u32_e32 v31, -1, v33
	v_cndmask_b32_e64 v29, 0, v31, s17
	v_lshrrev_b32_e32 v31, 23, v32
	s_mov_b32 s17, exec_lo
	v_add_nc_u32_e32 v29, v29, v32
	v_xor_b32_e32 v31, 1, v31
	v_and_b32_e32 v12, 0x1fffff, v29
	v_add_nc_u32_e32 v29, v12, v32
                                        ; implicit-def: $vgpr12
	v_cmpx_ne_u32_e64 v30, v31
	s_xor_b32 s17, exec_lo, s17
; %bb.7673:                             ;   in Loop: Header=BB6_7578 Depth=3
	v_cmp_lt_u32_e64 s16, 0xffffff, v29
	v_sub_nc_u32_e32 v12, v30, v31
	v_cndmask_b32_e64 v30, 0, 1, s16
	v_add_co_ci_u32_e64 v12, null, 0, v12, s16
	v_lshrrev_b32_e32 v29, v30, v29
; %bb.7674:                             ;   in Loop: Header=BB6_7578 Depth=3
	s_andn2_saveexec_b32 s16, s17
; %bb.7675:                             ;   in Loop: Header=BB6_7578 Depth=3
	v_bfe_u32 v12, v29, 23, 1
; %bb.7676:                             ;   in Loop: Header=BB6_7578 Depth=3
	s_or_b32 exec_lo, exec_lo, s16
	v_lshrrev_b32_e32 v29, 21, v29
	v_min_i32_e32 v30, 31, v12
	v_cmp_gt_i32_e64 s16, 32, v12
	v_and_b32_sdwa v28, v28, v60 dst_sel:DWORD dst_unused:UNUSED_PAD src0_sel:BYTE_3 src1_sel:DWORD
	v_lshlrev_b32_e32 v30, 2, v30
	v_cndmask_b32_e64 v29, 3, v29, s16
	v_and_b32_e32 v30, 0xfc, v30
	v_and_b32_e32 v31, 3, v29
	v_or_b32_e32 v12, v12, v29
	v_or3_b32 v28, v30, v28, v31
	v_cmp_ne_u32_e64 s16, 0, v12
	v_cndmask_b32_e64 v12, 0, v28, s16
.LBB6_7677:                             ;   in Loop: Header=BB6_7578 Depth=3
	s_or_b32 exec_lo, exec_lo, s72
.LBB6_7678:                             ;   in Loop: Header=BB6_7578 Depth=3
	s_or_b32 exec_lo, exec_lo, s23
	v_cmp_gt_i16_sdwa s17, v13, v59 src0_sel:BYTE_1 src1_sel:DWORD
	s_mov_b32 s16, 0
	s_and_saveexec_b32 s23, s17
	s_xor_b32 s17, exec_lo, s23
	s_cbranch_execz .LBB6_7916
; %bb.7679:                             ;   in Loop: Header=BB6_7578 Depth=3
	v_cmp_eq_u16_sdwa s72, v13, v60 src0_sel:BYTE_1 src1_sel:DWORD
	s_mov_b32 s16, -1
	s_and_saveexec_b32 s23, s72
; %bb.7680:                             ;   in Loop: Header=BB6_7578 Depth=3
	s_xor_b32 s16, exec_lo, -1
; %bb.7681:                             ;   in Loop: Header=BB6_7578 Depth=3
	s_or_b32 exec_lo, exec_lo, s23
	s_and_b32 s16, s16, exec_lo
	s_or_saveexec_b32 s17, s17
	v_mov_b32_e32 v28, 0x7f800001
	s_xor_b32 exec_lo, exec_lo, s17
	s_cbranch_execnz .LBB6_7917
.LBB6_7682:                             ;   in Loop: Header=BB6_7578 Depth=3
	s_or_b32 exec_lo, exec_lo, s17
	s_and_saveexec_b32 s17, s16
	s_cbranch_execz .LBB6_7684
.LBB6_7683:                             ;   in Loop: Header=BB6_7578 Depth=3
	v_and_b32_sdwa v28, v61, v13 dst_sel:DWORD dst_unused:UNUSED_PAD src0_sel:DWORD src1_sel:BYTE_1
	v_and_b32_e32 v29, 3, v28
	v_bfe_u32 v32, v28, 2, 5
	v_ffbh_u32_e32 v30, v29
	v_cmp_eq_u32_e64 s16, 0, v32
	v_min_u32_e32 v30, 32, v30
	v_subrev_nc_u32_e32 v31, 29, v30
	v_sub_nc_u32_e32 v30, 30, v30
	v_lshlrev_b32_e32 v28, v31, v28
	v_lshlrev_b32_sdwa v31, v62, v13 dst_sel:DWORD dst_unused:UNUSED_PAD src0_sel:DWORD src1_sel:BYTE_1
	v_cndmask_b32_e64 v30, v32, v30, s16
	v_and_b32_e32 v28, 3, v28
	v_lshl_add_u32 v30, v30, 23, 0x37800000
	v_cndmask_b32_e64 v28, v29, v28, s16
	v_and_b32_e32 v29, 0x80000000, v31
	v_lshlrev_b32_e32 v28, 21, v28
	v_or3_b32 v28, v29, v30, v28
.LBB6_7684:                             ;   in Loop: Header=BB6_7578 Depth=3
	s_or_b32 exec_lo, exec_lo, s17
	v_cmp_gt_i16_sdwa s17, v9, v59 src0_sel:BYTE_1 src1_sel:DWORD
	s_mov_b32 s16, 0
	s_and_saveexec_b32 s23, s17
	s_xor_b32 s17, exec_lo, s23
	s_cbranch_execz .LBB6_7918
; %bb.7685:                             ;   in Loop: Header=BB6_7578 Depth=3
	v_cmp_eq_u16_sdwa s72, v9, v60 src0_sel:BYTE_1 src1_sel:DWORD
	s_mov_b32 s16, -1
	s_and_saveexec_b32 s23, s72
; %bb.7686:                             ;   in Loop: Header=BB6_7578 Depth=3
	s_xor_b32 s16, exec_lo, -1
; %bb.7687:                             ;   in Loop: Header=BB6_7578 Depth=3
	s_or_b32 exec_lo, exec_lo, s23
	s_and_b32 s16, s16, exec_lo
	s_or_saveexec_b32 s17, s17
	v_mov_b32_e32 v29, 0x7f800001
	s_xor_b32 exec_lo, exec_lo, s17
	s_cbranch_execnz .LBB6_7919
.LBB6_7688:                             ;   in Loop: Header=BB6_7578 Depth=3
	s_or_b32 exec_lo, exec_lo, s17
	s_and_saveexec_b32 s17, s16
	s_cbranch_execz .LBB6_7690
.LBB6_7689:                             ;   in Loop: Header=BB6_7578 Depth=3
	v_and_b32_sdwa v29, v61, v9 dst_sel:DWORD dst_unused:UNUSED_PAD src0_sel:DWORD src1_sel:BYTE_1
	v_and_b32_e32 v30, 3, v29
	v_bfe_u32 v33, v29, 2, 5
	v_ffbh_u32_e32 v31, v30
	v_cmp_eq_u32_e64 s16, 0, v33
	v_min_u32_e32 v31, 32, v31
	v_subrev_nc_u32_e32 v32, 29, v31
	v_sub_nc_u32_e32 v31, 30, v31
	v_lshlrev_b32_e32 v29, v32, v29
	v_lshlrev_b32_sdwa v32, v62, v9 dst_sel:DWORD dst_unused:UNUSED_PAD src0_sel:DWORD src1_sel:BYTE_1
	v_cndmask_b32_e64 v31, v33, v31, s16
	v_and_b32_e32 v29, 3, v29
	v_lshl_add_u32 v31, v31, 23, 0x37800000
	v_cndmask_b32_e64 v29, v30, v29, s16
	v_and_b32_e32 v30, 0x80000000, v32
	v_lshlrev_b32_e32 v29, 21, v29
	v_or3_b32 v29, v30, v31, v29
.LBB6_7690:                             ;   in Loop: Header=BB6_7578 Depth=3
	s_or_b32 exec_lo, exec_lo, s17
	v_mul_f32_e32 v29, v28, v29
	v_and_b32_e32 v28, 0x7f800000, v29
	v_cmp_ne_u32_e64 s16, 0x7f800000, v28
	v_mov_b32_e32 v28, 0x8000
	s_and_saveexec_b32 s23, s16
	s_cbranch_execz .LBB6_7698
; %bb.7691:                             ;   in Loop: Header=BB6_7578 Depth=3
	v_mov_b32_e32 v28, 0
	s_mov_b32 s72, exec_lo
	v_cmpx_ne_u32_e32 0, v29
	s_cbranch_execz .LBB6_7697
; %bb.7692:                             ;   in Loop: Header=BB6_7578 Depth=3
	v_bfe_u32 v28, v29, 23, 8
	v_and_b32_e32 v30, 0x7fffff, v29
	v_sub_nc_u32_e32 v31, 0x70, v28
	v_cmp_gt_u32_e64 s16, 0x71, v28
	v_or_b32_e32 v32, 0x800000, v30
	v_cndmask_b32_e64 v31, 0, v31, s16
	v_cmp_eq_u32_e64 s16, 0, v28
	v_add_nc_u32_e32 v28, 0xffffff91, v28
	v_cndmask_b32_e64 v31, v31, 0x6f, s16
	v_cndmask_b32_e64 v30, v32, v30, s16
	;; [unrolled: 1-line block ×3, first 2 shown]
	v_lshl_add_u32 v32, 0x200000, v31, -1
	v_lshrrev_b32_e32 v33, v31, v30
	v_lshlrev_b32_e64 v35, v31, 0x100000
	v_add_nc_u32_e32 v31, v31, v28
	v_and_b32_e32 v30, v32, v30
	v_bfe_u32 v34, v33, 21, 1
	v_cmp_eq_u32_e64 s17, v30, v35
	v_add_nc_u32_e32 v32, -1, v34
	v_cndmask_b32_e64 v30, 0, v32, s17
	v_lshrrev_b32_e32 v32, 23, v33
	s_mov_b32 s17, exec_lo
	v_add_nc_u32_e32 v30, v30, v33
	v_xor_b32_e32 v32, 1, v32
	v_and_b32_e32 v28, 0x1fffff, v30
	v_add_nc_u32_e32 v30, v28, v33
                                        ; implicit-def: $vgpr28
	v_cmpx_ne_u32_e64 v31, v32
	s_xor_b32 s17, exec_lo, s17
; %bb.7693:                             ;   in Loop: Header=BB6_7578 Depth=3
	v_cmp_lt_u32_e64 s16, 0xffffff, v30
	v_sub_nc_u32_e32 v28, v31, v32
	v_cndmask_b32_e64 v31, 0, 1, s16
	v_add_co_ci_u32_e64 v28, null, 0, v28, s16
	v_lshrrev_b32_e32 v30, v31, v30
; %bb.7694:                             ;   in Loop: Header=BB6_7578 Depth=3
	s_andn2_saveexec_b32 s16, s17
; %bb.7695:                             ;   in Loop: Header=BB6_7578 Depth=3
	v_bfe_u32 v28, v30, 23, 1
; %bb.7696:                             ;   in Loop: Header=BB6_7578 Depth=3
	s_or_b32 exec_lo, exec_lo, s16
	v_lshrrev_b32_e32 v30, 21, v30
	v_min_i32_e32 v31, 31, v28
	v_cmp_gt_i32_e64 s16, 32, v28
	v_and_b32_sdwa v29, v29, v60 dst_sel:DWORD dst_unused:UNUSED_PAD src0_sel:BYTE_3 src1_sel:DWORD
	v_lshlrev_b32_e32 v31, 2, v31
	v_cndmask_b32_e64 v30, 3, v30, s16
	v_and_b32_e32 v31, 0xfc, v31
	v_and_b32_e32 v32, 3, v30
	v_or_b32_e32 v28, v28, v30
	v_or3_b32 v29, v29, v31, v32
	v_cmp_ne_u32_e64 s16, 0, v28
	v_lshlrev_b32_e32 v29, 8, v29
	v_cndmask_b32_e64 v28, 0, v29, s16
.LBB6_7697:                             ;   in Loop: Header=BB6_7578 Depth=3
	s_or_b32 exec_lo, exec_lo, s72
.LBB6_7698:                             ;   in Loop: Header=BB6_7578 Depth=3
	s_or_b32 exec_lo, exec_lo, s23
	v_and_b32_sdwa v30, v13, v63 dst_sel:DWORD dst_unused:UNUSED_PAD src0_sel:WORD_1 src1_sel:DWORD
	s_mov_b32 s17, 0
	s_mov_b32 s23, exec_lo
	v_cmpx_lt_i16_e32 0x7f, v30
	s_xor_b32 s23, exec_lo, s23
	s_cbranch_execz .LBB6_7920
; %bb.7699:                             ;   in Loop: Header=BB6_7578 Depth=3
	s_mov_b32 s17, -1
	s_mov_b32 s72, exec_lo
	v_cmpx_eq_u16_e32 0x80, v30
; %bb.7700:                             ;   in Loop: Header=BB6_7578 Depth=3
	s_xor_b32 s17, exec_lo, -1
; %bb.7701:                             ;   in Loop: Header=BB6_7578 Depth=3
	s_or_b32 exec_lo, exec_lo, s72
	s_and_b32 s17, s17, exec_lo
                                        ; implicit-def: $vgpr30
	s_or_saveexec_b32 s23, s23
	v_mov_b32_e32 v29, 0x7f800001
	s_xor_b32 exec_lo, exec_lo, s23
	s_cbranch_execnz .LBB6_7921
.LBB6_7702:                             ;   in Loop: Header=BB6_7578 Depth=3
	s_or_b32 exec_lo, exec_lo, s23
	s_and_saveexec_b32 s23, s17
	s_cbranch_execz .LBB6_7704
.LBB6_7703:                             ;   in Loop: Header=BB6_7578 Depth=3
	v_bfe_u32 v29, v13, 16, 2
	v_bfe_u32 v32, v13, 18, 5
	v_lshlrev_b32_e32 v33, 8, v13
	v_ffbh_u32_e32 v30, v29
	v_cmp_eq_u32_e64 s16, 0, v32
	v_min_u32_e32 v30, 32, v30
	v_subrev_nc_u32_e32 v31, 29, v30
	v_sub_nc_u32_e32 v30, 30, v30
	v_lshlrev_b32_sdwa v31, v31, v13 dst_sel:DWORD dst_unused:UNUSED_PAD src0_sel:DWORD src1_sel:WORD_1
	v_cndmask_b32_e64 v30, v32, v30, s16
	v_and_b32_e32 v31, 3, v31
	v_lshl_add_u32 v30, v30, 23, 0x37800000
	v_cndmask_b32_e64 v29, v29, v31, s16
	v_and_b32_e32 v31, 0x80000000, v33
	v_lshlrev_b32_e32 v29, 21, v29
	v_or3_b32 v29, v31, v30, v29
.LBB6_7704:                             ;   in Loop: Header=BB6_7578 Depth=3
	s_or_b32 exec_lo, exec_lo, s23
	v_and_b32_sdwa v31, v9, v63 dst_sel:DWORD dst_unused:UNUSED_PAD src0_sel:WORD_1 src1_sel:DWORD
	s_mov_b32 s17, 0
	s_mov_b32 s23, exec_lo
	v_cmpx_lt_i16_e32 0x7f, v31
	s_xor_b32 s23, exec_lo, s23
	s_cbranch_execz .LBB6_7922
; %bb.7705:                             ;   in Loop: Header=BB6_7578 Depth=3
	s_mov_b32 s17, -1
	s_mov_b32 s72, exec_lo
	v_cmpx_eq_u16_e32 0x80, v31
; %bb.7706:                             ;   in Loop: Header=BB6_7578 Depth=3
	s_xor_b32 s17, exec_lo, -1
; %bb.7707:                             ;   in Loop: Header=BB6_7578 Depth=3
	s_or_b32 exec_lo, exec_lo, s72
	s_and_b32 s17, s17, exec_lo
                                        ; implicit-def: $vgpr31
	s_or_saveexec_b32 s23, s23
	v_mov_b32_e32 v30, 0x7f800001
	s_xor_b32 exec_lo, exec_lo, s23
	s_cbranch_execnz .LBB6_7923
.LBB6_7708:                             ;   in Loop: Header=BB6_7578 Depth=3
	s_or_b32 exec_lo, exec_lo, s23
	s_and_saveexec_b32 s23, s17
	s_cbranch_execz .LBB6_7710
.LBB6_7709:                             ;   in Loop: Header=BB6_7578 Depth=3
	v_and_b32_sdwa v30, v9, v72 dst_sel:DWORD dst_unused:UNUSED_PAD src0_sel:WORD_1 src1_sel:DWORD
	v_bfe_u32 v33, v9, 18, 5
	v_lshlrev_b32_sdwa v34, v62, v9 dst_sel:DWORD dst_unused:UNUSED_PAD src0_sel:DWORD src1_sel:WORD_1
	v_ffbh_u32_e32 v31, v30
	v_cmp_eq_u32_e64 s16, 0, v33
	v_min_u32_e32 v31, 32, v31
	v_subrev_nc_u32_e32 v32, 29, v31
	v_sub_nc_u32_e32 v31, 30, v31
	v_lshlrev_b32_sdwa v32, v32, v9 dst_sel:DWORD dst_unused:UNUSED_PAD src0_sel:DWORD src1_sel:WORD_1
	v_cndmask_b32_e64 v31, v33, v31, s16
	v_and_b32_e32 v32, 3, v32
	v_lshl_add_u32 v31, v31, 23, 0x37800000
	v_cndmask_b32_e64 v30, v30, v32, s16
	v_and_b32_e32 v32, 0x80000000, v34
	v_lshlrev_b32_e32 v30, 21, v30
	v_or3_b32 v30, v32, v31, v30
.LBB6_7710:                             ;   in Loop: Header=BB6_7578 Depth=3
	s_or_b32 exec_lo, exec_lo, s23
	v_mul_f32_e32 v30, v29, v30
	v_and_b32_e32 v29, 0x7f800000, v30
	v_cmp_ne_u32_e64 s16, 0x7f800000, v29
	v_mov_b32_e32 v29, 0x80
	s_and_saveexec_b32 s23, s16
	s_cbranch_execz .LBB6_7718
; %bb.7711:                             ;   in Loop: Header=BB6_7578 Depth=3
	v_mov_b32_e32 v29, 0
	s_mov_b32 s72, exec_lo
	v_cmpx_ne_u32_e32 0, v30
	s_cbranch_execz .LBB6_7717
; %bb.7712:                             ;   in Loop: Header=BB6_7578 Depth=3
	v_bfe_u32 v29, v30, 23, 8
	v_and_b32_e32 v31, 0x7fffff, v30
	v_sub_nc_u32_e32 v32, 0x70, v29
	v_cmp_gt_u32_e64 s16, 0x71, v29
	v_or_b32_e32 v33, 0x800000, v31
	v_cndmask_b32_e64 v32, 0, v32, s16
	v_cmp_eq_u32_e64 s16, 0, v29
	v_add_nc_u32_e32 v29, 0xffffff91, v29
	v_cndmask_b32_e64 v32, v32, 0x6f, s16
	v_cndmask_b32_e64 v31, v33, v31, s16
	;; [unrolled: 1-line block ×3, first 2 shown]
	v_lshl_add_u32 v33, 0x200000, v32, -1
	v_lshrrev_b32_e32 v34, v32, v31
	v_lshlrev_b32_e64 v36, v32, 0x100000
	v_add_nc_u32_e32 v32, v32, v29
	v_and_b32_e32 v31, v33, v31
	v_bfe_u32 v35, v34, 21, 1
	v_cmp_eq_u32_e64 s17, v31, v36
	v_add_nc_u32_e32 v33, -1, v35
	v_cndmask_b32_e64 v31, 0, v33, s17
	v_lshrrev_b32_e32 v33, 23, v34
	s_mov_b32 s17, exec_lo
	v_add_nc_u32_e32 v31, v31, v34
	v_xor_b32_e32 v33, 1, v33
	v_and_b32_e32 v29, 0x1fffff, v31
	v_add_nc_u32_e32 v31, v29, v34
                                        ; implicit-def: $vgpr29
	v_cmpx_ne_u32_e64 v32, v33
	s_xor_b32 s17, exec_lo, s17
; %bb.7713:                             ;   in Loop: Header=BB6_7578 Depth=3
	v_cmp_lt_u32_e64 s16, 0xffffff, v31
	v_sub_nc_u32_e32 v29, v32, v33
	v_cndmask_b32_e64 v32, 0, 1, s16
	v_add_co_ci_u32_e64 v29, null, 0, v29, s16
	v_lshrrev_b32_e32 v31, v32, v31
; %bb.7714:                             ;   in Loop: Header=BB6_7578 Depth=3
	s_andn2_saveexec_b32 s16, s17
; %bb.7715:                             ;   in Loop: Header=BB6_7578 Depth=3
	v_bfe_u32 v29, v31, 23, 1
; %bb.7716:                             ;   in Loop: Header=BB6_7578 Depth=3
	s_or_b32 exec_lo, exec_lo, s16
	v_lshrrev_b32_e32 v31, 21, v31
	v_min_i32_e32 v32, 31, v29
	v_cmp_gt_i32_e64 s16, 32, v29
	v_and_b32_sdwa v30, v30, v60 dst_sel:DWORD dst_unused:UNUSED_PAD src0_sel:BYTE_3 src1_sel:DWORD
	v_lshlrev_b32_e32 v32, 2, v32
	v_cndmask_b32_e64 v31, 3, v31, s16
	v_and_b32_e32 v32, 0xfc, v32
	v_and_b32_e32 v33, 3, v31
	v_or_b32_e32 v29, v29, v31
	v_or3_b32 v30, v32, v30, v33
	v_cmp_ne_u32_e64 s16, 0, v29
	v_cndmask_b32_e64 v29, 0, v30, s16
.LBB6_7717:                             ;   in Loop: Header=BB6_7578 Depth=3
	s_or_b32 exec_lo, exec_lo, s72
.LBB6_7718:                             ;   in Loop: Header=BB6_7578 Depth=3
	s_or_b32 exec_lo, exec_lo, s23
	v_cmp_gt_i16_sdwa s17, v13, v59 src0_sel:BYTE_3 src1_sel:DWORD
	s_mov_b32 s16, 0
	s_and_saveexec_b32 s23, s17
	s_xor_b32 s17, exec_lo, s23
	s_cbranch_execz .LBB6_7924
; %bb.7719:                             ;   in Loop: Header=BB6_7578 Depth=3
	v_cmp_eq_u16_sdwa s72, v13, v60 src0_sel:BYTE_3 src1_sel:DWORD
	s_mov_b32 s16, -1
	s_and_saveexec_b32 s23, s72
; %bb.7720:                             ;   in Loop: Header=BB6_7578 Depth=3
	s_xor_b32 s16, exec_lo, -1
; %bb.7721:                             ;   in Loop: Header=BB6_7578 Depth=3
	s_or_b32 exec_lo, exec_lo, s23
	s_and_b32 s16, s16, exec_lo
	s_or_saveexec_b32 s17, s17
	v_mov_b32_e32 v30, 0x7f800001
	s_xor_b32 exec_lo, exec_lo, s17
	s_cbranch_execnz .LBB6_7925
.LBB6_7722:                             ;   in Loop: Header=BB6_7578 Depth=3
	s_or_b32 exec_lo, exec_lo, s17
	s_and_saveexec_b32 s17, s16
	s_cbranch_execz .LBB6_7724
.LBB6_7723:                             ;   in Loop: Header=BB6_7578 Depth=3
	v_bfe_u32 v30, v13, 24, 2
	v_bfe_u32 v33, v13, 26, 5
	v_ffbh_u32_e32 v31, v30
	v_cmp_eq_u32_e64 s16, 0, v33
	v_min_u32_e32 v31, 32, v31
	v_subrev_nc_u32_e32 v32, 29, v31
	v_sub_nc_u32_e32 v31, 30, v31
	v_lshlrev_b32_sdwa v32, v32, v13 dst_sel:DWORD dst_unused:UNUSED_PAD src0_sel:DWORD src1_sel:BYTE_3
	v_cndmask_b32_e64 v31, v33, v31, s16
	v_and_b32_e32 v13, 0x80000000, v13
	v_and_b32_e32 v32, 3, v32
	v_lshl_add_u32 v31, v31, 23, 0x37800000
	v_cndmask_b32_e64 v30, v30, v32, s16
	v_lshlrev_b32_e32 v30, 21, v30
	v_or3_b32 v30, v13, v31, v30
.LBB6_7724:                             ;   in Loop: Header=BB6_7578 Depth=3
	s_or_b32 exec_lo, exec_lo, s17
	v_cmp_gt_i16_sdwa s17, v9, v59 src0_sel:BYTE_3 src1_sel:DWORD
	s_mov_b32 s16, 0
	s_and_saveexec_b32 s23, s17
	s_xor_b32 s17, exec_lo, s23
	s_cbranch_execz .LBB6_7926
; %bb.7725:                             ;   in Loop: Header=BB6_7578 Depth=3
	v_cmp_eq_u16_sdwa s72, v9, v60 src0_sel:BYTE_3 src1_sel:DWORD
	s_mov_b32 s16, -1
	s_and_saveexec_b32 s23, s72
; %bb.7726:                             ;   in Loop: Header=BB6_7578 Depth=3
	s_xor_b32 s16, exec_lo, -1
; %bb.7727:                             ;   in Loop: Header=BB6_7578 Depth=3
	s_or_b32 exec_lo, exec_lo, s23
	s_and_b32 s16, s16, exec_lo
	s_or_saveexec_b32 s17, s17
	v_mov_b32_e32 v13, 0x7f800001
	s_xor_b32 exec_lo, exec_lo, s17
	s_cbranch_execnz .LBB6_7927
.LBB6_7728:                             ;   in Loop: Header=BB6_7578 Depth=3
	s_or_b32 exec_lo, exec_lo, s17
	s_and_saveexec_b32 s17, s16
	s_cbranch_execz .LBB6_7730
.LBB6_7729:                             ;   in Loop: Header=BB6_7578 Depth=3
	v_and_b32_sdwa v13, v9, v72 dst_sel:DWORD dst_unused:UNUSED_PAD src0_sel:BYTE_3 src1_sel:DWORD
	v_bfe_u32 v33, v9, 26, 5
	v_ffbh_u32_e32 v31, v13
	v_cmp_eq_u32_e64 s16, 0, v33
	v_min_u32_e32 v31, 32, v31
	v_subrev_nc_u32_e32 v32, 29, v31
	v_sub_nc_u32_e32 v31, 30, v31
	v_lshlrev_b32_sdwa v32, v32, v9 dst_sel:DWORD dst_unused:UNUSED_PAD src0_sel:DWORD src1_sel:BYTE_3
	v_cndmask_b32_e64 v31, v33, v31, s16
	v_and_b32_e32 v9, 0x80000000, v9
	v_and_b32_e32 v32, 3, v32
	v_lshl_add_u32 v31, v31, 23, 0x37800000
	v_cndmask_b32_e64 v13, v13, v32, s16
	v_lshlrev_b32_e32 v13, 21, v13
	v_or3_b32 v13, v9, v31, v13
.LBB6_7730:                             ;   in Loop: Header=BB6_7578 Depth=3
	s_or_b32 exec_lo, exec_lo, s17
	v_mul_f32_e32 v13, v30, v13
	v_and_b32_e32 v9, 0x7f800000, v13
	v_cmp_ne_u32_e64 s16, 0x7f800000, v9
	v_mov_b32_e32 v9, 0x8000
	s_and_saveexec_b32 s23, s16
	s_cbranch_execz .LBB6_7738
; %bb.7731:                             ;   in Loop: Header=BB6_7578 Depth=3
	v_mov_b32_e32 v9, 0
	s_mov_b32 s72, exec_lo
	v_cmpx_ne_u32_e32 0, v13
	s_cbranch_execz .LBB6_7737
; %bb.7732:                             ;   in Loop: Header=BB6_7578 Depth=3
	v_bfe_u32 v9, v13, 23, 8
	v_and_b32_e32 v30, 0x7fffff, v13
	v_sub_nc_u32_e32 v31, 0x70, v9
	v_cmp_gt_u32_e64 s16, 0x71, v9
	v_or_b32_e32 v32, 0x800000, v30
	v_cndmask_b32_e64 v31, 0, v31, s16
	v_cmp_eq_u32_e64 s16, 0, v9
	v_add_nc_u32_e32 v9, 0xffffff91, v9
	v_cndmask_b32_e64 v31, v31, 0x6f, s16
	v_cndmask_b32_e64 v30, v32, v30, s16
	;; [unrolled: 1-line block ×3, first 2 shown]
	v_lshl_add_u32 v32, 0x200000, v31, -1
	v_lshrrev_b32_e32 v33, v31, v30
	v_lshlrev_b32_e64 v35, v31, 0x100000
	v_add_nc_u32_e32 v31, v31, v9
	v_and_b32_e32 v30, v32, v30
	v_bfe_u32 v34, v33, 21, 1
	v_cmp_eq_u32_e64 s17, v30, v35
	v_add_nc_u32_e32 v32, -1, v34
	v_cndmask_b32_e64 v30, 0, v32, s17
	v_lshrrev_b32_e32 v32, 23, v33
	s_mov_b32 s17, exec_lo
	v_add_nc_u32_e32 v30, v30, v33
	v_xor_b32_e32 v32, 1, v32
	v_and_b32_e32 v9, 0x1fffff, v30
	v_add_nc_u32_e32 v30, v9, v33
                                        ; implicit-def: $vgpr9
	v_cmpx_ne_u32_e64 v31, v32
	s_xor_b32 s17, exec_lo, s17
; %bb.7733:                             ;   in Loop: Header=BB6_7578 Depth=3
	v_cmp_lt_u32_e64 s16, 0xffffff, v30
	v_sub_nc_u32_e32 v9, v31, v32
	v_cndmask_b32_e64 v31, 0, 1, s16
	v_add_co_ci_u32_e64 v9, null, 0, v9, s16
	v_lshrrev_b32_e32 v30, v31, v30
; %bb.7734:                             ;   in Loop: Header=BB6_7578 Depth=3
	s_andn2_saveexec_b32 s16, s17
; %bb.7735:                             ;   in Loop: Header=BB6_7578 Depth=3
	v_bfe_u32 v9, v30, 23, 1
; %bb.7736:                             ;   in Loop: Header=BB6_7578 Depth=3
	s_or_b32 exec_lo, exec_lo, s16
	v_lshrrev_b32_e32 v30, 21, v30
	v_min_i32_e32 v31, 31, v9
	v_cmp_gt_i32_e64 s16, 32, v9
	v_and_b32_sdwa v13, v13, v60 dst_sel:DWORD dst_unused:UNUSED_PAD src0_sel:BYTE_3 src1_sel:DWORD
	v_lshlrev_b32_e32 v31, 2, v31
	v_cndmask_b32_e64 v30, 3, v30, s16
	v_and_b32_e32 v31, 0xfc, v31
	v_and_b32_e32 v32, 3, v30
	v_or_b32_e32 v9, v9, v30
	v_or3_b32 v13, v13, v31, v32
	v_cmp_ne_u32_e64 s16, 0, v9
	v_lshlrev_b32_e32 v13, 8, v13
	v_cndmask_b32_e64 v9, 0, v13, s16
.LBB6_7737:                             ;   in Loop: Header=BB6_7578 Depth=3
	s_or_b32 exec_lo, exec_lo, s72
.LBB6_7738:                             ;   in Loop: Header=BB6_7578 Depth=3
	s_or_b32 exec_lo, exec_lo, s23
	v_cmp_gt_i16_sdwa s17, v14, v59 src0_sel:BYTE_0 src1_sel:DWORD
	s_mov_b32 s16, 0
	s_and_saveexec_b32 s23, s17
	s_xor_b32 s17, exec_lo, s23
	s_cbranch_execz .LBB6_7928
; %bb.7739:                             ;   in Loop: Header=BB6_7578 Depth=3
	v_cmp_eq_u16_sdwa s72, v14, v60 src0_sel:BYTE_0 src1_sel:DWORD
	s_mov_b32 s16, -1
	s_and_saveexec_b32 s23, s72
; %bb.7740:                             ;   in Loop: Header=BB6_7578 Depth=3
	s_xor_b32 s16, exec_lo, -1
; %bb.7741:                             ;   in Loop: Header=BB6_7578 Depth=3
	s_or_b32 exec_lo, exec_lo, s23
	s_and_b32 s16, s16, exec_lo
	s_or_saveexec_b32 s17, s17
	v_mov_b32_e32 v13, 0x7f800001
	s_xor_b32 exec_lo, exec_lo, s17
	s_cbranch_execnz .LBB6_7929
.LBB6_7742:                             ;   in Loop: Header=BB6_7578 Depth=3
	s_or_b32 exec_lo, exec_lo, s17
	s_and_saveexec_b32 s17, s16
	s_cbranch_execz .LBB6_7744
.LBB6_7743:                             ;   in Loop: Header=BB6_7578 Depth=3
	v_and_b32_e32 v13, 3, v14
	v_bfe_u32 v32, v14, 2, 5
	v_lshlrev_b32_e32 v33, 24, v14
	v_ffbh_u32_e32 v30, v13
	v_cmp_eq_u32_e64 s16, 0, v32
	v_min_u32_e32 v30, 32, v30
	v_subrev_nc_u32_e32 v31, 29, v30
	v_sub_nc_u32_e32 v30, 30, v30
	v_lshlrev_b32_e32 v31, v31, v14
	v_cndmask_b32_e64 v30, v32, v30, s16
	v_and_b32_e32 v31, 3, v31
	v_lshl_add_u32 v30, v30, 23, 0x37800000
	v_cndmask_b32_e64 v13, v13, v31, s16
	v_and_b32_e32 v31, 0x80000000, v33
	v_lshlrev_b32_e32 v13, 21, v13
	v_or3_b32 v13, v31, v30, v13
.LBB6_7744:                             ;   in Loop: Header=BB6_7578 Depth=3
	s_or_b32 exec_lo, exec_lo, s17
	v_cmp_gt_i16_sdwa s17, v10, v59 src0_sel:BYTE_0 src1_sel:DWORD
	s_mov_b32 s16, 0
	s_and_saveexec_b32 s23, s17
	s_xor_b32 s17, exec_lo, s23
	s_cbranch_execz .LBB6_7930
; %bb.7745:                             ;   in Loop: Header=BB6_7578 Depth=3
	v_cmp_eq_u16_sdwa s72, v10, v60 src0_sel:BYTE_0 src1_sel:DWORD
	s_mov_b32 s16, -1
	s_and_saveexec_b32 s23, s72
; %bb.7746:                             ;   in Loop: Header=BB6_7578 Depth=3
	s_xor_b32 s16, exec_lo, -1
; %bb.7747:                             ;   in Loop: Header=BB6_7578 Depth=3
	s_or_b32 exec_lo, exec_lo, s23
	s_and_b32 s16, s16, exec_lo
	s_or_saveexec_b32 s17, s17
	v_mov_b32_e32 v30, 0x7f800001
	s_xor_b32 exec_lo, exec_lo, s17
	s_cbranch_execnz .LBB6_7931
.LBB6_7748:                             ;   in Loop: Header=BB6_7578 Depth=3
	s_or_b32 exec_lo, exec_lo, s17
	s_and_saveexec_b32 s17, s16
	s_cbranch_execz .LBB6_7750
.LBB6_7749:                             ;   in Loop: Header=BB6_7578 Depth=3
	v_and_b32_e32 v30, 3, v10
	v_bfe_u32 v33, v10, 2, 5
	v_lshlrev_b32_e32 v34, 24, v10
	v_ffbh_u32_e32 v31, v30
	v_cmp_eq_u32_e64 s16, 0, v33
	v_min_u32_e32 v31, 32, v31
	v_subrev_nc_u32_e32 v32, 29, v31
	v_sub_nc_u32_e32 v31, 30, v31
	v_lshlrev_b32_e32 v32, v32, v10
	v_cndmask_b32_e64 v31, v33, v31, s16
	v_and_b32_e32 v32, 3, v32
	v_lshl_add_u32 v31, v31, 23, 0x37800000
	v_cndmask_b32_e64 v30, v30, v32, s16
	v_and_b32_e32 v32, 0x80000000, v34
	v_lshlrev_b32_e32 v30, 21, v30
	v_or3_b32 v30, v32, v31, v30
.LBB6_7750:                             ;   in Loop: Header=BB6_7578 Depth=3
	s_or_b32 exec_lo, exec_lo, s17
	v_mul_f32_e32 v30, v13, v30
	v_and_b32_e32 v13, 0x7f800000, v30
	v_cmp_ne_u32_e64 s16, 0x7f800000, v13
	v_mov_b32_e32 v13, 0x80
	s_and_saveexec_b32 s23, s16
	s_cbranch_execz .LBB6_7758
; %bb.7751:                             ;   in Loop: Header=BB6_7578 Depth=3
	v_mov_b32_e32 v13, 0
	s_mov_b32 s72, exec_lo
	v_cmpx_ne_u32_e32 0, v30
	s_cbranch_execz .LBB6_7757
; %bb.7752:                             ;   in Loop: Header=BB6_7578 Depth=3
	v_bfe_u32 v13, v30, 23, 8
	v_and_b32_e32 v31, 0x7fffff, v30
	v_sub_nc_u32_e32 v32, 0x70, v13
	v_cmp_gt_u32_e64 s16, 0x71, v13
	v_or_b32_e32 v33, 0x800000, v31
	v_cndmask_b32_e64 v32, 0, v32, s16
	v_cmp_eq_u32_e64 s16, 0, v13
	v_add_nc_u32_e32 v13, 0xffffff91, v13
	v_cndmask_b32_e64 v32, v32, 0x6f, s16
	v_cndmask_b32_e64 v31, v33, v31, s16
	;; [unrolled: 1-line block ×3, first 2 shown]
	v_lshl_add_u32 v33, 0x200000, v32, -1
	v_lshrrev_b32_e32 v34, v32, v31
	v_lshlrev_b32_e64 v36, v32, 0x100000
	v_add_nc_u32_e32 v32, v32, v13
	v_and_b32_e32 v31, v33, v31
	v_bfe_u32 v35, v34, 21, 1
	v_cmp_eq_u32_e64 s17, v31, v36
	v_add_nc_u32_e32 v33, -1, v35
	v_cndmask_b32_e64 v31, 0, v33, s17
	v_lshrrev_b32_e32 v33, 23, v34
	s_mov_b32 s17, exec_lo
	v_add_nc_u32_e32 v31, v31, v34
	v_xor_b32_e32 v33, 1, v33
	v_and_b32_e32 v13, 0x1fffff, v31
	v_add_nc_u32_e32 v31, v13, v34
                                        ; implicit-def: $vgpr13
	v_cmpx_ne_u32_e64 v32, v33
	s_xor_b32 s17, exec_lo, s17
; %bb.7753:                             ;   in Loop: Header=BB6_7578 Depth=3
	v_cmp_lt_u32_e64 s16, 0xffffff, v31
	v_sub_nc_u32_e32 v13, v32, v33
	v_cndmask_b32_e64 v32, 0, 1, s16
	v_add_co_ci_u32_e64 v13, null, 0, v13, s16
	v_lshrrev_b32_e32 v31, v32, v31
; %bb.7754:                             ;   in Loop: Header=BB6_7578 Depth=3
	s_andn2_saveexec_b32 s16, s17
; %bb.7755:                             ;   in Loop: Header=BB6_7578 Depth=3
	v_bfe_u32 v13, v31, 23, 1
; %bb.7756:                             ;   in Loop: Header=BB6_7578 Depth=3
	s_or_b32 exec_lo, exec_lo, s16
	v_lshrrev_b32_e32 v31, 21, v31
	v_min_i32_e32 v32, 31, v13
	v_cmp_gt_i32_e64 s16, 32, v13
	v_and_b32_sdwa v30, v30, v60 dst_sel:DWORD dst_unused:UNUSED_PAD src0_sel:BYTE_3 src1_sel:DWORD
	v_lshlrev_b32_e32 v32, 2, v32
	v_cndmask_b32_e64 v31, 3, v31, s16
	v_and_b32_e32 v32, 0xfc, v32
	v_and_b32_e32 v33, 3, v31
	v_or_b32_e32 v13, v13, v31
	v_or3_b32 v30, v32, v30, v33
	v_cmp_ne_u32_e64 s16, 0, v13
	v_cndmask_b32_e64 v13, 0, v30, s16
.LBB6_7757:                             ;   in Loop: Header=BB6_7578 Depth=3
	s_or_b32 exec_lo, exec_lo, s72
.LBB6_7758:                             ;   in Loop: Header=BB6_7578 Depth=3
	s_or_b32 exec_lo, exec_lo, s23
	v_cmp_gt_i16_sdwa s17, v14, v59 src0_sel:BYTE_1 src1_sel:DWORD
	s_mov_b32 s16, 0
	s_and_saveexec_b32 s23, s17
	s_xor_b32 s17, exec_lo, s23
	s_cbranch_execz .LBB6_7932
; %bb.7759:                             ;   in Loop: Header=BB6_7578 Depth=3
	v_cmp_eq_u16_sdwa s72, v14, v60 src0_sel:BYTE_1 src1_sel:DWORD
	s_mov_b32 s16, -1
	s_and_saveexec_b32 s23, s72
; %bb.7760:                             ;   in Loop: Header=BB6_7578 Depth=3
	s_xor_b32 s16, exec_lo, -1
; %bb.7761:                             ;   in Loop: Header=BB6_7578 Depth=3
	s_or_b32 exec_lo, exec_lo, s23
	s_and_b32 s16, s16, exec_lo
	s_or_saveexec_b32 s17, s17
	v_mov_b32_e32 v30, 0x7f800001
	s_xor_b32 exec_lo, exec_lo, s17
	s_cbranch_execnz .LBB6_7933
.LBB6_7762:                             ;   in Loop: Header=BB6_7578 Depth=3
	s_or_b32 exec_lo, exec_lo, s17
	s_and_saveexec_b32 s17, s16
	s_cbranch_execz .LBB6_7764
.LBB6_7763:                             ;   in Loop: Header=BB6_7578 Depth=3
	v_and_b32_sdwa v30, v61, v14 dst_sel:DWORD dst_unused:UNUSED_PAD src0_sel:DWORD src1_sel:BYTE_1
	v_and_b32_e32 v31, 3, v30
	v_bfe_u32 v34, v30, 2, 5
	v_ffbh_u32_e32 v32, v31
	v_cmp_eq_u32_e64 s16, 0, v34
	v_min_u32_e32 v32, 32, v32
	v_subrev_nc_u32_e32 v33, 29, v32
	v_sub_nc_u32_e32 v32, 30, v32
	v_lshlrev_b32_e32 v30, v33, v30
	v_lshlrev_b32_sdwa v33, v62, v14 dst_sel:DWORD dst_unused:UNUSED_PAD src0_sel:DWORD src1_sel:BYTE_1
	v_cndmask_b32_e64 v32, v34, v32, s16
	v_and_b32_e32 v30, 3, v30
	v_lshl_add_u32 v32, v32, 23, 0x37800000
	v_cndmask_b32_e64 v30, v31, v30, s16
	v_and_b32_e32 v31, 0x80000000, v33
	v_lshlrev_b32_e32 v30, 21, v30
	v_or3_b32 v30, v31, v32, v30
.LBB6_7764:                             ;   in Loop: Header=BB6_7578 Depth=3
	s_or_b32 exec_lo, exec_lo, s17
	v_cmp_gt_i16_sdwa s17, v10, v59 src0_sel:BYTE_1 src1_sel:DWORD
	s_mov_b32 s16, 0
	s_and_saveexec_b32 s23, s17
	s_xor_b32 s17, exec_lo, s23
	s_cbranch_execz .LBB6_7934
; %bb.7765:                             ;   in Loop: Header=BB6_7578 Depth=3
	v_cmp_eq_u16_sdwa s72, v10, v60 src0_sel:BYTE_1 src1_sel:DWORD
	s_mov_b32 s16, -1
	s_and_saveexec_b32 s23, s72
; %bb.7766:                             ;   in Loop: Header=BB6_7578 Depth=3
	s_xor_b32 s16, exec_lo, -1
; %bb.7767:                             ;   in Loop: Header=BB6_7578 Depth=3
	s_or_b32 exec_lo, exec_lo, s23
	s_and_b32 s16, s16, exec_lo
	s_or_saveexec_b32 s17, s17
	v_mov_b32_e32 v31, 0x7f800001
	s_xor_b32 exec_lo, exec_lo, s17
	s_cbranch_execnz .LBB6_7935
.LBB6_7768:                             ;   in Loop: Header=BB6_7578 Depth=3
	s_or_b32 exec_lo, exec_lo, s17
	s_and_saveexec_b32 s17, s16
	s_cbranch_execz .LBB6_7770
.LBB6_7769:                             ;   in Loop: Header=BB6_7578 Depth=3
	v_and_b32_sdwa v31, v61, v10 dst_sel:DWORD dst_unused:UNUSED_PAD src0_sel:DWORD src1_sel:BYTE_1
	v_and_b32_e32 v32, 3, v31
	v_bfe_u32 v35, v31, 2, 5
	v_ffbh_u32_e32 v33, v32
	v_cmp_eq_u32_e64 s16, 0, v35
	v_min_u32_e32 v33, 32, v33
	v_subrev_nc_u32_e32 v34, 29, v33
	v_sub_nc_u32_e32 v33, 30, v33
	v_lshlrev_b32_e32 v31, v34, v31
	v_lshlrev_b32_sdwa v34, v62, v10 dst_sel:DWORD dst_unused:UNUSED_PAD src0_sel:DWORD src1_sel:BYTE_1
	v_cndmask_b32_e64 v33, v35, v33, s16
	v_and_b32_e32 v31, 3, v31
	v_lshl_add_u32 v33, v33, 23, 0x37800000
	v_cndmask_b32_e64 v31, v32, v31, s16
	v_and_b32_e32 v32, 0x80000000, v34
	v_lshlrev_b32_e32 v31, 21, v31
	v_or3_b32 v31, v32, v33, v31
.LBB6_7770:                             ;   in Loop: Header=BB6_7578 Depth=3
	s_or_b32 exec_lo, exec_lo, s17
	v_mul_f32_e32 v31, v30, v31
	v_and_b32_e32 v30, 0x7f800000, v31
	v_cmp_ne_u32_e64 s16, 0x7f800000, v30
	v_mov_b32_e32 v30, 0x8000
	s_and_saveexec_b32 s23, s16
	s_cbranch_execz .LBB6_7778
; %bb.7771:                             ;   in Loop: Header=BB6_7578 Depth=3
	v_mov_b32_e32 v30, 0
	s_mov_b32 s72, exec_lo
	v_cmpx_ne_u32_e32 0, v31
	s_cbranch_execz .LBB6_7777
; %bb.7772:                             ;   in Loop: Header=BB6_7578 Depth=3
	v_bfe_u32 v30, v31, 23, 8
	v_and_b32_e32 v32, 0x7fffff, v31
	v_sub_nc_u32_e32 v33, 0x70, v30
	v_cmp_gt_u32_e64 s16, 0x71, v30
	v_or_b32_e32 v34, 0x800000, v32
	v_cndmask_b32_e64 v33, 0, v33, s16
	v_cmp_eq_u32_e64 s16, 0, v30
	v_add_nc_u32_e32 v30, 0xffffff91, v30
	v_cndmask_b32_e64 v33, v33, 0x6f, s16
	v_cndmask_b32_e64 v32, v34, v32, s16
	;; [unrolled: 1-line block ×3, first 2 shown]
	v_lshl_add_u32 v34, 0x200000, v33, -1
	v_lshrrev_b32_e32 v35, v33, v32
	v_lshlrev_b32_e64 v37, v33, 0x100000
	v_add_nc_u32_e32 v33, v33, v30
	v_and_b32_e32 v32, v34, v32
	v_bfe_u32 v36, v35, 21, 1
	v_cmp_eq_u32_e64 s17, v32, v37
	v_add_nc_u32_e32 v34, -1, v36
	v_cndmask_b32_e64 v32, 0, v34, s17
	v_lshrrev_b32_e32 v34, 23, v35
	s_mov_b32 s17, exec_lo
	v_add_nc_u32_e32 v32, v32, v35
	v_xor_b32_e32 v34, 1, v34
	v_and_b32_e32 v30, 0x1fffff, v32
	v_add_nc_u32_e32 v32, v30, v35
                                        ; implicit-def: $vgpr30
	v_cmpx_ne_u32_e64 v33, v34
	s_xor_b32 s17, exec_lo, s17
; %bb.7773:                             ;   in Loop: Header=BB6_7578 Depth=3
	v_cmp_lt_u32_e64 s16, 0xffffff, v32
	v_sub_nc_u32_e32 v30, v33, v34
	v_cndmask_b32_e64 v33, 0, 1, s16
	v_add_co_ci_u32_e64 v30, null, 0, v30, s16
	v_lshrrev_b32_e32 v32, v33, v32
; %bb.7774:                             ;   in Loop: Header=BB6_7578 Depth=3
	s_andn2_saveexec_b32 s16, s17
; %bb.7775:                             ;   in Loop: Header=BB6_7578 Depth=3
	v_bfe_u32 v30, v32, 23, 1
; %bb.7776:                             ;   in Loop: Header=BB6_7578 Depth=3
	s_or_b32 exec_lo, exec_lo, s16
	v_lshrrev_b32_e32 v32, 21, v32
	v_min_i32_e32 v33, 31, v30
	v_cmp_gt_i32_e64 s16, 32, v30
	v_and_b32_sdwa v31, v31, v60 dst_sel:DWORD dst_unused:UNUSED_PAD src0_sel:BYTE_3 src1_sel:DWORD
	v_lshlrev_b32_e32 v33, 2, v33
	v_cndmask_b32_e64 v32, 3, v32, s16
	v_and_b32_e32 v33, 0xfc, v33
	v_and_b32_e32 v34, 3, v32
	v_or_b32_e32 v30, v30, v32
	v_or3_b32 v31, v31, v33, v34
	v_cmp_ne_u32_e64 s16, 0, v30
	v_lshlrev_b32_e32 v31, 8, v31
	v_cndmask_b32_e64 v30, 0, v31, s16
.LBB6_7777:                             ;   in Loop: Header=BB6_7578 Depth=3
	s_or_b32 exec_lo, exec_lo, s72
.LBB6_7778:                             ;   in Loop: Header=BB6_7578 Depth=3
	s_or_b32 exec_lo, exec_lo, s23
	v_and_b32_sdwa v32, v14, v63 dst_sel:DWORD dst_unused:UNUSED_PAD src0_sel:WORD_1 src1_sel:DWORD
	s_mov_b32 s17, 0
	s_mov_b32 s23, exec_lo
	v_cmpx_lt_i16_e32 0x7f, v32
	s_xor_b32 s23, exec_lo, s23
	s_cbranch_execz .LBB6_7936
; %bb.7779:                             ;   in Loop: Header=BB6_7578 Depth=3
	s_mov_b32 s17, -1
	s_mov_b32 s72, exec_lo
	v_cmpx_eq_u16_e32 0x80, v32
; %bb.7780:                             ;   in Loop: Header=BB6_7578 Depth=3
	s_xor_b32 s17, exec_lo, -1
; %bb.7781:                             ;   in Loop: Header=BB6_7578 Depth=3
	s_or_b32 exec_lo, exec_lo, s72
	s_and_b32 s17, s17, exec_lo
                                        ; implicit-def: $vgpr32
	s_or_saveexec_b32 s23, s23
	v_mov_b32_e32 v31, 0x7f800001
	s_xor_b32 exec_lo, exec_lo, s23
	s_cbranch_execnz .LBB6_7937
.LBB6_7782:                             ;   in Loop: Header=BB6_7578 Depth=3
	s_or_b32 exec_lo, exec_lo, s23
	s_and_saveexec_b32 s23, s17
	s_cbranch_execz .LBB6_7784
.LBB6_7783:                             ;   in Loop: Header=BB6_7578 Depth=3
	v_bfe_u32 v31, v14, 16, 2
	v_bfe_u32 v34, v14, 18, 5
	v_lshlrev_b32_e32 v35, 8, v14
	v_ffbh_u32_e32 v32, v31
	v_cmp_eq_u32_e64 s16, 0, v34
	v_min_u32_e32 v32, 32, v32
	v_subrev_nc_u32_e32 v33, 29, v32
	v_sub_nc_u32_e32 v32, 30, v32
	v_lshlrev_b32_sdwa v33, v33, v14 dst_sel:DWORD dst_unused:UNUSED_PAD src0_sel:DWORD src1_sel:WORD_1
	v_cndmask_b32_e64 v32, v34, v32, s16
	v_and_b32_e32 v33, 3, v33
	v_lshl_add_u32 v32, v32, 23, 0x37800000
	v_cndmask_b32_e64 v31, v31, v33, s16
	v_and_b32_e32 v33, 0x80000000, v35
	v_lshlrev_b32_e32 v31, 21, v31
	v_or3_b32 v31, v33, v32, v31
.LBB6_7784:                             ;   in Loop: Header=BB6_7578 Depth=3
	s_or_b32 exec_lo, exec_lo, s23
	v_and_b32_sdwa v33, v10, v63 dst_sel:DWORD dst_unused:UNUSED_PAD src0_sel:WORD_1 src1_sel:DWORD
	s_mov_b32 s17, 0
	s_mov_b32 s23, exec_lo
	v_cmpx_lt_i16_e32 0x7f, v33
	s_xor_b32 s23, exec_lo, s23
	s_cbranch_execz .LBB6_7938
; %bb.7785:                             ;   in Loop: Header=BB6_7578 Depth=3
	s_mov_b32 s17, -1
	s_mov_b32 s72, exec_lo
	v_cmpx_eq_u16_e32 0x80, v33
; %bb.7786:                             ;   in Loop: Header=BB6_7578 Depth=3
	s_xor_b32 s17, exec_lo, -1
; %bb.7787:                             ;   in Loop: Header=BB6_7578 Depth=3
	s_or_b32 exec_lo, exec_lo, s72
	s_and_b32 s17, s17, exec_lo
                                        ; implicit-def: $vgpr33
	s_or_saveexec_b32 s23, s23
	v_mov_b32_e32 v32, 0x7f800001
	s_xor_b32 exec_lo, exec_lo, s23
	s_cbranch_execnz .LBB6_7939
.LBB6_7788:                             ;   in Loop: Header=BB6_7578 Depth=3
	s_or_b32 exec_lo, exec_lo, s23
	s_and_saveexec_b32 s23, s17
	s_cbranch_execz .LBB6_7790
.LBB6_7789:                             ;   in Loop: Header=BB6_7578 Depth=3
	v_and_b32_sdwa v32, v10, v72 dst_sel:DWORD dst_unused:UNUSED_PAD src0_sel:WORD_1 src1_sel:DWORD
	v_bfe_u32 v35, v10, 18, 5
	v_lshlrev_b32_sdwa v36, v62, v10 dst_sel:DWORD dst_unused:UNUSED_PAD src0_sel:DWORD src1_sel:WORD_1
	v_ffbh_u32_e32 v33, v32
	v_cmp_eq_u32_e64 s16, 0, v35
	v_min_u32_e32 v33, 32, v33
	v_subrev_nc_u32_e32 v34, 29, v33
	v_sub_nc_u32_e32 v33, 30, v33
	v_lshlrev_b32_sdwa v34, v34, v10 dst_sel:DWORD dst_unused:UNUSED_PAD src0_sel:DWORD src1_sel:WORD_1
	v_cndmask_b32_e64 v33, v35, v33, s16
	v_and_b32_e32 v34, 3, v34
	v_lshl_add_u32 v33, v33, 23, 0x37800000
	v_cndmask_b32_e64 v32, v32, v34, s16
	v_and_b32_e32 v34, 0x80000000, v36
	v_lshlrev_b32_e32 v32, 21, v32
	v_or3_b32 v32, v34, v33, v32
.LBB6_7790:                             ;   in Loop: Header=BB6_7578 Depth=3
	s_or_b32 exec_lo, exec_lo, s23
	v_mul_f32_e32 v32, v31, v32
	v_and_b32_e32 v31, 0x7f800000, v32
	v_cmp_ne_u32_e64 s16, 0x7f800000, v31
	v_mov_b32_e32 v31, 0x80
	s_and_saveexec_b32 s23, s16
	s_cbranch_execz .LBB6_7798
; %bb.7791:                             ;   in Loop: Header=BB6_7578 Depth=3
	v_mov_b32_e32 v31, 0
	s_mov_b32 s72, exec_lo
	v_cmpx_ne_u32_e32 0, v32
	s_cbranch_execz .LBB6_7797
; %bb.7792:                             ;   in Loop: Header=BB6_7578 Depth=3
	v_bfe_u32 v31, v32, 23, 8
	v_and_b32_e32 v33, 0x7fffff, v32
	v_sub_nc_u32_e32 v34, 0x70, v31
	v_cmp_gt_u32_e64 s16, 0x71, v31
	v_or_b32_e32 v35, 0x800000, v33
	v_cndmask_b32_e64 v34, 0, v34, s16
	v_cmp_eq_u32_e64 s16, 0, v31
	v_add_nc_u32_e32 v31, 0xffffff91, v31
	v_cndmask_b32_e64 v34, v34, 0x6f, s16
	v_cndmask_b32_e64 v33, v35, v33, s16
	;; [unrolled: 1-line block ×3, first 2 shown]
	v_lshl_add_u32 v35, 0x200000, v34, -1
	v_lshrrev_b32_e32 v36, v34, v33
	v_lshlrev_b32_e64 v38, v34, 0x100000
	v_add_nc_u32_e32 v34, v34, v31
	v_and_b32_e32 v33, v35, v33
	v_bfe_u32 v37, v36, 21, 1
	v_cmp_eq_u32_e64 s17, v33, v38
	v_add_nc_u32_e32 v35, -1, v37
	v_cndmask_b32_e64 v33, 0, v35, s17
	v_lshrrev_b32_e32 v35, 23, v36
	s_mov_b32 s17, exec_lo
	v_add_nc_u32_e32 v33, v33, v36
	v_xor_b32_e32 v35, 1, v35
	v_and_b32_e32 v31, 0x1fffff, v33
	v_add_nc_u32_e32 v33, v31, v36
                                        ; implicit-def: $vgpr31
	v_cmpx_ne_u32_e64 v34, v35
	s_xor_b32 s17, exec_lo, s17
; %bb.7793:                             ;   in Loop: Header=BB6_7578 Depth=3
	v_cmp_lt_u32_e64 s16, 0xffffff, v33
	v_sub_nc_u32_e32 v31, v34, v35
	v_cndmask_b32_e64 v34, 0, 1, s16
	v_add_co_ci_u32_e64 v31, null, 0, v31, s16
	v_lshrrev_b32_e32 v33, v34, v33
; %bb.7794:                             ;   in Loop: Header=BB6_7578 Depth=3
	s_andn2_saveexec_b32 s16, s17
; %bb.7795:                             ;   in Loop: Header=BB6_7578 Depth=3
	v_bfe_u32 v31, v33, 23, 1
; %bb.7796:                             ;   in Loop: Header=BB6_7578 Depth=3
	s_or_b32 exec_lo, exec_lo, s16
	v_lshrrev_b32_e32 v33, 21, v33
	v_min_i32_e32 v34, 31, v31
	v_cmp_gt_i32_e64 s16, 32, v31
	v_and_b32_sdwa v32, v32, v60 dst_sel:DWORD dst_unused:UNUSED_PAD src0_sel:BYTE_3 src1_sel:DWORD
	v_lshlrev_b32_e32 v34, 2, v34
	v_cndmask_b32_e64 v33, 3, v33, s16
	v_and_b32_e32 v34, 0xfc, v34
	v_and_b32_e32 v35, 3, v33
	v_or_b32_e32 v31, v31, v33
	v_or3_b32 v32, v34, v32, v35
	v_cmp_ne_u32_e64 s16, 0, v31
	v_cndmask_b32_e64 v31, 0, v32, s16
.LBB6_7797:                             ;   in Loop: Header=BB6_7578 Depth=3
	s_or_b32 exec_lo, exec_lo, s72
.LBB6_7798:                             ;   in Loop: Header=BB6_7578 Depth=3
	s_or_b32 exec_lo, exec_lo, s23
	v_cmp_gt_i16_sdwa s17, v14, v59 src0_sel:BYTE_3 src1_sel:DWORD
	s_mov_b32 s16, 0
	s_and_saveexec_b32 s23, s17
	s_xor_b32 s17, exec_lo, s23
	s_cbranch_execz .LBB6_7940
; %bb.7799:                             ;   in Loop: Header=BB6_7578 Depth=3
	v_cmp_eq_u16_sdwa s72, v14, v60 src0_sel:BYTE_3 src1_sel:DWORD
	s_mov_b32 s16, -1
	s_and_saveexec_b32 s23, s72
; %bb.7800:                             ;   in Loop: Header=BB6_7578 Depth=3
	s_xor_b32 s16, exec_lo, -1
; %bb.7801:                             ;   in Loop: Header=BB6_7578 Depth=3
	s_or_b32 exec_lo, exec_lo, s23
	s_and_b32 s16, s16, exec_lo
	s_or_saveexec_b32 s17, s17
	v_mov_b32_e32 v32, 0x7f800001
	s_xor_b32 exec_lo, exec_lo, s17
	s_cbranch_execnz .LBB6_7941
.LBB6_7802:                             ;   in Loop: Header=BB6_7578 Depth=3
	s_or_b32 exec_lo, exec_lo, s17
	s_and_saveexec_b32 s17, s16
	s_cbranch_execz .LBB6_7804
.LBB6_7803:                             ;   in Loop: Header=BB6_7578 Depth=3
	v_bfe_u32 v32, v14, 24, 2
	v_bfe_u32 v35, v14, 26, 5
	v_ffbh_u32_e32 v33, v32
	v_cmp_eq_u32_e64 s16, 0, v35
	v_min_u32_e32 v33, 32, v33
	v_subrev_nc_u32_e32 v34, 29, v33
	v_sub_nc_u32_e32 v33, 30, v33
	v_lshlrev_b32_sdwa v34, v34, v14 dst_sel:DWORD dst_unused:UNUSED_PAD src0_sel:DWORD src1_sel:BYTE_3
	v_cndmask_b32_e64 v33, v35, v33, s16
	v_and_b32_e32 v14, 0x80000000, v14
	v_and_b32_e32 v34, 3, v34
	v_lshl_add_u32 v33, v33, 23, 0x37800000
	v_cndmask_b32_e64 v32, v32, v34, s16
	v_lshlrev_b32_e32 v32, 21, v32
	v_or3_b32 v32, v14, v33, v32
.LBB6_7804:                             ;   in Loop: Header=BB6_7578 Depth=3
	s_or_b32 exec_lo, exec_lo, s17
	v_cmp_gt_i16_sdwa s17, v10, v59 src0_sel:BYTE_3 src1_sel:DWORD
	s_mov_b32 s16, 0
	s_and_saveexec_b32 s23, s17
	s_xor_b32 s17, exec_lo, s23
	s_cbranch_execz .LBB6_7942
; %bb.7805:                             ;   in Loop: Header=BB6_7578 Depth=3
	v_cmp_eq_u16_sdwa s72, v10, v60 src0_sel:BYTE_3 src1_sel:DWORD
	s_mov_b32 s16, -1
	s_and_saveexec_b32 s23, s72
; %bb.7806:                             ;   in Loop: Header=BB6_7578 Depth=3
	s_xor_b32 s16, exec_lo, -1
; %bb.7807:                             ;   in Loop: Header=BB6_7578 Depth=3
	s_or_b32 exec_lo, exec_lo, s23
	s_and_b32 s16, s16, exec_lo
	s_or_saveexec_b32 s17, s17
	v_mov_b32_e32 v14, 0x7f800001
	s_xor_b32 exec_lo, exec_lo, s17
	s_cbranch_execnz .LBB6_7943
.LBB6_7808:                             ;   in Loop: Header=BB6_7578 Depth=3
	s_or_b32 exec_lo, exec_lo, s17
	s_and_saveexec_b32 s17, s16
	s_cbranch_execz .LBB6_7810
.LBB6_7809:                             ;   in Loop: Header=BB6_7578 Depth=3
	v_and_b32_sdwa v14, v10, v72 dst_sel:DWORD dst_unused:UNUSED_PAD src0_sel:BYTE_3 src1_sel:DWORD
	v_bfe_u32 v35, v10, 26, 5
	v_ffbh_u32_e32 v33, v14
	v_cmp_eq_u32_e64 s16, 0, v35
	v_min_u32_e32 v33, 32, v33
	v_subrev_nc_u32_e32 v34, 29, v33
	v_sub_nc_u32_e32 v33, 30, v33
	v_lshlrev_b32_sdwa v34, v34, v10 dst_sel:DWORD dst_unused:UNUSED_PAD src0_sel:DWORD src1_sel:BYTE_3
	v_cndmask_b32_e64 v33, v35, v33, s16
	v_and_b32_e32 v10, 0x80000000, v10
	v_and_b32_e32 v34, 3, v34
	v_lshl_add_u32 v33, v33, 23, 0x37800000
	v_cndmask_b32_e64 v14, v14, v34, s16
	v_lshlrev_b32_e32 v14, 21, v14
	v_or3_b32 v14, v10, v33, v14
.LBB6_7810:                             ;   in Loop: Header=BB6_7578 Depth=3
	s_or_b32 exec_lo, exec_lo, s17
	v_mul_f32_e32 v14, v32, v14
	v_and_b32_e32 v10, 0x7f800000, v14
	v_cmp_ne_u32_e64 s16, 0x7f800000, v10
	v_mov_b32_e32 v10, 0x8000
	s_and_saveexec_b32 s23, s16
	s_cbranch_execz .LBB6_7818
; %bb.7811:                             ;   in Loop: Header=BB6_7578 Depth=3
	v_mov_b32_e32 v10, 0
	s_mov_b32 s72, exec_lo
	v_cmpx_ne_u32_e32 0, v14
	s_cbranch_execz .LBB6_7817
; %bb.7812:                             ;   in Loop: Header=BB6_7578 Depth=3
	v_bfe_u32 v10, v14, 23, 8
	v_and_b32_e32 v32, 0x7fffff, v14
	v_sub_nc_u32_e32 v33, 0x70, v10
	v_cmp_gt_u32_e64 s16, 0x71, v10
	v_or_b32_e32 v34, 0x800000, v32
	v_cndmask_b32_e64 v33, 0, v33, s16
	v_cmp_eq_u32_e64 s16, 0, v10
	v_add_nc_u32_e32 v10, 0xffffff91, v10
	v_cndmask_b32_e64 v33, v33, 0x6f, s16
	v_cndmask_b32_e64 v32, v34, v32, s16
	;; [unrolled: 1-line block ×3, first 2 shown]
	v_lshl_add_u32 v34, 0x200000, v33, -1
	v_lshrrev_b32_e32 v35, v33, v32
	v_lshlrev_b32_e64 v37, v33, 0x100000
	v_add_nc_u32_e32 v33, v33, v10
	v_and_b32_e32 v32, v34, v32
	v_bfe_u32 v36, v35, 21, 1
	v_cmp_eq_u32_e64 s17, v32, v37
	v_add_nc_u32_e32 v34, -1, v36
	v_cndmask_b32_e64 v32, 0, v34, s17
	v_lshrrev_b32_e32 v34, 23, v35
	s_mov_b32 s17, exec_lo
	v_add_nc_u32_e32 v32, v32, v35
	v_xor_b32_e32 v34, 1, v34
	v_and_b32_e32 v10, 0x1fffff, v32
	v_add_nc_u32_e32 v32, v10, v35
                                        ; implicit-def: $vgpr10
	v_cmpx_ne_u32_e64 v33, v34
	s_xor_b32 s17, exec_lo, s17
; %bb.7813:                             ;   in Loop: Header=BB6_7578 Depth=3
	v_cmp_lt_u32_e64 s16, 0xffffff, v32
	v_sub_nc_u32_e32 v10, v33, v34
	v_cndmask_b32_e64 v33, 0, 1, s16
	v_add_co_ci_u32_e64 v10, null, 0, v10, s16
	v_lshrrev_b32_e32 v32, v33, v32
; %bb.7814:                             ;   in Loop: Header=BB6_7578 Depth=3
	s_andn2_saveexec_b32 s16, s17
; %bb.7815:                             ;   in Loop: Header=BB6_7578 Depth=3
	v_bfe_u32 v10, v32, 23, 1
; %bb.7816:                             ;   in Loop: Header=BB6_7578 Depth=3
	s_or_b32 exec_lo, exec_lo, s16
	v_lshrrev_b32_e32 v32, 21, v32
	v_min_i32_e32 v33, 31, v10
	v_cmp_gt_i32_e64 s16, 32, v10
	v_and_b32_sdwa v14, v14, v60 dst_sel:DWORD dst_unused:UNUSED_PAD src0_sel:BYTE_3 src1_sel:DWORD
	v_lshlrev_b32_e32 v33, 2, v33
	v_cndmask_b32_e64 v32, 3, v32, s16
	v_and_b32_e32 v33, 0xfc, v33
	v_and_b32_e32 v34, 3, v32
	v_or_b32_e32 v10, v10, v32
	v_or3_b32 v14, v14, v33, v34
	v_cmp_ne_u32_e64 s16, 0, v10
	v_lshlrev_b32_e32 v14, 8, v14
	v_cndmask_b32_e64 v10, 0, v14, s16
.LBB6_7817:                             ;   in Loop: Header=BB6_7578 Depth=3
	s_or_b32 exec_lo, exec_lo, s72
.LBB6_7818:                             ;   in Loop: Header=BB6_7578 Depth=3
	s_or_b32 exec_lo, exec_lo, s23
	v_cmp_gt_i16_sdwa s17, v15, v59 src0_sel:BYTE_0 src1_sel:DWORD
	s_mov_b32 s16, 0
	s_and_saveexec_b32 s23, s17
	s_xor_b32 s17, exec_lo, s23
	s_cbranch_execz .LBB6_7944
; %bb.7819:                             ;   in Loop: Header=BB6_7578 Depth=3
	v_cmp_eq_u16_sdwa s72, v15, v60 src0_sel:BYTE_0 src1_sel:DWORD
	s_mov_b32 s16, -1
	s_and_saveexec_b32 s23, s72
; %bb.7820:                             ;   in Loop: Header=BB6_7578 Depth=3
	s_xor_b32 s16, exec_lo, -1
; %bb.7821:                             ;   in Loop: Header=BB6_7578 Depth=3
	s_or_b32 exec_lo, exec_lo, s23
	s_and_b32 s16, s16, exec_lo
	s_or_saveexec_b32 s17, s17
	v_mov_b32_e32 v14, 0x7f800001
	s_xor_b32 exec_lo, exec_lo, s17
	s_cbranch_execnz .LBB6_7945
.LBB6_7822:                             ;   in Loop: Header=BB6_7578 Depth=3
	s_or_b32 exec_lo, exec_lo, s17
	s_and_saveexec_b32 s17, s16
	s_cbranch_execz .LBB6_7824
.LBB6_7823:                             ;   in Loop: Header=BB6_7578 Depth=3
	v_and_b32_e32 v14, 3, v15
	v_bfe_u32 v34, v15, 2, 5
	v_lshlrev_b32_e32 v35, 24, v15
	v_ffbh_u32_e32 v32, v14
	v_cmp_eq_u32_e64 s16, 0, v34
	v_min_u32_e32 v32, 32, v32
	v_subrev_nc_u32_e32 v33, 29, v32
	v_sub_nc_u32_e32 v32, 30, v32
	v_lshlrev_b32_e32 v33, v33, v15
	v_cndmask_b32_e64 v32, v34, v32, s16
	v_and_b32_e32 v33, 3, v33
	v_lshl_add_u32 v32, v32, 23, 0x37800000
	v_cndmask_b32_e64 v14, v14, v33, s16
	v_and_b32_e32 v33, 0x80000000, v35
	v_lshlrev_b32_e32 v14, 21, v14
	v_or3_b32 v14, v33, v32, v14
.LBB6_7824:                             ;   in Loop: Header=BB6_7578 Depth=3
	s_or_b32 exec_lo, exec_lo, s17
	v_cmp_gt_i16_sdwa s17, v11, v59 src0_sel:BYTE_0 src1_sel:DWORD
	s_mov_b32 s16, 0
	s_and_saveexec_b32 s23, s17
	s_xor_b32 s17, exec_lo, s23
	s_cbranch_execz .LBB6_7946
; %bb.7825:                             ;   in Loop: Header=BB6_7578 Depth=3
	v_cmp_eq_u16_sdwa s72, v11, v60 src0_sel:BYTE_0 src1_sel:DWORD
	s_mov_b32 s16, -1
	s_and_saveexec_b32 s23, s72
; %bb.7826:                             ;   in Loop: Header=BB6_7578 Depth=3
	s_xor_b32 s16, exec_lo, -1
; %bb.7827:                             ;   in Loop: Header=BB6_7578 Depth=3
	s_or_b32 exec_lo, exec_lo, s23
	s_and_b32 s16, s16, exec_lo
	s_or_saveexec_b32 s17, s17
	v_mov_b32_e32 v32, 0x7f800001
	s_xor_b32 exec_lo, exec_lo, s17
	s_cbranch_execnz .LBB6_7947
.LBB6_7828:                             ;   in Loop: Header=BB6_7578 Depth=3
	s_or_b32 exec_lo, exec_lo, s17
	s_and_saveexec_b32 s17, s16
	s_cbranch_execz .LBB6_7830
.LBB6_7829:                             ;   in Loop: Header=BB6_7578 Depth=3
	v_and_b32_e32 v32, 3, v11
	v_bfe_u32 v35, v11, 2, 5
	v_lshlrev_b32_e32 v36, 24, v11
	v_ffbh_u32_e32 v33, v32
	v_cmp_eq_u32_e64 s16, 0, v35
	v_min_u32_e32 v33, 32, v33
	v_subrev_nc_u32_e32 v34, 29, v33
	v_sub_nc_u32_e32 v33, 30, v33
	v_lshlrev_b32_e32 v34, v34, v11
	v_cndmask_b32_e64 v33, v35, v33, s16
	v_and_b32_e32 v34, 3, v34
	v_lshl_add_u32 v33, v33, 23, 0x37800000
	v_cndmask_b32_e64 v32, v32, v34, s16
	v_and_b32_e32 v34, 0x80000000, v36
	v_lshlrev_b32_e32 v32, 21, v32
	v_or3_b32 v32, v34, v33, v32
.LBB6_7830:                             ;   in Loop: Header=BB6_7578 Depth=3
	s_or_b32 exec_lo, exec_lo, s17
	v_mul_f32_e32 v32, v14, v32
	v_and_b32_e32 v14, 0x7f800000, v32
	v_cmp_ne_u32_e64 s16, 0x7f800000, v14
	v_mov_b32_e32 v14, 0x80
	s_and_saveexec_b32 s23, s16
	s_cbranch_execz .LBB6_7838
; %bb.7831:                             ;   in Loop: Header=BB6_7578 Depth=3
	v_mov_b32_e32 v14, 0
	s_mov_b32 s72, exec_lo
	v_cmpx_ne_u32_e32 0, v32
	s_cbranch_execz .LBB6_7837
; %bb.7832:                             ;   in Loop: Header=BB6_7578 Depth=3
	v_bfe_u32 v14, v32, 23, 8
	v_and_b32_e32 v33, 0x7fffff, v32
	v_sub_nc_u32_e32 v34, 0x70, v14
	v_cmp_gt_u32_e64 s16, 0x71, v14
	v_or_b32_e32 v35, 0x800000, v33
	v_cndmask_b32_e64 v34, 0, v34, s16
	v_cmp_eq_u32_e64 s16, 0, v14
	v_add_nc_u32_e32 v14, 0xffffff91, v14
	v_cndmask_b32_e64 v34, v34, 0x6f, s16
	v_cndmask_b32_e64 v33, v35, v33, s16
	;; [unrolled: 1-line block ×3, first 2 shown]
	v_lshl_add_u32 v35, 0x200000, v34, -1
	v_lshrrev_b32_e32 v36, v34, v33
	v_lshlrev_b32_e64 v38, v34, 0x100000
	v_add_nc_u32_e32 v34, v34, v14
	v_and_b32_e32 v33, v35, v33
	v_bfe_u32 v37, v36, 21, 1
	v_cmp_eq_u32_e64 s17, v33, v38
	v_add_nc_u32_e32 v35, -1, v37
	v_cndmask_b32_e64 v33, 0, v35, s17
	v_lshrrev_b32_e32 v35, 23, v36
	s_mov_b32 s17, exec_lo
	v_add_nc_u32_e32 v33, v33, v36
	v_xor_b32_e32 v35, 1, v35
	v_and_b32_e32 v14, 0x1fffff, v33
	v_add_nc_u32_e32 v33, v14, v36
                                        ; implicit-def: $vgpr14
	v_cmpx_ne_u32_e64 v34, v35
	s_xor_b32 s17, exec_lo, s17
; %bb.7833:                             ;   in Loop: Header=BB6_7578 Depth=3
	v_cmp_lt_u32_e64 s16, 0xffffff, v33
	v_sub_nc_u32_e32 v14, v34, v35
	v_cndmask_b32_e64 v34, 0, 1, s16
	v_add_co_ci_u32_e64 v14, null, 0, v14, s16
	v_lshrrev_b32_e32 v33, v34, v33
; %bb.7834:                             ;   in Loop: Header=BB6_7578 Depth=3
	s_andn2_saveexec_b32 s16, s17
; %bb.7835:                             ;   in Loop: Header=BB6_7578 Depth=3
	v_bfe_u32 v14, v33, 23, 1
; %bb.7836:                             ;   in Loop: Header=BB6_7578 Depth=3
	s_or_b32 exec_lo, exec_lo, s16
	v_lshrrev_b32_e32 v33, 21, v33
	v_min_i32_e32 v34, 31, v14
	v_cmp_gt_i32_e64 s16, 32, v14
	v_and_b32_sdwa v32, v32, v60 dst_sel:DWORD dst_unused:UNUSED_PAD src0_sel:BYTE_3 src1_sel:DWORD
	v_lshlrev_b32_e32 v34, 2, v34
	v_cndmask_b32_e64 v33, 3, v33, s16
	v_and_b32_e32 v34, 0xfc, v34
	v_and_b32_e32 v35, 3, v33
	v_or_b32_e32 v14, v14, v33
	v_or3_b32 v32, v34, v32, v35
	v_cmp_ne_u32_e64 s16, 0, v14
	v_cndmask_b32_e64 v14, 0, v32, s16
.LBB6_7837:                             ;   in Loop: Header=BB6_7578 Depth=3
	s_or_b32 exec_lo, exec_lo, s72
.LBB6_7838:                             ;   in Loop: Header=BB6_7578 Depth=3
	s_or_b32 exec_lo, exec_lo, s23
	v_cmp_gt_i16_sdwa s17, v15, v59 src0_sel:BYTE_1 src1_sel:DWORD
	s_mov_b32 s16, 0
	s_and_saveexec_b32 s23, s17
	s_xor_b32 s17, exec_lo, s23
	s_cbranch_execz .LBB6_7948
; %bb.7839:                             ;   in Loop: Header=BB6_7578 Depth=3
	v_cmp_eq_u16_sdwa s72, v15, v60 src0_sel:BYTE_1 src1_sel:DWORD
	s_mov_b32 s16, -1
	s_and_saveexec_b32 s23, s72
; %bb.7840:                             ;   in Loop: Header=BB6_7578 Depth=3
	s_xor_b32 s16, exec_lo, -1
; %bb.7841:                             ;   in Loop: Header=BB6_7578 Depth=3
	s_or_b32 exec_lo, exec_lo, s23
	s_and_b32 s16, s16, exec_lo
	s_or_saveexec_b32 s17, s17
	v_mov_b32_e32 v32, 0x7f800001
	s_xor_b32 exec_lo, exec_lo, s17
	s_cbranch_execnz .LBB6_7949
.LBB6_7842:                             ;   in Loop: Header=BB6_7578 Depth=3
	s_or_b32 exec_lo, exec_lo, s17
	s_and_saveexec_b32 s17, s16
	s_cbranch_execz .LBB6_7844
.LBB6_7843:                             ;   in Loop: Header=BB6_7578 Depth=3
	v_and_b32_sdwa v32, v61, v15 dst_sel:DWORD dst_unused:UNUSED_PAD src0_sel:DWORD src1_sel:BYTE_1
	v_and_b32_e32 v33, 3, v32
	v_bfe_u32 v36, v32, 2, 5
	v_ffbh_u32_e32 v34, v33
	v_cmp_eq_u32_e64 s16, 0, v36
	v_min_u32_e32 v34, 32, v34
	v_subrev_nc_u32_e32 v35, 29, v34
	v_sub_nc_u32_e32 v34, 30, v34
	v_lshlrev_b32_e32 v32, v35, v32
	v_lshlrev_b32_sdwa v35, v62, v15 dst_sel:DWORD dst_unused:UNUSED_PAD src0_sel:DWORD src1_sel:BYTE_1
	v_cndmask_b32_e64 v34, v36, v34, s16
	v_and_b32_e32 v32, 3, v32
	v_lshl_add_u32 v34, v34, 23, 0x37800000
	v_cndmask_b32_e64 v32, v33, v32, s16
	v_and_b32_e32 v33, 0x80000000, v35
	v_lshlrev_b32_e32 v32, 21, v32
	v_or3_b32 v32, v33, v34, v32
.LBB6_7844:                             ;   in Loop: Header=BB6_7578 Depth=3
	s_or_b32 exec_lo, exec_lo, s17
	v_cmp_gt_i16_sdwa s17, v11, v59 src0_sel:BYTE_1 src1_sel:DWORD
	s_mov_b32 s16, 0
	s_and_saveexec_b32 s23, s17
	s_xor_b32 s17, exec_lo, s23
	s_cbranch_execz .LBB6_7950
; %bb.7845:                             ;   in Loop: Header=BB6_7578 Depth=3
	v_cmp_eq_u16_sdwa s72, v11, v60 src0_sel:BYTE_1 src1_sel:DWORD
	s_mov_b32 s16, -1
	s_and_saveexec_b32 s23, s72
; %bb.7846:                             ;   in Loop: Header=BB6_7578 Depth=3
	s_xor_b32 s16, exec_lo, -1
; %bb.7847:                             ;   in Loop: Header=BB6_7578 Depth=3
	s_or_b32 exec_lo, exec_lo, s23
	s_and_b32 s16, s16, exec_lo
	s_or_saveexec_b32 s17, s17
	v_mov_b32_e32 v33, 0x7f800001
	s_xor_b32 exec_lo, exec_lo, s17
	s_cbranch_execnz .LBB6_7951
.LBB6_7848:                             ;   in Loop: Header=BB6_7578 Depth=3
	s_or_b32 exec_lo, exec_lo, s17
	s_and_saveexec_b32 s17, s16
	s_cbranch_execz .LBB6_7850
.LBB6_7849:                             ;   in Loop: Header=BB6_7578 Depth=3
	v_and_b32_sdwa v33, v61, v11 dst_sel:DWORD dst_unused:UNUSED_PAD src0_sel:DWORD src1_sel:BYTE_1
	v_and_b32_e32 v34, 3, v33
	v_bfe_u32 v37, v33, 2, 5
	v_ffbh_u32_e32 v35, v34
	v_cmp_eq_u32_e64 s16, 0, v37
	v_min_u32_e32 v35, 32, v35
	v_subrev_nc_u32_e32 v36, 29, v35
	v_sub_nc_u32_e32 v35, 30, v35
	v_lshlrev_b32_e32 v33, v36, v33
	v_lshlrev_b32_sdwa v36, v62, v11 dst_sel:DWORD dst_unused:UNUSED_PAD src0_sel:DWORD src1_sel:BYTE_1
	v_cndmask_b32_e64 v35, v37, v35, s16
	v_and_b32_e32 v33, 3, v33
	v_lshl_add_u32 v35, v35, 23, 0x37800000
	v_cndmask_b32_e64 v33, v34, v33, s16
	v_and_b32_e32 v34, 0x80000000, v36
	v_lshlrev_b32_e32 v33, 21, v33
	v_or3_b32 v33, v34, v35, v33
.LBB6_7850:                             ;   in Loop: Header=BB6_7578 Depth=3
	s_or_b32 exec_lo, exec_lo, s17
	v_mul_f32_e32 v33, v32, v33
	v_and_b32_e32 v32, 0x7f800000, v33
	v_cmp_ne_u32_e64 s16, 0x7f800000, v32
	v_mov_b32_e32 v32, 0x8000
	s_and_saveexec_b32 s23, s16
	s_cbranch_execz .LBB6_7858
; %bb.7851:                             ;   in Loop: Header=BB6_7578 Depth=3
	v_mov_b32_e32 v32, 0
	s_mov_b32 s72, exec_lo
	v_cmpx_ne_u32_e32 0, v33
	s_cbranch_execz .LBB6_7857
; %bb.7852:                             ;   in Loop: Header=BB6_7578 Depth=3
	v_bfe_u32 v32, v33, 23, 8
	v_and_b32_e32 v34, 0x7fffff, v33
	v_sub_nc_u32_e32 v35, 0x70, v32
	v_cmp_gt_u32_e64 s16, 0x71, v32
	v_or_b32_e32 v36, 0x800000, v34
	v_cndmask_b32_e64 v35, 0, v35, s16
	v_cmp_eq_u32_e64 s16, 0, v32
	v_add_nc_u32_e32 v32, 0xffffff91, v32
	v_cndmask_b32_e64 v35, v35, 0x6f, s16
	v_cndmask_b32_e64 v34, v36, v34, s16
	;; [unrolled: 1-line block ×3, first 2 shown]
	v_lshl_add_u32 v36, 0x200000, v35, -1
	v_lshrrev_b32_e32 v37, v35, v34
	v_lshlrev_b32_e64 v39, v35, 0x100000
	v_add_nc_u32_e32 v35, v35, v32
	v_and_b32_e32 v34, v36, v34
	v_bfe_u32 v38, v37, 21, 1
	v_cmp_eq_u32_e64 s17, v34, v39
	v_add_nc_u32_e32 v36, -1, v38
	v_cndmask_b32_e64 v34, 0, v36, s17
	v_lshrrev_b32_e32 v36, 23, v37
	s_mov_b32 s17, exec_lo
	v_add_nc_u32_e32 v34, v34, v37
	v_xor_b32_e32 v36, 1, v36
	v_and_b32_e32 v32, 0x1fffff, v34
	v_add_nc_u32_e32 v34, v32, v37
                                        ; implicit-def: $vgpr32
	v_cmpx_ne_u32_e64 v35, v36
	s_xor_b32 s17, exec_lo, s17
; %bb.7853:                             ;   in Loop: Header=BB6_7578 Depth=3
	v_cmp_lt_u32_e64 s16, 0xffffff, v34
	v_sub_nc_u32_e32 v32, v35, v36
	v_cndmask_b32_e64 v35, 0, 1, s16
	v_add_co_ci_u32_e64 v32, null, 0, v32, s16
	v_lshrrev_b32_e32 v34, v35, v34
; %bb.7854:                             ;   in Loop: Header=BB6_7578 Depth=3
	s_andn2_saveexec_b32 s16, s17
; %bb.7855:                             ;   in Loop: Header=BB6_7578 Depth=3
	v_bfe_u32 v32, v34, 23, 1
; %bb.7856:                             ;   in Loop: Header=BB6_7578 Depth=3
	s_or_b32 exec_lo, exec_lo, s16
	v_lshrrev_b32_e32 v34, 21, v34
	v_min_i32_e32 v35, 31, v32
	v_cmp_gt_i32_e64 s16, 32, v32
	v_and_b32_sdwa v33, v33, v60 dst_sel:DWORD dst_unused:UNUSED_PAD src0_sel:BYTE_3 src1_sel:DWORD
	v_lshlrev_b32_e32 v35, 2, v35
	v_cndmask_b32_e64 v34, 3, v34, s16
	v_and_b32_e32 v35, 0xfc, v35
	v_and_b32_e32 v36, 3, v34
	v_or_b32_e32 v32, v32, v34
	v_or3_b32 v33, v33, v35, v36
	v_cmp_ne_u32_e64 s16, 0, v32
	v_lshlrev_b32_e32 v33, 8, v33
	v_cndmask_b32_e64 v32, 0, v33, s16
.LBB6_7857:                             ;   in Loop: Header=BB6_7578 Depth=3
	s_or_b32 exec_lo, exec_lo, s72
.LBB6_7858:                             ;   in Loop: Header=BB6_7578 Depth=3
	s_or_b32 exec_lo, exec_lo, s23
	v_and_b32_sdwa v34, v15, v63 dst_sel:DWORD dst_unused:UNUSED_PAD src0_sel:WORD_1 src1_sel:DWORD
	s_mov_b32 s17, 0
	s_mov_b32 s23, exec_lo
	v_cmpx_lt_i16_e32 0x7f, v34
	s_xor_b32 s23, exec_lo, s23
	s_cbranch_execz .LBB6_7952
; %bb.7859:                             ;   in Loop: Header=BB6_7578 Depth=3
	s_mov_b32 s17, -1
	s_mov_b32 s72, exec_lo
	v_cmpx_eq_u16_e32 0x80, v34
; %bb.7860:                             ;   in Loop: Header=BB6_7578 Depth=3
	s_xor_b32 s17, exec_lo, -1
; %bb.7861:                             ;   in Loop: Header=BB6_7578 Depth=3
	s_or_b32 exec_lo, exec_lo, s72
	s_and_b32 s17, s17, exec_lo
                                        ; implicit-def: $vgpr34
	s_or_saveexec_b32 s23, s23
	v_mov_b32_e32 v33, 0x7f800001
	s_xor_b32 exec_lo, exec_lo, s23
	s_cbranch_execnz .LBB6_7953
.LBB6_7862:                             ;   in Loop: Header=BB6_7578 Depth=3
	s_or_b32 exec_lo, exec_lo, s23
	s_and_saveexec_b32 s23, s17
	s_cbranch_execz .LBB6_7864
.LBB6_7863:                             ;   in Loop: Header=BB6_7578 Depth=3
	v_bfe_u32 v33, v15, 16, 2
	v_bfe_u32 v36, v15, 18, 5
	v_lshlrev_b32_e32 v37, 8, v15
	v_ffbh_u32_e32 v34, v33
	v_cmp_eq_u32_e64 s16, 0, v36
	v_min_u32_e32 v34, 32, v34
	v_subrev_nc_u32_e32 v35, 29, v34
	v_sub_nc_u32_e32 v34, 30, v34
	v_lshlrev_b32_sdwa v35, v35, v15 dst_sel:DWORD dst_unused:UNUSED_PAD src0_sel:DWORD src1_sel:WORD_1
	v_cndmask_b32_e64 v34, v36, v34, s16
	v_and_b32_e32 v35, 3, v35
	v_lshl_add_u32 v34, v34, 23, 0x37800000
	v_cndmask_b32_e64 v33, v33, v35, s16
	v_and_b32_e32 v35, 0x80000000, v37
	v_lshlrev_b32_e32 v33, 21, v33
	v_or3_b32 v33, v35, v34, v33
.LBB6_7864:                             ;   in Loop: Header=BB6_7578 Depth=3
	s_or_b32 exec_lo, exec_lo, s23
	v_and_b32_sdwa v35, v11, v63 dst_sel:DWORD dst_unused:UNUSED_PAD src0_sel:WORD_1 src1_sel:DWORD
	s_mov_b32 s17, 0
	s_mov_b32 s23, exec_lo
	v_cmpx_lt_i16_e32 0x7f, v35
	s_xor_b32 s23, exec_lo, s23
	s_cbranch_execz .LBB6_7954
; %bb.7865:                             ;   in Loop: Header=BB6_7578 Depth=3
	s_mov_b32 s17, -1
	s_mov_b32 s72, exec_lo
	v_cmpx_eq_u16_e32 0x80, v35
; %bb.7866:                             ;   in Loop: Header=BB6_7578 Depth=3
	s_xor_b32 s17, exec_lo, -1
; %bb.7867:                             ;   in Loop: Header=BB6_7578 Depth=3
	s_or_b32 exec_lo, exec_lo, s72
	s_and_b32 s17, s17, exec_lo
                                        ; implicit-def: $vgpr35
	s_or_saveexec_b32 s23, s23
	v_mov_b32_e32 v34, 0x7f800001
	s_xor_b32 exec_lo, exec_lo, s23
	s_cbranch_execnz .LBB6_7955
.LBB6_7868:                             ;   in Loop: Header=BB6_7578 Depth=3
	s_or_b32 exec_lo, exec_lo, s23
	s_and_saveexec_b32 s23, s17
	s_cbranch_execz .LBB6_7870
.LBB6_7869:                             ;   in Loop: Header=BB6_7578 Depth=3
	v_and_b32_sdwa v34, v11, v72 dst_sel:DWORD dst_unused:UNUSED_PAD src0_sel:WORD_1 src1_sel:DWORD
	v_bfe_u32 v37, v11, 18, 5
	v_lshlrev_b32_sdwa v38, v62, v11 dst_sel:DWORD dst_unused:UNUSED_PAD src0_sel:DWORD src1_sel:WORD_1
	v_ffbh_u32_e32 v35, v34
	v_cmp_eq_u32_e64 s16, 0, v37
	v_min_u32_e32 v35, 32, v35
	v_subrev_nc_u32_e32 v36, 29, v35
	v_sub_nc_u32_e32 v35, 30, v35
	v_lshlrev_b32_sdwa v36, v36, v11 dst_sel:DWORD dst_unused:UNUSED_PAD src0_sel:DWORD src1_sel:WORD_1
	v_cndmask_b32_e64 v35, v37, v35, s16
	v_and_b32_e32 v36, 3, v36
	v_lshl_add_u32 v35, v35, 23, 0x37800000
	v_cndmask_b32_e64 v34, v34, v36, s16
	v_and_b32_e32 v36, 0x80000000, v38
	v_lshlrev_b32_e32 v34, 21, v34
	v_or3_b32 v34, v36, v35, v34
.LBB6_7870:                             ;   in Loop: Header=BB6_7578 Depth=3
	s_or_b32 exec_lo, exec_lo, s23
	v_mul_f32_e32 v34, v33, v34
	v_and_b32_e32 v33, 0x7f800000, v34
	v_cmp_ne_u32_e64 s16, 0x7f800000, v33
	v_mov_b32_e32 v33, 0x80
	s_and_saveexec_b32 s23, s16
	s_cbranch_execz .LBB6_7878
; %bb.7871:                             ;   in Loop: Header=BB6_7578 Depth=3
	v_mov_b32_e32 v33, 0
	s_mov_b32 s72, exec_lo
	v_cmpx_ne_u32_e32 0, v34
	s_cbranch_execz .LBB6_7877
; %bb.7872:                             ;   in Loop: Header=BB6_7578 Depth=3
	v_bfe_u32 v33, v34, 23, 8
	v_and_b32_e32 v35, 0x7fffff, v34
	v_sub_nc_u32_e32 v36, 0x70, v33
	v_cmp_gt_u32_e64 s16, 0x71, v33
	v_or_b32_e32 v37, 0x800000, v35
	v_cndmask_b32_e64 v36, 0, v36, s16
	v_cmp_eq_u32_e64 s16, 0, v33
	v_add_nc_u32_e32 v33, 0xffffff91, v33
	v_cndmask_b32_e64 v36, v36, 0x6f, s16
	v_cndmask_b32_e64 v35, v37, v35, s16
	;; [unrolled: 1-line block ×3, first 2 shown]
	v_lshl_add_u32 v37, 0x200000, v36, -1
	v_lshrrev_b32_e32 v38, v36, v35
	v_lshlrev_b32_e64 v48, v36, 0x100000
	v_add_nc_u32_e32 v36, v36, v33
	v_and_b32_e32 v35, v37, v35
	v_bfe_u32 v39, v38, 21, 1
	v_cmp_eq_u32_e64 s17, v35, v48
	v_add_nc_u32_e32 v37, -1, v39
	v_cndmask_b32_e64 v35, 0, v37, s17
	v_lshrrev_b32_e32 v37, 23, v38
	s_mov_b32 s17, exec_lo
	v_add_nc_u32_e32 v35, v35, v38
	v_xor_b32_e32 v37, 1, v37
	v_and_b32_e32 v33, 0x1fffff, v35
	v_add_nc_u32_e32 v35, v33, v38
                                        ; implicit-def: $vgpr33
	v_cmpx_ne_u32_e64 v36, v37
	s_xor_b32 s17, exec_lo, s17
; %bb.7873:                             ;   in Loop: Header=BB6_7578 Depth=3
	v_cmp_lt_u32_e64 s16, 0xffffff, v35
	v_sub_nc_u32_e32 v33, v36, v37
	v_cndmask_b32_e64 v36, 0, 1, s16
	v_add_co_ci_u32_e64 v33, null, 0, v33, s16
	v_lshrrev_b32_e32 v35, v36, v35
; %bb.7874:                             ;   in Loop: Header=BB6_7578 Depth=3
	s_andn2_saveexec_b32 s16, s17
; %bb.7875:                             ;   in Loop: Header=BB6_7578 Depth=3
	v_bfe_u32 v33, v35, 23, 1
; %bb.7876:                             ;   in Loop: Header=BB6_7578 Depth=3
	s_or_b32 exec_lo, exec_lo, s16
	v_lshrrev_b32_e32 v35, 21, v35
	v_min_i32_e32 v36, 31, v33
	v_cmp_gt_i32_e64 s16, 32, v33
	v_and_b32_sdwa v34, v34, v60 dst_sel:DWORD dst_unused:UNUSED_PAD src0_sel:BYTE_3 src1_sel:DWORD
	v_lshlrev_b32_e32 v36, 2, v36
	v_cndmask_b32_e64 v35, 3, v35, s16
	v_and_b32_e32 v36, 0xfc, v36
	v_and_b32_e32 v37, 3, v35
	v_or_b32_e32 v33, v33, v35
	v_or3_b32 v34, v36, v34, v37
	v_cmp_ne_u32_e64 s16, 0, v33
	v_cndmask_b32_e64 v33, 0, v34, s16
.LBB6_7877:                             ;   in Loop: Header=BB6_7578 Depth=3
	s_or_b32 exec_lo, exec_lo, s72
.LBB6_7878:                             ;   in Loop: Header=BB6_7578 Depth=3
	s_or_b32 exec_lo, exec_lo, s23
	v_cmp_gt_i16_sdwa s17, v15, v59 src0_sel:BYTE_3 src1_sel:DWORD
	s_mov_b32 s16, 0
	s_and_saveexec_b32 s23, s17
	s_xor_b32 s17, exec_lo, s23
	s_cbranch_execz .LBB6_7956
; %bb.7879:                             ;   in Loop: Header=BB6_7578 Depth=3
	v_cmp_eq_u16_sdwa s72, v15, v60 src0_sel:BYTE_3 src1_sel:DWORD
	s_mov_b32 s16, -1
	s_and_saveexec_b32 s23, s72
; %bb.7880:                             ;   in Loop: Header=BB6_7578 Depth=3
	s_xor_b32 s16, exec_lo, -1
; %bb.7881:                             ;   in Loop: Header=BB6_7578 Depth=3
	s_or_b32 exec_lo, exec_lo, s23
	s_and_b32 s16, s16, exec_lo
	s_or_saveexec_b32 s17, s17
	v_mov_b32_e32 v34, 0x7f800001
	s_xor_b32 exec_lo, exec_lo, s17
	s_cbranch_execnz .LBB6_7957
.LBB6_7882:                             ;   in Loop: Header=BB6_7578 Depth=3
	s_or_b32 exec_lo, exec_lo, s17
	s_and_saveexec_b32 s17, s16
	s_cbranch_execz .LBB6_7884
.LBB6_7883:                             ;   in Loop: Header=BB6_7578 Depth=3
	v_bfe_u32 v34, v15, 24, 2
	v_bfe_u32 v37, v15, 26, 5
	v_ffbh_u32_e32 v35, v34
	v_cmp_eq_u32_e64 s16, 0, v37
	v_min_u32_e32 v35, 32, v35
	v_subrev_nc_u32_e32 v36, 29, v35
	v_sub_nc_u32_e32 v35, 30, v35
	v_lshlrev_b32_sdwa v36, v36, v15 dst_sel:DWORD dst_unused:UNUSED_PAD src0_sel:DWORD src1_sel:BYTE_3
	v_cndmask_b32_e64 v35, v37, v35, s16
	v_and_b32_e32 v15, 0x80000000, v15
	v_and_b32_e32 v36, 3, v36
	v_lshl_add_u32 v35, v35, 23, 0x37800000
	v_cndmask_b32_e64 v34, v34, v36, s16
	v_lshlrev_b32_e32 v34, 21, v34
	v_or3_b32 v34, v15, v35, v34
.LBB6_7884:                             ;   in Loop: Header=BB6_7578 Depth=3
	s_or_b32 exec_lo, exec_lo, s17
	v_cmp_gt_i16_sdwa s17, v11, v59 src0_sel:BYTE_3 src1_sel:DWORD
	s_mov_b32 s16, 0
	s_and_saveexec_b32 s23, s17
	s_xor_b32 s17, exec_lo, s23
	s_cbranch_execz .LBB6_7958
; %bb.7885:                             ;   in Loop: Header=BB6_7578 Depth=3
	v_cmp_eq_u16_sdwa s72, v11, v60 src0_sel:BYTE_3 src1_sel:DWORD
	s_mov_b32 s16, -1
	s_and_saveexec_b32 s23, s72
; %bb.7886:                             ;   in Loop: Header=BB6_7578 Depth=3
	s_xor_b32 s16, exec_lo, -1
; %bb.7887:                             ;   in Loop: Header=BB6_7578 Depth=3
	s_or_b32 exec_lo, exec_lo, s23
	s_and_b32 s16, s16, exec_lo
	s_or_saveexec_b32 s17, s17
	v_mov_b32_e32 v15, 0x7f800001
	s_xor_b32 exec_lo, exec_lo, s17
	s_cbranch_execnz .LBB6_7959
.LBB6_7888:                             ;   in Loop: Header=BB6_7578 Depth=3
	s_or_b32 exec_lo, exec_lo, s17
	s_and_saveexec_b32 s17, s16
	s_cbranch_execz .LBB6_7890
.LBB6_7889:                             ;   in Loop: Header=BB6_7578 Depth=3
	v_and_b32_sdwa v15, v11, v72 dst_sel:DWORD dst_unused:UNUSED_PAD src0_sel:BYTE_3 src1_sel:DWORD
	v_bfe_u32 v37, v11, 26, 5
	v_ffbh_u32_e32 v35, v15
	v_cmp_eq_u32_e64 s16, 0, v37
	v_min_u32_e32 v35, 32, v35
	v_subrev_nc_u32_e32 v36, 29, v35
	v_sub_nc_u32_e32 v35, 30, v35
	v_lshlrev_b32_sdwa v36, v36, v11 dst_sel:DWORD dst_unused:UNUSED_PAD src0_sel:DWORD src1_sel:BYTE_3
	v_cndmask_b32_e64 v35, v37, v35, s16
	v_and_b32_e32 v11, 0x80000000, v11
	v_and_b32_e32 v36, 3, v36
	v_lshl_add_u32 v35, v35, 23, 0x37800000
	v_cndmask_b32_e64 v15, v15, v36, s16
	v_lshlrev_b32_e32 v15, 21, v15
	v_or3_b32 v15, v11, v35, v15
.LBB6_7890:                             ;   in Loop: Header=BB6_7578 Depth=3
	s_or_b32 exec_lo, exec_lo, s17
	v_mul_f32_e32 v11, v34, v15
	v_and_b32_e32 v15, 0x7f800000, v11
	v_cmp_ne_u32_e64 s16, 0x7f800000, v15
	v_mov_b32_e32 v15, 0x8000
	s_and_saveexec_b32 s23, s16
	s_cbranch_execz .LBB6_7577
; %bb.7891:                             ;   in Loop: Header=BB6_7578 Depth=3
	v_mov_b32_e32 v15, 0
	s_mov_b32 s72, exec_lo
	v_cmpx_ne_u32_e32 0, v11
	s_cbranch_execz .LBB6_7576
; %bb.7892:                             ;   in Loop: Header=BB6_7578 Depth=3
	v_bfe_u32 v15, v11, 23, 8
	v_and_b32_e32 v34, 0x7fffff, v11
	v_sub_nc_u32_e32 v35, 0x70, v15
	v_cmp_gt_u32_e64 s16, 0x71, v15
	v_or_b32_e32 v36, 0x800000, v34
	v_cndmask_b32_e64 v35, 0, v35, s16
	v_cmp_eq_u32_e64 s16, 0, v15
	v_add_nc_u32_e32 v15, 0xffffff91, v15
	v_cndmask_b32_e64 v35, v35, 0x6f, s16
	v_cndmask_b32_e64 v34, v36, v34, s16
	;; [unrolled: 1-line block ×3, first 2 shown]
	v_lshl_add_u32 v36, 0x200000, v35, -1
	v_lshrrev_b32_e32 v37, v35, v34
	v_lshlrev_b32_e64 v39, v35, 0x100000
	v_add_nc_u32_e32 v35, v35, v15
	v_and_b32_e32 v34, v36, v34
	v_bfe_u32 v38, v37, 21, 1
	v_cmp_eq_u32_e64 s17, v34, v39
	v_add_nc_u32_e32 v36, -1, v38
	v_cndmask_b32_e64 v34, 0, v36, s17
	v_lshrrev_b32_e32 v36, 23, v37
	s_mov_b32 s17, exec_lo
	v_add_nc_u32_e32 v34, v34, v37
	v_xor_b32_e32 v36, 1, v36
	v_and_b32_e32 v15, 0x1fffff, v34
	v_add_nc_u32_e32 v34, v15, v37
                                        ; implicit-def: $vgpr15
	v_cmpx_ne_u32_e64 v35, v36
	s_xor_b32 s17, exec_lo, s17
; %bb.7893:                             ;   in Loop: Header=BB6_7578 Depth=3
	v_cmp_lt_u32_e64 s16, 0xffffff, v34
	v_sub_nc_u32_e32 v15, v35, v36
	v_cndmask_b32_e64 v35, 0, 1, s16
	v_add_co_ci_u32_e64 v15, null, 0, v15, s16
	v_lshrrev_b32_e32 v34, v35, v34
; %bb.7894:                             ;   in Loop: Header=BB6_7578 Depth=3
	s_andn2_saveexec_b32 s16, s17
	s_cbranch_execz .LBB6_7575
; %bb.7895:                             ;   in Loop: Header=BB6_7578 Depth=3
	v_bfe_u32 v15, v34, 23, 1
	s_branch .LBB6_7575
.LBB6_7896:                             ;   in Loop: Header=BB6_7578 Depth=3
	s_or_saveexec_b32 s17, s17
	v_mov_b32_e32 v5, 0x7f800001
	s_xor_b32 exec_lo, exec_lo, s17
	s_cbranch_execz .LBB6_7582
.LBB6_7897:                             ;   in Loop: Header=BB6_7578 Depth=3
	v_cmp_ne_u16_sdwa s23, v12, v2 src0_sel:BYTE_0 src1_sel:DWORD
	v_mov_b32_e32 v5, 0
	s_andn2_b32 s16, s16, exec_lo
	s_and_b32 s23, s23, exec_lo
	s_or_b32 s16, s16, s23
	s_or_b32 exec_lo, exec_lo, s17
	s_and_saveexec_b32 s17, s16
	s_cbranch_execnz .LBB6_7583
	s_branch .LBB6_7584
.LBB6_7898:                             ;   in Loop: Header=BB6_7578 Depth=3
	s_or_saveexec_b32 s17, s17
	v_mov_b32_e32 v26, 0x7f800001
	s_xor_b32 exec_lo, exec_lo, s17
	s_cbranch_execz .LBB6_7588
.LBB6_7899:                             ;   in Loop: Header=BB6_7578 Depth=3
	v_cmp_ne_u16_sdwa s23, v8, v2 src0_sel:BYTE_0 src1_sel:DWORD
	v_mov_b32_e32 v26, 0
	s_andn2_b32 s16, s16, exec_lo
	s_and_b32 s23, s23, exec_lo
	s_or_b32 s16, s16, s23
	s_or_b32 exec_lo, exec_lo, s17
	s_and_saveexec_b32 s17, s16
	s_cbranch_execnz .LBB6_7589
	s_branch .LBB6_7590
.LBB6_7900:                             ;   in Loop: Header=BB6_7578 Depth=3
	s_or_saveexec_b32 s17, s17
	v_mov_b32_e32 v26, 0x7f800001
	s_xor_b32 exec_lo, exec_lo, s17
	s_cbranch_execz .LBB6_7602
.LBB6_7901:                             ;   in Loop: Header=BB6_7578 Depth=3
	v_cmp_ne_u16_sdwa s23, v12, v2 src0_sel:BYTE_1 src1_sel:DWORD
	v_mov_b32_e32 v26, 0
	s_andn2_b32 s16, s16, exec_lo
	s_and_b32 s23, s23, exec_lo
	s_or_b32 s16, s16, s23
	s_or_b32 exec_lo, exec_lo, s17
	s_and_saveexec_b32 s17, s16
	s_cbranch_execnz .LBB6_7603
	s_branch .LBB6_7604
.LBB6_7902:                             ;   in Loop: Header=BB6_7578 Depth=3
	s_or_saveexec_b32 s17, s17
	v_mov_b32_e32 v27, 0x7f800001
	s_xor_b32 exec_lo, exec_lo, s17
	s_cbranch_execz .LBB6_7608
.LBB6_7903:                             ;   in Loop: Header=BB6_7578 Depth=3
	v_cmp_ne_u16_sdwa s23, v8, v2 src0_sel:BYTE_1 src1_sel:DWORD
	v_mov_b32_e32 v27, 0
	s_andn2_b32 s16, s16, exec_lo
	s_and_b32 s23, s23, exec_lo
	s_or_b32 s16, s16, s23
	s_or_b32 exec_lo, exec_lo, s17
	s_and_saveexec_b32 s17, s16
	s_cbranch_execnz .LBB6_7609
	s_branch .LBB6_7610
.LBB6_7904:                             ;   in Loop: Header=BB6_7578 Depth=3
	s_or_saveexec_b32 s23, s23
	v_mov_b32_e32 v27, 0x7f800001
	s_xor_b32 exec_lo, exec_lo, s23
	s_cbranch_execz .LBB6_7622
.LBB6_7905:                             ;   in Loop: Header=BB6_7578 Depth=3
	v_cmp_ne_u16_e64 s16, 0, v28
	v_mov_b32_e32 v27, 0
	s_andn2_b32 s17, s17, exec_lo
	s_and_b32 s16, s16, exec_lo
	s_or_b32 s17, s17, s16
	s_or_b32 exec_lo, exec_lo, s23
	s_and_saveexec_b32 s23, s17
	s_cbranch_execnz .LBB6_7623
	s_branch .LBB6_7624
.LBB6_7906:                             ;   in Loop: Header=BB6_7578 Depth=3
	s_or_saveexec_b32 s23, s23
	v_mov_b32_e32 v28, 0x7f800001
	s_xor_b32 exec_lo, exec_lo, s23
	s_cbranch_execz .LBB6_7628
.LBB6_7907:                             ;   in Loop: Header=BB6_7578 Depth=3
	v_cmp_ne_u16_e64 s16, 0, v29
	v_mov_b32_e32 v28, 0
	s_andn2_b32 s17, s17, exec_lo
	s_and_b32 s16, s16, exec_lo
	s_or_b32 s17, s17, s16
	s_or_b32 exec_lo, exec_lo, s23
	s_and_saveexec_b32 s23, s17
	s_cbranch_execnz .LBB6_7629
	s_branch .LBB6_7630
.LBB6_7908:                             ;   in Loop: Header=BB6_7578 Depth=3
	s_or_saveexec_b32 s17, s17
	v_mov_b32_e32 v28, 0x7f800001
	s_xor_b32 exec_lo, exec_lo, s17
	s_cbranch_execz .LBB6_7642
.LBB6_7909:                             ;   in Loop: Header=BB6_7578 Depth=3
	v_cmp_ne_u16_sdwa s23, v12, v2 src0_sel:BYTE_3 src1_sel:DWORD
	v_mov_b32_e32 v28, 0
	s_andn2_b32 s16, s16, exec_lo
	s_and_b32 s23, s23, exec_lo
	s_or_b32 s16, s16, s23
	s_or_b32 exec_lo, exec_lo, s17
	s_and_saveexec_b32 s17, s16
	s_cbranch_execnz .LBB6_7643
	s_branch .LBB6_7644
.LBB6_7910:                             ;   in Loop: Header=BB6_7578 Depth=3
	s_or_saveexec_b32 s17, s17
	v_mov_b32_e32 v12, 0x7f800001
	s_xor_b32 exec_lo, exec_lo, s17
	s_cbranch_execz .LBB6_7648
.LBB6_7911:                             ;   in Loop: Header=BB6_7578 Depth=3
	v_cmp_ne_u16_sdwa s23, v8, v2 src0_sel:BYTE_3 src1_sel:DWORD
	v_mov_b32_e32 v12, 0
	s_andn2_b32 s16, s16, exec_lo
	s_and_b32 s23, s23, exec_lo
	s_or_b32 s16, s16, s23
	s_or_b32 exec_lo, exec_lo, s17
	s_and_saveexec_b32 s17, s16
	s_cbranch_execnz .LBB6_7649
	s_branch .LBB6_7650
.LBB6_7912:                             ;   in Loop: Header=BB6_7578 Depth=3
	s_or_saveexec_b32 s17, s17
	v_mov_b32_e32 v12, 0x7f800001
	s_xor_b32 exec_lo, exec_lo, s17
	s_cbranch_execz .LBB6_7662
.LBB6_7913:                             ;   in Loop: Header=BB6_7578 Depth=3
	v_cmp_ne_u16_sdwa s23, v13, v2 src0_sel:BYTE_0 src1_sel:DWORD
	v_mov_b32_e32 v12, 0
	s_andn2_b32 s16, s16, exec_lo
	s_and_b32 s23, s23, exec_lo
	s_or_b32 s16, s16, s23
	s_or_b32 exec_lo, exec_lo, s17
	s_and_saveexec_b32 s17, s16
	s_cbranch_execnz .LBB6_7663
	s_branch .LBB6_7664
.LBB6_7914:                             ;   in Loop: Header=BB6_7578 Depth=3
	s_or_saveexec_b32 s17, s17
	v_mov_b32_e32 v28, 0x7f800001
	s_xor_b32 exec_lo, exec_lo, s17
	s_cbranch_execz .LBB6_7668
.LBB6_7915:                             ;   in Loop: Header=BB6_7578 Depth=3
	v_cmp_ne_u16_sdwa s23, v9, v2 src0_sel:BYTE_0 src1_sel:DWORD
	v_mov_b32_e32 v28, 0
	s_andn2_b32 s16, s16, exec_lo
	s_and_b32 s23, s23, exec_lo
	s_or_b32 s16, s16, s23
	s_or_b32 exec_lo, exec_lo, s17
	s_and_saveexec_b32 s17, s16
	s_cbranch_execnz .LBB6_7669
	s_branch .LBB6_7670
.LBB6_7916:                             ;   in Loop: Header=BB6_7578 Depth=3
	s_or_saveexec_b32 s17, s17
	v_mov_b32_e32 v28, 0x7f800001
	s_xor_b32 exec_lo, exec_lo, s17
	s_cbranch_execz .LBB6_7682
.LBB6_7917:                             ;   in Loop: Header=BB6_7578 Depth=3
	v_cmp_ne_u16_sdwa s23, v13, v2 src0_sel:BYTE_1 src1_sel:DWORD
	v_mov_b32_e32 v28, 0
	s_andn2_b32 s16, s16, exec_lo
	s_and_b32 s23, s23, exec_lo
	s_or_b32 s16, s16, s23
	s_or_b32 exec_lo, exec_lo, s17
	s_and_saveexec_b32 s17, s16
	s_cbranch_execnz .LBB6_7683
	s_branch .LBB6_7684
.LBB6_7918:                             ;   in Loop: Header=BB6_7578 Depth=3
	s_or_saveexec_b32 s17, s17
	v_mov_b32_e32 v29, 0x7f800001
	s_xor_b32 exec_lo, exec_lo, s17
	s_cbranch_execz .LBB6_7688
.LBB6_7919:                             ;   in Loop: Header=BB6_7578 Depth=3
	v_cmp_ne_u16_sdwa s23, v9, v2 src0_sel:BYTE_1 src1_sel:DWORD
	v_mov_b32_e32 v29, 0
	s_andn2_b32 s16, s16, exec_lo
	s_and_b32 s23, s23, exec_lo
	s_or_b32 s16, s16, s23
	s_or_b32 exec_lo, exec_lo, s17
	s_and_saveexec_b32 s17, s16
	s_cbranch_execnz .LBB6_7689
	s_branch .LBB6_7690
.LBB6_7920:                             ;   in Loop: Header=BB6_7578 Depth=3
	s_or_saveexec_b32 s23, s23
	v_mov_b32_e32 v29, 0x7f800001
	s_xor_b32 exec_lo, exec_lo, s23
	s_cbranch_execz .LBB6_7702
.LBB6_7921:                             ;   in Loop: Header=BB6_7578 Depth=3
	v_cmp_ne_u16_e64 s16, 0, v30
	v_mov_b32_e32 v29, 0
	s_andn2_b32 s17, s17, exec_lo
	s_and_b32 s16, s16, exec_lo
	s_or_b32 s17, s17, s16
	s_or_b32 exec_lo, exec_lo, s23
	s_and_saveexec_b32 s23, s17
	s_cbranch_execnz .LBB6_7703
	s_branch .LBB6_7704
.LBB6_7922:                             ;   in Loop: Header=BB6_7578 Depth=3
	s_or_saveexec_b32 s23, s23
	v_mov_b32_e32 v30, 0x7f800001
	s_xor_b32 exec_lo, exec_lo, s23
	s_cbranch_execz .LBB6_7708
.LBB6_7923:                             ;   in Loop: Header=BB6_7578 Depth=3
	v_cmp_ne_u16_e64 s16, 0, v31
	v_mov_b32_e32 v30, 0
	s_andn2_b32 s17, s17, exec_lo
	s_and_b32 s16, s16, exec_lo
	s_or_b32 s17, s17, s16
	s_or_b32 exec_lo, exec_lo, s23
	s_and_saveexec_b32 s23, s17
	s_cbranch_execnz .LBB6_7709
	s_branch .LBB6_7710
.LBB6_7924:                             ;   in Loop: Header=BB6_7578 Depth=3
	s_or_saveexec_b32 s17, s17
	v_mov_b32_e32 v30, 0x7f800001
	s_xor_b32 exec_lo, exec_lo, s17
	s_cbranch_execz .LBB6_7722
.LBB6_7925:                             ;   in Loop: Header=BB6_7578 Depth=3
	v_cmp_ne_u16_sdwa s23, v13, v2 src0_sel:BYTE_3 src1_sel:DWORD
	v_mov_b32_e32 v30, 0
	s_andn2_b32 s16, s16, exec_lo
	s_and_b32 s23, s23, exec_lo
	s_or_b32 s16, s16, s23
	s_or_b32 exec_lo, exec_lo, s17
	s_and_saveexec_b32 s17, s16
	s_cbranch_execnz .LBB6_7723
	s_branch .LBB6_7724
.LBB6_7926:                             ;   in Loop: Header=BB6_7578 Depth=3
	s_or_saveexec_b32 s17, s17
	v_mov_b32_e32 v13, 0x7f800001
	s_xor_b32 exec_lo, exec_lo, s17
	s_cbranch_execz .LBB6_7728
.LBB6_7927:                             ;   in Loop: Header=BB6_7578 Depth=3
	v_cmp_ne_u16_sdwa s23, v9, v2 src0_sel:BYTE_3 src1_sel:DWORD
	v_mov_b32_e32 v13, 0
	s_andn2_b32 s16, s16, exec_lo
	s_and_b32 s23, s23, exec_lo
	s_or_b32 s16, s16, s23
	s_or_b32 exec_lo, exec_lo, s17
	s_and_saveexec_b32 s17, s16
	s_cbranch_execnz .LBB6_7729
	s_branch .LBB6_7730
.LBB6_7928:                             ;   in Loop: Header=BB6_7578 Depth=3
	s_or_saveexec_b32 s17, s17
	v_mov_b32_e32 v13, 0x7f800001
	s_xor_b32 exec_lo, exec_lo, s17
	s_cbranch_execz .LBB6_7742
.LBB6_7929:                             ;   in Loop: Header=BB6_7578 Depth=3
	v_cmp_ne_u16_sdwa s23, v14, v2 src0_sel:BYTE_0 src1_sel:DWORD
	v_mov_b32_e32 v13, 0
	s_andn2_b32 s16, s16, exec_lo
	s_and_b32 s23, s23, exec_lo
	s_or_b32 s16, s16, s23
	s_or_b32 exec_lo, exec_lo, s17
	s_and_saveexec_b32 s17, s16
	s_cbranch_execnz .LBB6_7743
	s_branch .LBB6_7744
.LBB6_7930:                             ;   in Loop: Header=BB6_7578 Depth=3
	s_or_saveexec_b32 s17, s17
	v_mov_b32_e32 v30, 0x7f800001
	s_xor_b32 exec_lo, exec_lo, s17
	s_cbranch_execz .LBB6_7748
.LBB6_7931:                             ;   in Loop: Header=BB6_7578 Depth=3
	v_cmp_ne_u16_sdwa s23, v10, v2 src0_sel:BYTE_0 src1_sel:DWORD
	v_mov_b32_e32 v30, 0
	s_andn2_b32 s16, s16, exec_lo
	s_and_b32 s23, s23, exec_lo
	s_or_b32 s16, s16, s23
	s_or_b32 exec_lo, exec_lo, s17
	s_and_saveexec_b32 s17, s16
	s_cbranch_execnz .LBB6_7749
	s_branch .LBB6_7750
.LBB6_7932:                             ;   in Loop: Header=BB6_7578 Depth=3
	s_or_saveexec_b32 s17, s17
	v_mov_b32_e32 v30, 0x7f800001
	s_xor_b32 exec_lo, exec_lo, s17
	s_cbranch_execz .LBB6_7762
.LBB6_7933:                             ;   in Loop: Header=BB6_7578 Depth=3
	v_cmp_ne_u16_sdwa s23, v14, v2 src0_sel:BYTE_1 src1_sel:DWORD
	v_mov_b32_e32 v30, 0
	s_andn2_b32 s16, s16, exec_lo
	s_and_b32 s23, s23, exec_lo
	s_or_b32 s16, s16, s23
	s_or_b32 exec_lo, exec_lo, s17
	s_and_saveexec_b32 s17, s16
	s_cbranch_execnz .LBB6_7763
	s_branch .LBB6_7764
.LBB6_7934:                             ;   in Loop: Header=BB6_7578 Depth=3
	s_or_saveexec_b32 s17, s17
	v_mov_b32_e32 v31, 0x7f800001
	s_xor_b32 exec_lo, exec_lo, s17
	s_cbranch_execz .LBB6_7768
.LBB6_7935:                             ;   in Loop: Header=BB6_7578 Depth=3
	v_cmp_ne_u16_sdwa s23, v10, v2 src0_sel:BYTE_1 src1_sel:DWORD
	v_mov_b32_e32 v31, 0
	s_andn2_b32 s16, s16, exec_lo
	s_and_b32 s23, s23, exec_lo
	s_or_b32 s16, s16, s23
	s_or_b32 exec_lo, exec_lo, s17
	s_and_saveexec_b32 s17, s16
	s_cbranch_execnz .LBB6_7769
	s_branch .LBB6_7770
.LBB6_7936:                             ;   in Loop: Header=BB6_7578 Depth=3
	s_or_saveexec_b32 s23, s23
	v_mov_b32_e32 v31, 0x7f800001
	s_xor_b32 exec_lo, exec_lo, s23
	s_cbranch_execz .LBB6_7782
.LBB6_7937:                             ;   in Loop: Header=BB6_7578 Depth=3
	v_cmp_ne_u16_e64 s16, 0, v32
	v_mov_b32_e32 v31, 0
	s_andn2_b32 s17, s17, exec_lo
	s_and_b32 s16, s16, exec_lo
	s_or_b32 s17, s17, s16
	s_or_b32 exec_lo, exec_lo, s23
	s_and_saveexec_b32 s23, s17
	s_cbranch_execnz .LBB6_7783
	s_branch .LBB6_7784
.LBB6_7938:                             ;   in Loop: Header=BB6_7578 Depth=3
	s_or_saveexec_b32 s23, s23
	v_mov_b32_e32 v32, 0x7f800001
	s_xor_b32 exec_lo, exec_lo, s23
	s_cbranch_execz .LBB6_7788
.LBB6_7939:                             ;   in Loop: Header=BB6_7578 Depth=3
	v_cmp_ne_u16_e64 s16, 0, v33
	v_mov_b32_e32 v32, 0
	s_andn2_b32 s17, s17, exec_lo
	s_and_b32 s16, s16, exec_lo
	s_or_b32 s17, s17, s16
	s_or_b32 exec_lo, exec_lo, s23
	s_and_saveexec_b32 s23, s17
	s_cbranch_execnz .LBB6_7789
	s_branch .LBB6_7790
.LBB6_7940:                             ;   in Loop: Header=BB6_7578 Depth=3
	s_or_saveexec_b32 s17, s17
	v_mov_b32_e32 v32, 0x7f800001
	s_xor_b32 exec_lo, exec_lo, s17
	s_cbranch_execz .LBB6_7802
.LBB6_7941:                             ;   in Loop: Header=BB6_7578 Depth=3
	v_cmp_ne_u16_sdwa s23, v14, v2 src0_sel:BYTE_3 src1_sel:DWORD
	v_mov_b32_e32 v32, 0
	s_andn2_b32 s16, s16, exec_lo
	s_and_b32 s23, s23, exec_lo
	s_or_b32 s16, s16, s23
	s_or_b32 exec_lo, exec_lo, s17
	s_and_saveexec_b32 s17, s16
	s_cbranch_execnz .LBB6_7803
	s_branch .LBB6_7804
.LBB6_7942:                             ;   in Loop: Header=BB6_7578 Depth=3
	s_or_saveexec_b32 s17, s17
	v_mov_b32_e32 v14, 0x7f800001
	s_xor_b32 exec_lo, exec_lo, s17
	s_cbranch_execz .LBB6_7808
.LBB6_7943:                             ;   in Loop: Header=BB6_7578 Depth=3
	v_cmp_ne_u16_sdwa s23, v10, v2 src0_sel:BYTE_3 src1_sel:DWORD
	v_mov_b32_e32 v14, 0
	s_andn2_b32 s16, s16, exec_lo
	s_and_b32 s23, s23, exec_lo
	s_or_b32 s16, s16, s23
	s_or_b32 exec_lo, exec_lo, s17
	s_and_saveexec_b32 s17, s16
	s_cbranch_execnz .LBB6_7809
	s_branch .LBB6_7810
.LBB6_7944:                             ;   in Loop: Header=BB6_7578 Depth=3
	s_or_saveexec_b32 s17, s17
	v_mov_b32_e32 v14, 0x7f800001
	s_xor_b32 exec_lo, exec_lo, s17
	s_cbranch_execz .LBB6_7822
.LBB6_7945:                             ;   in Loop: Header=BB6_7578 Depth=3
	v_cmp_ne_u16_sdwa s23, v15, v2 src0_sel:BYTE_0 src1_sel:DWORD
	v_mov_b32_e32 v14, 0
	s_andn2_b32 s16, s16, exec_lo
	s_and_b32 s23, s23, exec_lo
	s_or_b32 s16, s16, s23
	s_or_b32 exec_lo, exec_lo, s17
	s_and_saveexec_b32 s17, s16
	s_cbranch_execnz .LBB6_7823
	s_branch .LBB6_7824
.LBB6_7946:                             ;   in Loop: Header=BB6_7578 Depth=3
	s_or_saveexec_b32 s17, s17
	v_mov_b32_e32 v32, 0x7f800001
	s_xor_b32 exec_lo, exec_lo, s17
	s_cbranch_execz .LBB6_7828
.LBB6_7947:                             ;   in Loop: Header=BB6_7578 Depth=3
	v_cmp_ne_u16_sdwa s23, v11, v2 src0_sel:BYTE_0 src1_sel:DWORD
	v_mov_b32_e32 v32, 0
	s_andn2_b32 s16, s16, exec_lo
	s_and_b32 s23, s23, exec_lo
	s_or_b32 s16, s16, s23
	s_or_b32 exec_lo, exec_lo, s17
	s_and_saveexec_b32 s17, s16
	s_cbranch_execnz .LBB6_7829
	s_branch .LBB6_7830
.LBB6_7948:                             ;   in Loop: Header=BB6_7578 Depth=3
	s_or_saveexec_b32 s17, s17
	v_mov_b32_e32 v32, 0x7f800001
	s_xor_b32 exec_lo, exec_lo, s17
	s_cbranch_execz .LBB6_7842
.LBB6_7949:                             ;   in Loop: Header=BB6_7578 Depth=3
	v_cmp_ne_u16_sdwa s23, v15, v2 src0_sel:BYTE_1 src1_sel:DWORD
	v_mov_b32_e32 v32, 0
	s_andn2_b32 s16, s16, exec_lo
	s_and_b32 s23, s23, exec_lo
	s_or_b32 s16, s16, s23
	s_or_b32 exec_lo, exec_lo, s17
	s_and_saveexec_b32 s17, s16
	s_cbranch_execnz .LBB6_7843
	s_branch .LBB6_7844
.LBB6_7950:                             ;   in Loop: Header=BB6_7578 Depth=3
	s_or_saveexec_b32 s17, s17
	v_mov_b32_e32 v33, 0x7f800001
	s_xor_b32 exec_lo, exec_lo, s17
	s_cbranch_execz .LBB6_7848
.LBB6_7951:                             ;   in Loop: Header=BB6_7578 Depth=3
	v_cmp_ne_u16_sdwa s23, v11, v2 src0_sel:BYTE_1 src1_sel:DWORD
	v_mov_b32_e32 v33, 0
	s_andn2_b32 s16, s16, exec_lo
	s_and_b32 s23, s23, exec_lo
	s_or_b32 s16, s16, s23
	s_or_b32 exec_lo, exec_lo, s17
	s_and_saveexec_b32 s17, s16
	s_cbranch_execnz .LBB6_7849
	s_branch .LBB6_7850
.LBB6_7952:                             ;   in Loop: Header=BB6_7578 Depth=3
	s_or_saveexec_b32 s23, s23
	v_mov_b32_e32 v33, 0x7f800001
	s_xor_b32 exec_lo, exec_lo, s23
	s_cbranch_execz .LBB6_7862
.LBB6_7953:                             ;   in Loop: Header=BB6_7578 Depth=3
	v_cmp_ne_u16_e64 s16, 0, v34
	v_mov_b32_e32 v33, 0
	s_andn2_b32 s17, s17, exec_lo
	s_and_b32 s16, s16, exec_lo
	s_or_b32 s17, s17, s16
	s_or_b32 exec_lo, exec_lo, s23
	s_and_saveexec_b32 s23, s17
	s_cbranch_execnz .LBB6_7863
	s_branch .LBB6_7864
.LBB6_7954:                             ;   in Loop: Header=BB6_7578 Depth=3
	s_or_saveexec_b32 s23, s23
	v_mov_b32_e32 v34, 0x7f800001
	s_xor_b32 exec_lo, exec_lo, s23
	s_cbranch_execz .LBB6_7868
.LBB6_7955:                             ;   in Loop: Header=BB6_7578 Depth=3
	v_cmp_ne_u16_e64 s16, 0, v35
	v_mov_b32_e32 v34, 0
	s_andn2_b32 s17, s17, exec_lo
	s_and_b32 s16, s16, exec_lo
	s_or_b32 s17, s17, s16
	s_or_b32 exec_lo, exec_lo, s23
	s_and_saveexec_b32 s23, s17
	s_cbranch_execnz .LBB6_7869
	s_branch .LBB6_7870
.LBB6_7956:                             ;   in Loop: Header=BB6_7578 Depth=3
	s_or_saveexec_b32 s17, s17
	v_mov_b32_e32 v34, 0x7f800001
	s_xor_b32 exec_lo, exec_lo, s17
	s_cbranch_execz .LBB6_7882
.LBB6_7957:                             ;   in Loop: Header=BB6_7578 Depth=3
	v_cmp_ne_u16_sdwa s23, v15, v2 src0_sel:BYTE_3 src1_sel:DWORD
	v_mov_b32_e32 v34, 0
	s_andn2_b32 s16, s16, exec_lo
	s_and_b32 s23, s23, exec_lo
	s_or_b32 s16, s16, s23
	s_or_b32 exec_lo, exec_lo, s17
	s_and_saveexec_b32 s17, s16
	s_cbranch_execnz .LBB6_7883
	s_branch .LBB6_7884
.LBB6_7958:                             ;   in Loop: Header=BB6_7578 Depth=3
	s_or_saveexec_b32 s17, s17
	v_mov_b32_e32 v15, 0x7f800001
	s_xor_b32 exec_lo, exec_lo, s17
	s_cbranch_execz .LBB6_7888
.LBB6_7959:                             ;   in Loop: Header=BB6_7578 Depth=3
	v_cmp_ne_u16_sdwa s23, v11, v2 src0_sel:BYTE_3 src1_sel:DWORD
	v_mov_b32_e32 v15, 0
	s_andn2_b32 s16, s16, exec_lo
	s_and_b32 s23, s23, exec_lo
	s_or_b32 s16, s16, s23
	s_or_b32 exec_lo, exec_lo, s17
	s_and_saveexec_b32 s17, s16
	s_cbranch_execnz .LBB6_7889
	s_branch .LBB6_7890
.LBB6_7960:                             ;   in Loop: Header=BB6_3207 Depth=2
	s_or_b32 exec_lo, exec_lo, s22
.LBB6_7961:                             ;   in Loop: Header=BB6_3207 Depth=2
	s_or_b32 exec_lo, exec_lo, s19
	v_and_b32_e32 v9, 15, v95
	v_mov_b32_e32 v4, 0
	s_mov_b32 s17, 0
	s_mov_b32 s19, exec_lo
                                        ; implicit-def: $vgpr14
                                        ; implicit-def: $vgpr8
	v_cndmask_b32_e32 v5, v24, v9, vcc_lo
	v_cmpx_ne_u32_e32 0, v5
	s_cbranch_execz .LBB6_7963
; %bb.7962:                             ;   in Loop: Header=BB6_3207 Depth=2
	v_cmp_lt_i32_e64 s16, 0, v25
	v_sub_nc_u32_e32 v8, v24, v9
	s_mov_b32 s17, exec_lo
	v_cndmask_b32_e64 v4, 0, v47, s16
	v_cndmask_b32_e32 v8, 0, v8, vcc_lo
	v_sub_nc_u32_e32 v4, v4, v25
	v_lshl_add_u32 v14, v4, 5, v23
	v_ashrrev_i32_e32 v4, 31, v14
	v_lshrrev_b32_e32 v4, 27, v4
	v_add_nc_u32_e32 v9, v14, v4
	v_add3_u32 v4, v22, v1, v8
	v_ashrrev_i32_e32 v8, 5, v9
.LBB6_7963:                             ;   in Loop: Header=BB6_3207 Depth=2
	s_or_b32 exec_lo, exec_lo, s19
	s_and_b32 s16, s17, exec_lo
.LBB6_7964:                             ;   in Loop: Header=BB6_3207 Depth=2
	s_or_b32 exec_lo, exec_lo, s18
	s_and_saveexec_b32 s17, s16
	s_cbranch_execz .LBB6_8765
.LBB6_7965:                             ;   in Loop: Header=BB6_3207 Depth=2
	v_ashrrev_i32_e32 v1, 31, v5
	s_mov_b32 s18, exec_lo
	v_lshrrev_b32_e32 v1, 22, v1
	v_add_nc_u32_e32 v1, v5, v1
	v_ashrrev_i32_e32 v16, 10, v1
	v_sub_nc_u32_e32 v15, v16, v8
	v_cmpx_lt_i32_e32 0, v15
	s_cbranch_execz .LBB6_8737
; %bb.7966:                             ;   in Loop: Header=BB6_3207 Depth=2
	v_ashrrev_i32_e32 v1, 31, v14
	v_lshlrev_b32_e32 v8, 10, v8
	s_trap 2
	ds_read_b64 v[10:11], v0
	s_mov_b32 s19, 0
	v_lshrrev_b32_e32 v1, 27, v1
	v_add_nc_u32_e32 v1, v14, v1
	v_and_b32_e32 v1, 0xffffffe0, v1
	v_sub_nc_u32_e32 v1, v14, v1
	v_add3_u32 v1, v4, v1, v8
	s_clause 0x1
	buffer_load_dword v8, off, s[0:3], s33 offset:232
	buffer_load_dword v9, off, s[0:3], s33 offset:236
	v_ashrrev_i32_e32 v13, 31, v1
	s_waitcnt vmcnt(1)
	v_add_co_u32 v12, vcc_lo, 0x3e0, v8
	s_waitcnt vmcnt(0)
	v_add_co_ci_u32_e64 v17, null, 0, v9, vcc_lo
	v_add_co_u32 v8, vcc_lo, v1, v101
	v_add_co_ci_u32_e64 v9, null, v13, v102, vcc_lo
	s_waitcnt lgkmcnt(0)
	v_add_co_u32 v10, vcc_lo, v10, v1
	v_add_co_ci_u32_e64 v11, null, v11, v13, vcc_lo
	v_add_co_u32 v12, vcc_lo, v12, v1
	v_add_co_ci_u32_e64 v13, null, v17, v13, vcc_lo
	s_branch .LBB6_7970
.LBB6_7967:                             ;   in Loop: Header=BB6_7970 Depth=3
	s_or_b32 exec_lo, exec_lo, s16
	v_lshrrev_b32_e32 v20, 21, v20
	v_cmp_gt_i32_e32 vcc_lo, 32, v17
	v_min_i32_e32 v23, 31, v17
	v_and_b32_sdwa v18, v18, v60 dst_sel:DWORD dst_unused:UNUSED_PAD src0_sel:BYTE_3 src1_sel:DWORD
	v_cndmask_b32_e32 v20, 3, v20, vcc_lo
	v_lshlrev_b32_e32 v23, 2, v23
	v_and_b32_e32 v25, 3, v20
	v_or_b32_e32 v17, v17, v20
	v_or3_b32 v18, v23, v18, v25
	v_cmp_ne_u32_e32 vcc_lo, 0, v17
	v_cndmask_b32_e32 v17, 0, v18, vcc_lo
.LBB6_7968:                             ;   in Loop: Header=BB6_7970 Depth=3
	s_or_b32 exec_lo, exec_lo, s23
.LBB6_7969:                             ;   in Loop: Header=BB6_7970 Depth=3
	s_or_b32 exec_lo, exec_lo, s22
	v_add_co_u32 v86, vcc_lo, 0xfffffc20, v12
	v_add_co_ci_u32_e64 v87, null, -1, v13, vcc_lo
	v_sub_nc_u32_e32 v15, v15, v47
	flat_store_byte v[86:87], v1 glc slc
	v_add_co_u32 v86, vcc_lo, 0xfffffc40, v12
	v_add_co_ci_u32_e64 v87, null, -1, v13, vcc_lo
	v_add_co_u32 v116, vcc_lo, 0xfffffc60, v12
	v_add_co_ci_u32_e64 v117, null, -1, v13, vcc_lo
	;; [unrolled: 2-line block ×5, first 2 shown]
	v_add_co_u32 v20, vcc_lo, 0xfffffce0, v12
	flat_store_byte v[86:87], v21 glc slc
	flat_store_byte v[116:117], v26 glc slc
	;; [unrolled: 1-line block ×5, first 2 shown]
	v_add_co_ci_u32_e64 v21, null, -1, v13, vcc_lo
	v_add_co_u32 v25, vcc_lo, 0xfffffd00, v12
	v_add_co_ci_u32_e64 v26, null, -1, v13, vcc_lo
	v_add_co_u32 v28, vcc_lo, 0xfffffd20, v12
	v_add_co_ci_u32_e64 v29, null, -1, v13, vcc_lo
	v_add_co_u32 v31, vcc_lo, 0xfffffd40, v12
	v_add_co_ci_u32_e64 v32, null, -1, v13, vcc_lo
	v_add_co_u32 v34, vcc_lo, 0xfffffd60, v12
	v_add_co_ci_u32_e64 v35, null, -1, v13, vcc_lo
	flat_store_byte v[20:21], v38 glc slc
	flat_store_byte v[25:26], v49 glc slc
	flat_store_byte v[28:29], v52 glc slc
	flat_store_byte v[31:32], v55 glc slc
	flat_store_byte v[34:35], v84 glc slc
	v_add_co_u32 v20, vcc_lo, 0xfffffd80, v12
	v_add_co_ci_u32_e64 v21, null, -1, v13, vcc_lo
	v_add_co_u32 v25, vcc_lo, 0xfffffda0, v12
	v_add_co_ci_u32_e64 v26, null, -1, v13, vcc_lo
	v_add_co_u32 v28, vcc_lo, 0xfffffdc0, v12
	v_add_co_ci_u32_e64 v29, null, -1, v13, vcc_lo
	v_add_co_u32 v31, vcc_lo, 0xfffffde0, v12
	v_add_co_ci_u32_e64 v32, null, -1, v13, vcc_lo
	v_add_co_u32 v34, vcc_lo, 0xfffffe00, v12
	v_add_co_ci_u32_e64 v35, null, -1, v13, vcc_lo
	flat_store_byte v[20:21], v85 glc slc
	flat_store_byte v[25:26], v112 glc slc
	flat_store_byte v[28:29], v115 glc slc
	flat_store_byte v[31:32], v118 glc slc
	flat_store_byte v[34:35], v41 glc slc
	v_add_co_u32 v20, vcc_lo, 0xfffffe20, v12
	;; [unrolled: 15-line block ×4, first 2 shown]
	v_add_co_ci_u32_e64 v21, null, -1, v13, vcc_lo
	v_add_co_u32 v25, vcc_lo, 0xffffff80, v12
	v_add_co_ci_u32_e64 v26, null, -1, v13, vcc_lo
	v_add_co_u32 v28, vcc_lo, 0xffffffa0, v12
	;; [unrolled: 2-line block ×5, first 2 shown]
	v_add_co_ci_u32_e64 v9, null, 0, v9, vcc_lo
	v_add_co_u32 v10, vcc_lo, v10, v76
	flat_store_byte v[20:21], v30 glc slc
	flat_store_byte v[25:26], v27 glc slc
	;; [unrolled: 1-line block ×6, first 2 shown]
	v_add_co_ci_u32_e64 v11, null, 0, v11, vcc_lo
	v_cmp_gt_i32_e32 vcc_lo, 1, v15
	v_add_co_u32 v12, s16, v12, v76
	v_add_co_ci_u32_e64 v13, null, 0, v13, s16
	s_or_b32 s19, vcc_lo, s19
	s_andn2_b32 exec_lo, exec_lo, s19
	s_cbranch_execz .LBB6_8736
.LBB6_7970:                             ;   Parent Loop BB6_47 Depth=1
                                        ;     Parent Loop BB6_3207 Depth=2
                                        ; =>    This Inner Loop Header: Depth=3
	s_clause 0x1f
	flat_load_ubyte v109, v[8:9] slc
	flat_load_ubyte v108, v[8:9] offset:32 slc
	flat_load_ubyte v121, v[8:9] offset:64 slc
	;; [unrolled: 1-line block ×31, first 2 shown]
	s_clause 0x1f
	flat_load_ubyte v1, v[10:11] slc
	flat_load_ubyte v21, v[10:11] offset:32 slc
	flat_load_ubyte v26, v[10:11] offset:64 slc
	;; [unrolled: 1-line block ×31, first 2 shown]
	s_mov_b32 s16, 0
	s_waitcnt vmcnt(62) lgkmcnt(62)
	v_cmp_lt_i16_e32 vcc_lo, 0x7f, v109
	s_and_saveexec_b32 s22, vcc_lo
	s_xor_b32 s22, exec_lo, s22
	s_cbranch_execz .LBB6_8608
; %bb.7971:                             ;   in Loop: Header=BB6_7970 Depth=3
	s_mov_b32 s16, -1
	s_mov_b32 s23, exec_lo
	v_cmpx_eq_u16_e32 0x80, v109
; %bb.7972:                             ;   in Loop: Header=BB6_7970 Depth=3
	s_xor_b32 s16, exec_lo, -1
; %bb.7973:                             ;   in Loop: Header=BB6_7970 Depth=3
	s_or_b32 exec_lo, exec_lo, s23
	s_and_b32 s16, s16, exec_lo
	s_or_saveexec_b32 s22, s22
	v_mov_b32_e32 v86, 0x7f800001
	s_xor_b32 exec_lo, exec_lo, s22
	s_cbranch_execnz .LBB6_8609
.LBB6_7974:                             ;   in Loop: Header=BB6_7970 Depth=3
	s_or_b32 exec_lo, exec_lo, s22
	s_and_saveexec_b32 s22, s16
	s_cbranch_execz .LBB6_7976
.LBB6_7975:                             ;   in Loop: Header=BB6_7970 Depth=3
	v_and_b32_e32 v86, 0xffff, v109
	v_and_b32_e32 v87, 3, v86
	v_bfe_u32 v122, v86, 2, 5
	v_ffbh_u32_e32 v79, v87
	v_cmp_eq_u32_e32 vcc_lo, 0, v122
	v_min_u32_e32 v79, 32, v79
	v_subrev_nc_u32_e32 v90, 29, v79
	v_sub_nc_u32_e32 v79, 30, v79
	v_lshlrev_b32_e32 v86, v90, v86
	v_lshlrev_b32_e32 v90, 24, v109
	v_cndmask_b32_e32 v79, v122, v79, vcc_lo
	v_and_b32_e32 v86, 3, v86
	v_lshl_add_u32 v79, v79, 23, 0x37800000
	v_cndmask_b32_e32 v86, v87, v86, vcc_lo
	v_and_b32_e32 v87, 0x80000000, v90
	v_lshlrev_b32_e32 v86, 21, v86
	v_or3_b32 v86, v87, v79, v86
.LBB6_7976:                             ;   in Loop: Header=BB6_7970 Depth=3
	s_or_b32 exec_lo, exec_lo, s22
	s_waitcnt vmcnt(31) lgkmcnt(31)
	v_cmp_gt_i16_sdwa s16, v1, v59 src0_sel:BYTE_0 src1_sel:DWORD
	s_mov_b32 s22, 0
	s_and_saveexec_b32 s23, s16
	s_xor_b32 s16, exec_lo, s23
	s_cbranch_execz .LBB6_8610
; %bb.7977:                             ;   in Loop: Header=BB6_7970 Depth=3
	v_cmp_eq_u16_sdwa s72, v1, v60 src0_sel:BYTE_0 src1_sel:DWORD
	s_mov_b32 s22, -1
	s_and_saveexec_b32 s23, s72
; %bb.7978:                             ;   in Loop: Header=BB6_7970 Depth=3
	s_xor_b32 s22, exec_lo, -1
; %bb.7979:                             ;   in Loop: Header=BB6_7970 Depth=3
	s_or_b32 exec_lo, exec_lo, s23
	s_and_b32 s22, s22, exec_lo
	s_or_saveexec_b32 s16, s16
	v_mov_b32_e32 v87, 0x7f800001
	s_xor_b32 exec_lo, exec_lo, s16
	s_cbranch_execnz .LBB6_8611
.LBB6_7980:                             ;   in Loop: Header=BB6_7970 Depth=3
	s_or_b32 exec_lo, exec_lo, s16
	s_and_saveexec_b32 s16, s22
	s_cbranch_execz .LBB6_7982
.LBB6_7981:                             ;   in Loop: Header=BB6_7970 Depth=3
	v_and_b32_e32 v87, 3, v1
	v_lshrrev_b16 v90, 2, v1
	v_ffbh_u32_e32 v79, v87
	v_and_b32_e32 v90, 31, v90
	v_min_u32_e32 v79, 32, v79
	v_cmp_eq_u32_e32 vcc_lo, 0, v90
	v_subrev_nc_u32_e32 v109, 29, v79
	v_sub_nc_u32_e32 v79, 30, v79
	v_lshlrev_b32_e32 v109, v109, v1
	v_lshlrev_b32_e32 v1, 24, v1
	v_cndmask_b32_e32 v79, v90, v79, vcc_lo
	v_and_b32_e32 v109, 3, v109
	v_and_b32_e32 v1, 0x80000000, v1
	v_lshl_add_u32 v79, v79, 23, 0x37800000
	v_cndmask_b32_e32 v87, v87, v109, vcc_lo
	v_lshlrev_b32_e32 v87, 21, v87
	v_or3_b32 v87, v1, v79, v87
.LBB6_7982:                             ;   in Loop: Header=BB6_7970 Depth=3
	s_or_b32 exec_lo, exec_lo, s16
	v_mul_f32_e32 v109, v86, v87
	v_and_b32_e32 v1, 0x7f800000, v109
	v_cmp_ne_u32_e32 vcc_lo, 0x7f800000, v1
	v_mov_b32_e32 v1, 0x80
	s_and_saveexec_b32 s22, vcc_lo
	s_cbranch_execz .LBB6_7990
; %bb.7983:                             ;   in Loop: Header=BB6_7970 Depth=3
	v_mov_b32_e32 v1, 0
	s_mov_b32 s23, exec_lo
	v_cmpx_ne_u32_e32 0, v109
	s_cbranch_execz .LBB6_7989
; %bb.7984:                             ;   in Loop: Header=BB6_7970 Depth=3
	v_bfe_u32 v86, v109, 23, 8
	v_and_b32_e32 v1, 0x7fffff, v109
	v_cmp_gt_u32_e64 s16, 0x71, v86
	v_sub_nc_u32_e32 v87, 0x70, v86
	v_cmp_eq_u32_e32 vcc_lo, 0, v86
	v_or_b32_e32 v79, 0x800000, v1
	v_cndmask_b32_e64 v87, 0, v87, s16
	v_cndmask_b32_e32 v1, v79, v1, vcc_lo
	v_cndmask_b32_e64 v87, v87, 0x6f, vcc_lo
	v_lshl_add_u32 v79, 0x200000, v87, -1
	v_lshlrev_b32_e64 v90, v87, 0x100000
	v_and_b32_e32 v79, v79, v1
	v_cmp_eq_u32_e64 s16, v79, v90
	v_lshrrev_b32_e32 v79, v87, v1
	v_add_nc_u32_e32 v1, 0xffffff91, v86
                                        ; implicit-def: $vgpr90
	v_lshrrev_b32_e32 v86, 23, v79
	v_cndmask_b32_e64 v1, v1, 0xffffff92, vcc_lo
	v_xor_b32_e32 v86, 1, v86
	v_add_nc_u32_e32 v1, v87, v1
	v_bfe_u32 v87, v79, 21, 1
	v_add_nc_u32_e32 v87, -1, v87
	v_cndmask_b32_e64 v87, 0, v87, s16
	s_mov_b32 s16, exec_lo
	v_add_nc_u32_e32 v87, v87, v79
	v_and_b32_e32 v87, 0x1fffff, v87
	v_add_nc_u32_e32 v87, v87, v79
	v_cmpx_ne_u32_e64 v1, v86
	s_xor_b32 s16, exec_lo, s16
; %bb.7985:                             ;   in Loop: Header=BB6_7970 Depth=3
	v_cmp_lt_u32_e32 vcc_lo, 0xffffff, v87
	v_sub_nc_u32_e32 v1, v1, v86
	v_cndmask_b32_e64 v86, 0, 1, vcc_lo
	v_add_co_ci_u32_e64 v90, null, 0, v1, vcc_lo
	v_lshrrev_b32_e32 v87, v86, v87
; %bb.7986:                             ;   in Loop: Header=BB6_7970 Depth=3
	s_andn2_saveexec_b32 s16, s16
; %bb.7987:                             ;   in Loop: Header=BB6_7970 Depth=3
	v_bfe_u32 v90, v87, 23, 1
; %bb.7988:                             ;   in Loop: Header=BB6_7970 Depth=3
	s_or_b32 exec_lo, exec_lo, s16
	v_lshrrev_b32_e32 v86, 21, v87
	v_cmp_gt_i32_e32 vcc_lo, 32, v90
	v_min_i32_e32 v87, 31, v90
	v_and_b32_sdwa v1, v109, v60 dst_sel:DWORD dst_unused:UNUSED_PAD src0_sel:BYTE_3 src1_sel:DWORD
	v_cndmask_b32_e32 v86, 3, v86, vcc_lo
	v_lshlrev_b32_e32 v87, 2, v87
	v_or_b32_e32 v79, v90, v86
	v_and_b32_e32 v86, 3, v86
	v_cmp_ne_u32_e32 vcc_lo, 0, v79
	v_or3_b32 v1, v87, v1, v86
	v_cndmask_b32_e32 v1, 0, v1, vcc_lo
.LBB6_7989:                             ;   in Loop: Header=BB6_7970 Depth=3
	s_or_b32 exec_lo, exec_lo, s23
.LBB6_7990:                             ;   in Loop: Header=BB6_7970 Depth=3
	s_or_b32 exec_lo, exec_lo, s22
	v_cmp_gt_i16_sdwa s22, v108, v59 src0_sel:BYTE_0 src1_sel:DWORD
	s_mov_b32 s16, 0
	s_and_saveexec_b32 s23, s22
	s_xor_b32 s22, exec_lo, s23
	s_cbranch_execz .LBB6_8612
; %bb.7991:                             ;   in Loop: Header=BB6_7970 Depth=3
	v_cmp_eq_u16_sdwa s72, v108, v60 src0_sel:BYTE_0 src1_sel:DWORD
	s_mov_b32 s16, -1
	s_and_saveexec_b32 s23, s72
; %bb.7992:                             ;   in Loop: Header=BB6_7970 Depth=3
	s_xor_b32 s16, exec_lo, -1
; %bb.7993:                             ;   in Loop: Header=BB6_7970 Depth=3
	s_or_b32 exec_lo, exec_lo, s23
	s_and_b32 s16, s16, exec_lo
	s_or_saveexec_b32 s22, s22
	v_mov_b32_e32 v86, 0x7f800001
	s_xor_b32 exec_lo, exec_lo, s22
	s_cbranch_execnz .LBB6_8613
.LBB6_7994:                             ;   in Loop: Header=BB6_7970 Depth=3
	s_or_b32 exec_lo, exec_lo, s22
	s_and_saveexec_b32 s22, s16
	s_cbranch_execz .LBB6_7996
.LBB6_7995:                             ;   in Loop: Header=BB6_7970 Depth=3
	v_and_b32_e32 v86, 3, v108
	v_lshrrev_b16 v79, 2, v108
	v_ffbh_u32_e32 v87, v86
	v_and_b32_e32 v79, 31, v79
	v_min_u32_e32 v87, 32, v87
	v_cmp_eq_u32_e32 vcc_lo, 0, v79
	v_subrev_nc_u32_e32 v90, 29, v87
	v_sub_nc_u32_e32 v87, 30, v87
	v_lshlrev_b32_e32 v90, v90, v108
	v_lshlrev_b32_e32 v108, 24, v108
	v_cndmask_b32_e32 v87, v79, v87, vcc_lo
	v_and_b32_e32 v90, 3, v90
	v_and_b32_e32 v79, 0x80000000, v108
	v_lshl_add_u32 v87, v87, 23, 0x37800000
	v_cndmask_b32_e32 v86, v86, v90, vcc_lo
	v_lshlrev_b32_e32 v86, 21, v86
	v_or3_b32 v86, v79, v87, v86
.LBB6_7996:                             ;   in Loop: Header=BB6_7970 Depth=3
	s_or_b32 exec_lo, exec_lo, s22
	s_waitcnt vmcnt(30) lgkmcnt(30)
	v_cmp_gt_i16_sdwa s22, v21, v59 src0_sel:BYTE_0 src1_sel:DWORD
	s_mov_b32 s16, 0
	s_and_saveexec_b32 s23, s22
	s_xor_b32 s22, exec_lo, s23
	s_cbranch_execz .LBB6_8614
; %bb.7997:                             ;   in Loop: Header=BB6_7970 Depth=3
	v_cmp_eq_u16_sdwa s72, v21, v60 src0_sel:BYTE_0 src1_sel:DWORD
	s_mov_b32 s16, -1
	s_and_saveexec_b32 s23, s72
; %bb.7998:                             ;   in Loop: Header=BB6_7970 Depth=3
	s_xor_b32 s16, exec_lo, -1
; %bb.7999:                             ;   in Loop: Header=BB6_7970 Depth=3
	s_or_b32 exec_lo, exec_lo, s23
	s_and_b32 s16, s16, exec_lo
	s_or_saveexec_b32 s22, s22
	v_mov_b32_e32 v87, 0x7f800001
	s_xor_b32 exec_lo, exec_lo, s22
	s_cbranch_execnz .LBB6_8615
.LBB6_8000:                             ;   in Loop: Header=BB6_7970 Depth=3
	s_or_b32 exec_lo, exec_lo, s22
	s_and_saveexec_b32 s22, s16
	s_cbranch_execz .LBB6_8002
.LBB6_8001:                             ;   in Loop: Header=BB6_7970 Depth=3
	v_and_b32_e32 v87, 3, v21
	v_lshrrev_b16 v90, 2, v21
	v_ffbh_u32_e32 v79, v87
	v_and_b32_e32 v90, 31, v90
	v_min_u32_e32 v79, 32, v79
	v_cmp_eq_u32_e32 vcc_lo, 0, v90
	v_subrev_nc_u32_e32 v108, 29, v79
	v_sub_nc_u32_e32 v79, 30, v79
	v_lshlrev_b32_e32 v108, v108, v21
	v_lshlrev_b32_e32 v21, 24, v21
	v_cndmask_b32_e32 v79, v90, v79, vcc_lo
	v_and_b32_e32 v108, 3, v108
	v_and_b32_e32 v21, 0x80000000, v21
	v_lshl_add_u32 v79, v79, 23, 0x37800000
	v_cndmask_b32_e32 v87, v87, v108, vcc_lo
	v_lshlrev_b32_e32 v87, 21, v87
	v_or3_b32 v87, v21, v79, v87
.LBB6_8002:                             ;   in Loop: Header=BB6_7970 Depth=3
	s_or_b32 exec_lo, exec_lo, s22
	v_mul_f32_e32 v108, v86, v87
	v_and_b32_e32 v21, 0x7f800000, v108
	v_cmp_ne_u32_e32 vcc_lo, 0x7f800000, v21
	v_mov_b32_e32 v21, 0x80
	s_and_saveexec_b32 s22, vcc_lo
	s_cbranch_execz .LBB6_8010
; %bb.8003:                             ;   in Loop: Header=BB6_7970 Depth=3
	v_mov_b32_e32 v21, 0
	s_mov_b32 s23, exec_lo
	v_cmpx_ne_u32_e32 0, v108
	s_cbranch_execz .LBB6_8009
; %bb.8004:                             ;   in Loop: Header=BB6_7970 Depth=3
	v_bfe_u32 v86, v108, 23, 8
	v_and_b32_e32 v21, 0x7fffff, v108
	v_cmp_gt_u32_e64 s16, 0x71, v86
	v_sub_nc_u32_e32 v87, 0x70, v86
	v_cmp_eq_u32_e32 vcc_lo, 0, v86
	v_or_b32_e32 v79, 0x800000, v21
	v_cndmask_b32_e64 v87, 0, v87, s16
	v_cndmask_b32_e32 v21, v79, v21, vcc_lo
	v_cndmask_b32_e64 v87, v87, 0x6f, vcc_lo
	v_lshl_add_u32 v79, 0x200000, v87, -1
	v_lshlrev_b32_e64 v90, v87, 0x100000
	v_and_b32_e32 v79, v79, v21
	v_cmp_eq_u32_e64 s16, v79, v90
	v_lshrrev_b32_e32 v79, v87, v21
	v_add_nc_u32_e32 v21, 0xffffff91, v86
                                        ; implicit-def: $vgpr90
	v_lshrrev_b32_e32 v86, 23, v79
	v_cndmask_b32_e64 v21, v21, 0xffffff92, vcc_lo
	v_xor_b32_e32 v86, 1, v86
	v_add_nc_u32_e32 v21, v87, v21
	v_bfe_u32 v87, v79, 21, 1
	v_add_nc_u32_e32 v87, -1, v87
	v_cndmask_b32_e64 v87, 0, v87, s16
	s_mov_b32 s16, exec_lo
	v_add_nc_u32_e32 v87, v87, v79
	v_and_b32_e32 v87, 0x1fffff, v87
	v_add_nc_u32_e32 v87, v87, v79
	v_cmpx_ne_u32_e64 v21, v86
	s_xor_b32 s16, exec_lo, s16
; %bb.8005:                             ;   in Loop: Header=BB6_7970 Depth=3
	v_cmp_lt_u32_e32 vcc_lo, 0xffffff, v87
	v_sub_nc_u32_e32 v21, v21, v86
	v_cndmask_b32_e64 v86, 0, 1, vcc_lo
	v_add_co_ci_u32_e64 v90, null, 0, v21, vcc_lo
	v_lshrrev_b32_e32 v87, v86, v87
; %bb.8006:                             ;   in Loop: Header=BB6_7970 Depth=3
	s_andn2_saveexec_b32 s16, s16
; %bb.8007:                             ;   in Loop: Header=BB6_7970 Depth=3
	v_bfe_u32 v90, v87, 23, 1
; %bb.8008:                             ;   in Loop: Header=BB6_7970 Depth=3
	s_or_b32 exec_lo, exec_lo, s16
	v_lshrrev_b32_e32 v86, 21, v87
	v_cmp_gt_i32_e32 vcc_lo, 32, v90
	v_min_i32_e32 v87, 31, v90
	v_and_b32_sdwa v21, v108, v60 dst_sel:DWORD dst_unused:UNUSED_PAD src0_sel:BYTE_3 src1_sel:DWORD
	v_cndmask_b32_e32 v86, 3, v86, vcc_lo
	v_lshlrev_b32_e32 v87, 2, v87
	v_or_b32_e32 v79, v90, v86
	v_and_b32_e32 v86, 3, v86
	v_cmp_ne_u32_e32 vcc_lo, 0, v79
	v_or3_b32 v21, v87, v21, v86
	v_cndmask_b32_e32 v21, 0, v21, vcc_lo
.LBB6_8009:                             ;   in Loop: Header=BB6_7970 Depth=3
	s_or_b32 exec_lo, exec_lo, s23
.LBB6_8010:                             ;   in Loop: Header=BB6_7970 Depth=3
	s_or_b32 exec_lo, exec_lo, s22
	v_cmp_gt_i16_sdwa s22, v121, v59 src0_sel:BYTE_0 src1_sel:DWORD
	s_mov_b32 s16, 0
	s_and_saveexec_b32 s23, s22
	s_xor_b32 s22, exec_lo, s23
	s_cbranch_execz .LBB6_8616
; %bb.8011:                             ;   in Loop: Header=BB6_7970 Depth=3
	v_cmp_eq_u16_sdwa s72, v121, v60 src0_sel:BYTE_0 src1_sel:DWORD
	s_mov_b32 s16, -1
	s_and_saveexec_b32 s23, s72
; %bb.8012:                             ;   in Loop: Header=BB6_7970 Depth=3
	s_xor_b32 s16, exec_lo, -1
; %bb.8013:                             ;   in Loop: Header=BB6_7970 Depth=3
	s_or_b32 exec_lo, exec_lo, s23
	s_and_b32 s16, s16, exec_lo
	s_or_saveexec_b32 s22, s22
	v_mov_b32_e32 v86, 0x7f800001
	s_xor_b32 exec_lo, exec_lo, s22
	s_cbranch_execnz .LBB6_8617
.LBB6_8014:                             ;   in Loop: Header=BB6_7970 Depth=3
	s_or_b32 exec_lo, exec_lo, s22
	s_and_saveexec_b32 s22, s16
	s_cbranch_execz .LBB6_8016
.LBB6_8015:                             ;   in Loop: Header=BB6_7970 Depth=3
	v_and_b32_e32 v86, 3, v121
	v_lshrrev_b16 v79, 2, v121
	v_lshlrev_b32_e32 v108, 24, v121
	v_ffbh_u32_e32 v87, v86
	v_and_b32_e32 v79, 31, v79
	v_min_u32_e32 v87, 32, v87
	v_cmp_eq_u32_e32 vcc_lo, 0, v79
	v_subrev_nc_u32_e32 v90, 29, v87
	v_sub_nc_u32_e32 v87, 30, v87
	v_lshlrev_b32_e32 v90, v90, v121
	v_cndmask_b32_e32 v87, v79, v87, vcc_lo
	v_and_b32_e32 v79, 0x80000000, v108
	v_and_b32_e32 v90, 3, v90
	v_lshl_add_u32 v87, v87, 23, 0x37800000
	v_cndmask_b32_e32 v86, v86, v90, vcc_lo
	v_lshlrev_b32_e32 v86, 21, v86
	v_or3_b32 v86, v79, v87, v86
.LBB6_8016:                             ;   in Loop: Header=BB6_7970 Depth=3
	s_or_b32 exec_lo, exec_lo, s22
	s_waitcnt vmcnt(29) lgkmcnt(29)
	v_cmp_gt_i16_sdwa s22, v26, v59 src0_sel:BYTE_0 src1_sel:DWORD
	s_mov_b32 s16, 0
	s_and_saveexec_b32 s23, s22
	s_xor_b32 s22, exec_lo, s23
	s_cbranch_execz .LBB6_8618
; %bb.8017:                             ;   in Loop: Header=BB6_7970 Depth=3
	v_cmp_eq_u16_sdwa s72, v26, v60 src0_sel:BYTE_0 src1_sel:DWORD
	s_mov_b32 s16, -1
	s_and_saveexec_b32 s23, s72
; %bb.8018:                             ;   in Loop: Header=BB6_7970 Depth=3
	s_xor_b32 s16, exec_lo, -1
; %bb.8019:                             ;   in Loop: Header=BB6_7970 Depth=3
	s_or_b32 exec_lo, exec_lo, s23
	s_and_b32 s16, s16, exec_lo
	s_or_saveexec_b32 s22, s22
	v_mov_b32_e32 v87, 0x7f800001
	s_xor_b32 exec_lo, exec_lo, s22
	s_cbranch_execnz .LBB6_8619
.LBB6_8020:                             ;   in Loop: Header=BB6_7970 Depth=3
	s_or_b32 exec_lo, exec_lo, s22
	s_and_saveexec_b32 s22, s16
	s_cbranch_execz .LBB6_8022
.LBB6_8021:                             ;   in Loop: Header=BB6_7970 Depth=3
	v_and_b32_e32 v87, 3, v26
	v_lshrrev_b16 v90, 2, v26
	v_ffbh_u32_e32 v79, v87
	v_and_b32_e32 v90, 31, v90
	v_min_u32_e32 v79, 32, v79
	v_cmp_eq_u32_e32 vcc_lo, 0, v90
	v_subrev_nc_u32_e32 v108, 29, v79
	v_sub_nc_u32_e32 v79, 30, v79
	v_lshlrev_b32_e32 v108, v108, v26
	v_lshlrev_b32_e32 v26, 24, v26
	v_cndmask_b32_e32 v79, v90, v79, vcc_lo
	v_and_b32_e32 v108, 3, v108
	v_and_b32_e32 v26, 0x80000000, v26
	v_lshl_add_u32 v79, v79, 23, 0x37800000
	v_cndmask_b32_e32 v87, v87, v108, vcc_lo
	v_lshlrev_b32_e32 v87, 21, v87
	v_or3_b32 v87, v26, v79, v87
.LBB6_8022:                             ;   in Loop: Header=BB6_7970 Depth=3
	s_or_b32 exec_lo, exec_lo, s22
	v_mul_f32_e32 v108, v86, v87
	v_and_b32_e32 v26, 0x7f800000, v108
	v_cmp_ne_u32_e32 vcc_lo, 0x7f800000, v26
	v_mov_b32_e32 v26, 0x80
	s_and_saveexec_b32 s22, vcc_lo
	s_cbranch_execz .LBB6_8030
; %bb.8023:                             ;   in Loop: Header=BB6_7970 Depth=3
	v_mov_b32_e32 v26, 0
	s_mov_b32 s23, exec_lo
	v_cmpx_ne_u32_e32 0, v108
	s_cbranch_execz .LBB6_8029
; %bb.8024:                             ;   in Loop: Header=BB6_7970 Depth=3
	v_bfe_u32 v86, v108, 23, 8
	v_and_b32_e32 v26, 0x7fffff, v108
	v_cmp_gt_u32_e64 s16, 0x71, v86
	v_sub_nc_u32_e32 v87, 0x70, v86
	v_cmp_eq_u32_e32 vcc_lo, 0, v86
	v_or_b32_e32 v79, 0x800000, v26
	v_cndmask_b32_e64 v87, 0, v87, s16
	v_cndmask_b32_e32 v26, v79, v26, vcc_lo
	v_cndmask_b32_e64 v87, v87, 0x6f, vcc_lo
	v_lshl_add_u32 v79, 0x200000, v87, -1
	v_lshlrev_b32_e64 v90, v87, 0x100000
	v_and_b32_e32 v79, v79, v26
	v_cmp_eq_u32_e64 s16, v79, v90
	v_lshrrev_b32_e32 v79, v87, v26
	v_add_nc_u32_e32 v26, 0xffffff91, v86
                                        ; implicit-def: $vgpr90
	v_lshrrev_b32_e32 v86, 23, v79
	v_cndmask_b32_e64 v26, v26, 0xffffff92, vcc_lo
	v_xor_b32_e32 v86, 1, v86
	v_add_nc_u32_e32 v26, v87, v26
	v_bfe_u32 v87, v79, 21, 1
	v_add_nc_u32_e32 v87, -1, v87
	v_cndmask_b32_e64 v87, 0, v87, s16
	s_mov_b32 s16, exec_lo
	v_add_nc_u32_e32 v87, v87, v79
	v_and_b32_e32 v87, 0x1fffff, v87
	v_add_nc_u32_e32 v87, v87, v79
	v_cmpx_ne_u32_e64 v26, v86
	s_xor_b32 s16, exec_lo, s16
; %bb.8025:                             ;   in Loop: Header=BB6_7970 Depth=3
	v_cmp_lt_u32_e32 vcc_lo, 0xffffff, v87
	v_sub_nc_u32_e32 v26, v26, v86
	v_cndmask_b32_e64 v86, 0, 1, vcc_lo
	v_add_co_ci_u32_e64 v90, null, 0, v26, vcc_lo
	v_lshrrev_b32_e32 v87, v86, v87
; %bb.8026:                             ;   in Loop: Header=BB6_7970 Depth=3
	s_andn2_saveexec_b32 s16, s16
; %bb.8027:                             ;   in Loop: Header=BB6_7970 Depth=3
	v_bfe_u32 v90, v87, 23, 1
; %bb.8028:                             ;   in Loop: Header=BB6_7970 Depth=3
	s_or_b32 exec_lo, exec_lo, s16
	v_lshrrev_b32_e32 v86, 21, v87
	v_cmp_gt_i32_e32 vcc_lo, 32, v90
	v_min_i32_e32 v87, 31, v90
	v_and_b32_sdwa v26, v108, v60 dst_sel:DWORD dst_unused:UNUSED_PAD src0_sel:BYTE_3 src1_sel:DWORD
	v_cndmask_b32_e32 v86, 3, v86, vcc_lo
	v_lshlrev_b32_e32 v87, 2, v87
	v_or_b32_e32 v79, v90, v86
	v_and_b32_e32 v86, 3, v86
	v_cmp_ne_u32_e32 vcc_lo, 0, v79
	v_or3_b32 v26, v87, v26, v86
	v_cndmask_b32_e32 v26, 0, v26, vcc_lo
.LBB6_8029:                             ;   in Loop: Header=BB6_7970 Depth=3
	s_or_b32 exec_lo, exec_lo, s23
.LBB6_8030:                             ;   in Loop: Header=BB6_7970 Depth=3
	s_or_b32 exec_lo, exec_lo, s22
	v_cmp_gt_i16_sdwa s22, v120, v59 src0_sel:BYTE_0 src1_sel:DWORD
	s_mov_b32 s16, 0
	s_and_saveexec_b32 s23, s22
	s_xor_b32 s22, exec_lo, s23
	s_cbranch_execz .LBB6_8620
; %bb.8031:                             ;   in Loop: Header=BB6_7970 Depth=3
	v_cmp_eq_u16_sdwa s72, v120, v60 src0_sel:BYTE_0 src1_sel:DWORD
	s_mov_b32 s16, -1
	s_and_saveexec_b32 s23, s72
; %bb.8032:                             ;   in Loop: Header=BB6_7970 Depth=3
	s_xor_b32 s16, exec_lo, -1
; %bb.8033:                             ;   in Loop: Header=BB6_7970 Depth=3
	s_or_b32 exec_lo, exec_lo, s23
	s_and_b32 s16, s16, exec_lo
	s_or_saveexec_b32 s22, s22
	v_mov_b32_e32 v86, 0x7f800001
	s_xor_b32 exec_lo, exec_lo, s22
	s_cbranch_execnz .LBB6_8621
.LBB6_8034:                             ;   in Loop: Header=BB6_7970 Depth=3
	s_or_b32 exec_lo, exec_lo, s22
	s_and_saveexec_b32 s22, s16
	s_cbranch_execz .LBB6_8036
.LBB6_8035:                             ;   in Loop: Header=BB6_7970 Depth=3
	v_and_b32_e32 v86, 3, v120
	v_lshrrev_b16 v79, 2, v120
	v_lshlrev_b32_e32 v108, 24, v120
	v_ffbh_u32_e32 v87, v86
	v_and_b32_e32 v79, 31, v79
	v_min_u32_e32 v87, 32, v87
	v_cmp_eq_u32_e32 vcc_lo, 0, v79
	v_subrev_nc_u32_e32 v90, 29, v87
	v_sub_nc_u32_e32 v87, 30, v87
	v_lshlrev_b32_e32 v90, v90, v120
	v_cndmask_b32_e32 v87, v79, v87, vcc_lo
	v_and_b32_e32 v79, 0x80000000, v108
	v_and_b32_e32 v90, 3, v90
	v_lshl_add_u32 v87, v87, 23, 0x37800000
	v_cndmask_b32_e32 v86, v86, v90, vcc_lo
	v_lshlrev_b32_e32 v86, 21, v86
	v_or3_b32 v86, v79, v87, v86
.LBB6_8036:                             ;   in Loop: Header=BB6_7970 Depth=3
	s_or_b32 exec_lo, exec_lo, s22
	s_waitcnt vmcnt(28) lgkmcnt(28)
	v_cmp_gt_i16_sdwa s22, v29, v59 src0_sel:BYTE_0 src1_sel:DWORD
	s_mov_b32 s16, 0
	s_and_saveexec_b32 s23, s22
	s_xor_b32 s22, exec_lo, s23
	s_cbranch_execz .LBB6_8622
; %bb.8037:                             ;   in Loop: Header=BB6_7970 Depth=3
	v_cmp_eq_u16_sdwa s72, v29, v60 src0_sel:BYTE_0 src1_sel:DWORD
	s_mov_b32 s16, -1
	s_and_saveexec_b32 s23, s72
; %bb.8038:                             ;   in Loop: Header=BB6_7970 Depth=3
	s_xor_b32 s16, exec_lo, -1
; %bb.8039:                             ;   in Loop: Header=BB6_7970 Depth=3
	s_or_b32 exec_lo, exec_lo, s23
	s_and_b32 s16, s16, exec_lo
	s_or_saveexec_b32 s22, s22
	v_mov_b32_e32 v87, 0x7f800001
	s_xor_b32 exec_lo, exec_lo, s22
	s_cbranch_execnz .LBB6_8623
.LBB6_8040:                             ;   in Loop: Header=BB6_7970 Depth=3
	s_or_b32 exec_lo, exec_lo, s22
	s_and_saveexec_b32 s22, s16
	s_cbranch_execz .LBB6_8042
.LBB6_8041:                             ;   in Loop: Header=BB6_7970 Depth=3
	v_and_b32_e32 v87, 3, v29
	v_lshrrev_b16 v90, 2, v29
	v_ffbh_u32_e32 v79, v87
	v_and_b32_e32 v90, 31, v90
	v_min_u32_e32 v79, 32, v79
	v_cmp_eq_u32_e32 vcc_lo, 0, v90
	v_subrev_nc_u32_e32 v108, 29, v79
	v_sub_nc_u32_e32 v79, 30, v79
	v_lshlrev_b32_e32 v108, v108, v29
	v_lshlrev_b32_e32 v29, 24, v29
	v_cndmask_b32_e32 v79, v90, v79, vcc_lo
	v_and_b32_e32 v108, 3, v108
	v_and_b32_e32 v29, 0x80000000, v29
	v_lshl_add_u32 v79, v79, 23, 0x37800000
	v_cndmask_b32_e32 v87, v87, v108, vcc_lo
	v_lshlrev_b32_e32 v87, 21, v87
	v_or3_b32 v87, v29, v79, v87
.LBB6_8042:                             ;   in Loop: Header=BB6_7970 Depth=3
	s_or_b32 exec_lo, exec_lo, s22
	v_mul_f32_e32 v108, v86, v87
	v_and_b32_e32 v29, 0x7f800000, v108
	v_cmp_ne_u32_e32 vcc_lo, 0x7f800000, v29
	v_mov_b32_e32 v29, 0x80
	s_and_saveexec_b32 s22, vcc_lo
	s_cbranch_execz .LBB6_8050
; %bb.8043:                             ;   in Loop: Header=BB6_7970 Depth=3
	v_mov_b32_e32 v29, 0
	s_mov_b32 s23, exec_lo
	v_cmpx_ne_u32_e32 0, v108
	s_cbranch_execz .LBB6_8049
; %bb.8044:                             ;   in Loop: Header=BB6_7970 Depth=3
	v_bfe_u32 v86, v108, 23, 8
	v_and_b32_e32 v29, 0x7fffff, v108
	v_cmp_gt_u32_e64 s16, 0x71, v86
	v_sub_nc_u32_e32 v87, 0x70, v86
	v_cmp_eq_u32_e32 vcc_lo, 0, v86
	v_or_b32_e32 v79, 0x800000, v29
	v_cndmask_b32_e64 v87, 0, v87, s16
	v_cndmask_b32_e32 v29, v79, v29, vcc_lo
	v_cndmask_b32_e64 v87, v87, 0x6f, vcc_lo
	v_lshl_add_u32 v79, 0x200000, v87, -1
	v_lshlrev_b32_e64 v90, v87, 0x100000
	v_and_b32_e32 v79, v79, v29
	v_cmp_eq_u32_e64 s16, v79, v90
	v_lshrrev_b32_e32 v79, v87, v29
	v_add_nc_u32_e32 v29, 0xffffff91, v86
                                        ; implicit-def: $vgpr90
	v_lshrrev_b32_e32 v86, 23, v79
	v_cndmask_b32_e64 v29, v29, 0xffffff92, vcc_lo
	v_xor_b32_e32 v86, 1, v86
	v_add_nc_u32_e32 v29, v87, v29
	v_bfe_u32 v87, v79, 21, 1
	v_add_nc_u32_e32 v87, -1, v87
	v_cndmask_b32_e64 v87, 0, v87, s16
	s_mov_b32 s16, exec_lo
	v_add_nc_u32_e32 v87, v87, v79
	v_and_b32_e32 v87, 0x1fffff, v87
	v_add_nc_u32_e32 v87, v87, v79
	v_cmpx_ne_u32_e64 v29, v86
	s_xor_b32 s16, exec_lo, s16
; %bb.8045:                             ;   in Loop: Header=BB6_7970 Depth=3
	v_cmp_lt_u32_e32 vcc_lo, 0xffffff, v87
	v_sub_nc_u32_e32 v29, v29, v86
	v_cndmask_b32_e64 v86, 0, 1, vcc_lo
	v_add_co_ci_u32_e64 v90, null, 0, v29, vcc_lo
	v_lshrrev_b32_e32 v87, v86, v87
; %bb.8046:                             ;   in Loop: Header=BB6_7970 Depth=3
	s_andn2_saveexec_b32 s16, s16
; %bb.8047:                             ;   in Loop: Header=BB6_7970 Depth=3
	v_bfe_u32 v90, v87, 23, 1
; %bb.8048:                             ;   in Loop: Header=BB6_7970 Depth=3
	s_or_b32 exec_lo, exec_lo, s16
	v_lshrrev_b32_e32 v86, 21, v87
	v_cmp_gt_i32_e32 vcc_lo, 32, v90
	v_min_i32_e32 v87, 31, v90
	v_and_b32_sdwa v29, v108, v60 dst_sel:DWORD dst_unused:UNUSED_PAD src0_sel:BYTE_3 src1_sel:DWORD
	v_cndmask_b32_e32 v86, 3, v86, vcc_lo
	v_lshlrev_b32_e32 v87, 2, v87
	v_or_b32_e32 v79, v90, v86
	v_and_b32_e32 v86, 3, v86
	v_cmp_ne_u32_e32 vcc_lo, 0, v79
	v_or3_b32 v29, v87, v29, v86
	v_cndmask_b32_e32 v29, 0, v29, vcc_lo
.LBB6_8049:                             ;   in Loop: Header=BB6_7970 Depth=3
	s_or_b32 exec_lo, exec_lo, s23
.LBB6_8050:                             ;   in Loop: Header=BB6_7970 Depth=3
	s_or_b32 exec_lo, exec_lo, s22
	v_cmp_gt_i16_sdwa s22, v58, v59 src0_sel:BYTE_0 src1_sel:DWORD
	s_mov_b32 s16, 0
	s_and_saveexec_b32 s23, s22
	s_xor_b32 s22, exec_lo, s23
	s_cbranch_execz .LBB6_8624
; %bb.8051:                             ;   in Loop: Header=BB6_7970 Depth=3
	v_cmp_eq_u16_sdwa s72, v58, v60 src0_sel:BYTE_0 src1_sel:DWORD
	s_mov_b32 s16, -1
	s_and_saveexec_b32 s23, s72
; %bb.8052:                             ;   in Loop: Header=BB6_7970 Depth=3
	s_xor_b32 s16, exec_lo, -1
; %bb.8053:                             ;   in Loop: Header=BB6_7970 Depth=3
	s_or_b32 exec_lo, exec_lo, s23
	s_and_b32 s16, s16, exec_lo
	s_or_saveexec_b32 s22, s22
	v_mov_b32_e32 v86, 0x7f800001
	s_xor_b32 exec_lo, exec_lo, s22
	s_cbranch_execnz .LBB6_8625
.LBB6_8054:                             ;   in Loop: Header=BB6_7970 Depth=3
	s_or_b32 exec_lo, exec_lo, s22
	s_and_saveexec_b32 s22, s16
	s_cbranch_execz .LBB6_8056
.LBB6_8055:                             ;   in Loop: Header=BB6_7970 Depth=3
	v_and_b32_e32 v86, 3, v58
	v_lshrrev_b16 v79, 2, v58
	v_ffbh_u32_e32 v87, v86
	v_and_b32_e32 v79, 31, v79
	v_min_u32_e32 v87, 32, v87
	v_cmp_eq_u32_e32 vcc_lo, 0, v79
	v_subrev_nc_u32_e32 v90, 29, v87
	v_sub_nc_u32_e32 v87, 30, v87
	v_lshlrev_b32_e32 v90, v90, v58
	v_lshlrev_b32_e32 v58, 24, v58
	v_cndmask_b32_e32 v87, v79, v87, vcc_lo
	v_and_b32_e32 v90, 3, v90
	v_and_b32_e32 v58, 0x80000000, v58
	v_lshl_add_u32 v87, v87, 23, 0x37800000
	v_cndmask_b32_e32 v86, v86, v90, vcc_lo
	v_lshlrev_b32_e32 v86, 21, v86
	v_or3_b32 v86, v58, v87, v86
.LBB6_8056:                             ;   in Loop: Header=BB6_7970 Depth=3
	s_or_b32 exec_lo, exec_lo, s22
	s_waitcnt vmcnt(27) lgkmcnt(27)
	v_cmp_gt_i16_sdwa s22, v32, v59 src0_sel:BYTE_0 src1_sel:DWORD
	s_mov_b32 s16, 0
	s_and_saveexec_b32 s23, s22
	s_xor_b32 s22, exec_lo, s23
	s_cbranch_execz .LBB6_8626
; %bb.8057:                             ;   in Loop: Header=BB6_7970 Depth=3
	v_cmp_eq_u16_sdwa s72, v32, v60 src0_sel:BYTE_0 src1_sel:DWORD
	s_mov_b32 s16, -1
	s_and_saveexec_b32 s23, s72
; %bb.8058:                             ;   in Loop: Header=BB6_7970 Depth=3
	s_xor_b32 s16, exec_lo, -1
; %bb.8059:                             ;   in Loop: Header=BB6_7970 Depth=3
	s_or_b32 exec_lo, exec_lo, s23
	s_and_b32 s16, s16, exec_lo
	s_or_saveexec_b32 s22, s22
	v_mov_b32_e32 v87, 0x7f800001
	s_xor_b32 exec_lo, exec_lo, s22
	s_cbranch_execnz .LBB6_8627
.LBB6_8060:                             ;   in Loop: Header=BB6_7970 Depth=3
	s_or_b32 exec_lo, exec_lo, s22
	s_and_saveexec_b32 s22, s16
	s_cbranch_execz .LBB6_8062
.LBB6_8061:                             ;   in Loop: Header=BB6_7970 Depth=3
	v_and_b32_e32 v87, 3, v32
	v_lshrrev_b16 v79, 2, v32
	v_ffbh_u32_e32 v58, v87
	v_and_b32_e32 v79, 31, v79
	v_min_u32_e32 v58, 32, v58
	v_cmp_eq_u32_e32 vcc_lo, 0, v79
	v_subrev_nc_u32_e32 v90, 29, v58
	v_sub_nc_u32_e32 v58, 30, v58
	v_lshlrev_b32_e32 v90, v90, v32
	v_lshlrev_b32_e32 v32, 24, v32
	v_cndmask_b32_e32 v58, v79, v58, vcc_lo
	v_and_b32_e32 v90, 3, v90
	v_and_b32_e32 v32, 0x80000000, v32
	v_lshl_add_u32 v58, v58, 23, 0x37800000
	v_cndmask_b32_e32 v87, v87, v90, vcc_lo
	v_lshlrev_b32_e32 v87, 21, v87
	v_or3_b32 v87, v32, v58, v87
.LBB6_8062:                             ;   in Loop: Header=BB6_7970 Depth=3
	s_or_b32 exec_lo, exec_lo, s22
	v_mul_f32_e32 v58, v86, v87
	v_and_b32_e32 v32, 0x7f800000, v58
	v_cmp_ne_u32_e32 vcc_lo, 0x7f800000, v32
	v_mov_b32_e32 v32, 0x80
	s_and_saveexec_b32 s22, vcc_lo
	s_cbranch_execz .LBB6_8070
; %bb.8063:                             ;   in Loop: Header=BB6_7970 Depth=3
	v_mov_b32_e32 v32, 0
	s_mov_b32 s23, exec_lo
	v_cmpx_ne_u32_e32 0, v58
	s_cbranch_execz .LBB6_8069
; %bb.8064:                             ;   in Loop: Header=BB6_7970 Depth=3
	v_bfe_u32 v86, v58, 23, 8
	v_and_b32_e32 v32, 0x7fffff, v58
	v_cmp_gt_u32_e64 s16, 0x71, v86
	v_sub_nc_u32_e32 v87, 0x70, v86
	v_cmp_eq_u32_e32 vcc_lo, 0, v86
	v_or_b32_e32 v79, 0x800000, v32
	v_cndmask_b32_e64 v87, 0, v87, s16
	v_cndmask_b32_e32 v32, v79, v32, vcc_lo
	v_cndmask_b32_e64 v87, v87, 0x6f, vcc_lo
	v_lshl_add_u32 v79, 0x200000, v87, -1
	v_lshlrev_b32_e64 v90, v87, 0x100000
	v_and_b32_e32 v79, v79, v32
	v_cmp_eq_u32_e64 s16, v79, v90
	v_lshrrev_b32_e32 v79, v87, v32
	v_add_nc_u32_e32 v32, 0xffffff91, v86
                                        ; implicit-def: $vgpr90
	v_lshrrev_b32_e32 v86, 23, v79
	v_cndmask_b32_e64 v32, v32, 0xffffff92, vcc_lo
	v_xor_b32_e32 v86, 1, v86
	v_add_nc_u32_e32 v32, v87, v32
	v_bfe_u32 v87, v79, 21, 1
	v_add_nc_u32_e32 v87, -1, v87
	v_cndmask_b32_e64 v87, 0, v87, s16
	s_mov_b32 s16, exec_lo
	v_add_nc_u32_e32 v87, v87, v79
	v_and_b32_e32 v87, 0x1fffff, v87
	v_add_nc_u32_e32 v87, v87, v79
	v_cmpx_ne_u32_e64 v32, v86
	s_xor_b32 s16, exec_lo, s16
; %bb.8065:                             ;   in Loop: Header=BB6_7970 Depth=3
	v_cmp_lt_u32_e32 vcc_lo, 0xffffff, v87
	v_sub_nc_u32_e32 v32, v32, v86
	v_cndmask_b32_e64 v86, 0, 1, vcc_lo
	v_add_co_ci_u32_e64 v90, null, 0, v32, vcc_lo
	v_lshrrev_b32_e32 v87, v86, v87
; %bb.8066:                             ;   in Loop: Header=BB6_7970 Depth=3
	s_andn2_saveexec_b32 s16, s16
; %bb.8067:                             ;   in Loop: Header=BB6_7970 Depth=3
	v_bfe_u32 v90, v87, 23, 1
; %bb.8068:                             ;   in Loop: Header=BB6_7970 Depth=3
	s_or_b32 exec_lo, exec_lo, s16
	v_lshrrev_b32_e32 v86, 21, v87
	v_cmp_gt_i32_e32 vcc_lo, 32, v90
	v_min_i32_e32 v87, 31, v90
	v_and_b32_sdwa v32, v58, v60 dst_sel:DWORD dst_unused:UNUSED_PAD src0_sel:BYTE_3 src1_sel:DWORD
	v_cndmask_b32_e32 v86, 3, v86, vcc_lo
	v_lshlrev_b32_e32 v87, 2, v87
	v_or_b32_e32 v58, v90, v86
	v_and_b32_e32 v86, 3, v86
	v_cmp_ne_u32_e32 vcc_lo, 0, v58
	v_or3_b32 v32, v87, v32, v86
	v_cndmask_b32_e32 v32, 0, v32, vcc_lo
.LBB6_8069:                             ;   in Loop: Header=BB6_7970 Depth=3
	s_or_b32 exec_lo, exec_lo, s23
.LBB6_8070:                             ;   in Loop: Header=BB6_7970 Depth=3
	s_or_b32 exec_lo, exec_lo, s22
	v_cmp_gt_i16_sdwa s22, v46, v59 src0_sel:BYTE_0 src1_sel:DWORD
	s_mov_b32 s16, 0
	s_and_saveexec_b32 s23, s22
	s_xor_b32 s22, exec_lo, s23
	s_cbranch_execz .LBB6_8628
; %bb.8071:                             ;   in Loop: Header=BB6_7970 Depth=3
	v_cmp_eq_u16_sdwa s72, v46, v60 src0_sel:BYTE_0 src1_sel:DWORD
	s_mov_b32 s16, -1
	s_and_saveexec_b32 s23, s72
; %bb.8072:                             ;   in Loop: Header=BB6_7970 Depth=3
	s_xor_b32 s16, exec_lo, -1
; %bb.8073:                             ;   in Loop: Header=BB6_7970 Depth=3
	s_or_b32 exec_lo, exec_lo, s23
	s_and_b32 s16, s16, exec_lo
	s_or_saveexec_b32 s22, s22
	v_mov_b32_e32 v86, 0x7f800001
	s_xor_b32 exec_lo, exec_lo, s22
	s_cbranch_execnz .LBB6_8629
.LBB6_8074:                             ;   in Loop: Header=BB6_7970 Depth=3
	s_or_b32 exec_lo, exec_lo, s22
	s_and_saveexec_b32 s22, s16
	s_cbranch_execz .LBB6_8076
.LBB6_8075:                             ;   in Loop: Header=BB6_7970 Depth=3
	v_and_b32_e32 v86, 3, v46
	v_lshrrev_b16 v58, 2, v46
	v_ffbh_u32_e32 v87, v86
	v_and_b32_e32 v58, 31, v58
	v_min_u32_e32 v87, 32, v87
	v_cmp_eq_u32_e32 vcc_lo, 0, v58
	v_subrev_nc_u32_e32 v79, 29, v87
	v_sub_nc_u32_e32 v87, 30, v87
	v_lshlrev_b32_e32 v79, v79, v46
	v_lshlrev_b32_e32 v46, 24, v46
	v_cndmask_b32_e32 v87, v58, v87, vcc_lo
	v_and_b32_e32 v79, 3, v79
	v_and_b32_e32 v46, 0x80000000, v46
	v_lshl_add_u32 v87, v87, 23, 0x37800000
	v_cndmask_b32_e32 v86, v86, v79, vcc_lo
	v_lshlrev_b32_e32 v86, 21, v86
	v_or3_b32 v86, v46, v87, v86
.LBB6_8076:                             ;   in Loop: Header=BB6_7970 Depth=3
	s_or_b32 exec_lo, exec_lo, s22
	s_waitcnt vmcnt(26) lgkmcnt(26)
	v_cmp_gt_i16_sdwa s22, v35, v59 src0_sel:BYTE_0 src1_sel:DWORD
	s_mov_b32 s16, 0
	s_and_saveexec_b32 s23, s22
	s_xor_b32 s22, exec_lo, s23
	s_cbranch_execz .LBB6_8630
; %bb.8077:                             ;   in Loop: Header=BB6_7970 Depth=3
	v_cmp_eq_u16_sdwa s72, v35, v60 src0_sel:BYTE_0 src1_sel:DWORD
	s_mov_b32 s16, -1
	s_and_saveexec_b32 s23, s72
; %bb.8078:                             ;   in Loop: Header=BB6_7970 Depth=3
	s_xor_b32 s16, exec_lo, -1
; %bb.8079:                             ;   in Loop: Header=BB6_7970 Depth=3
	s_or_b32 exec_lo, exec_lo, s23
	s_and_b32 s16, s16, exec_lo
	s_or_saveexec_b32 s22, s22
	v_mov_b32_e32 v87, 0x7f800001
	s_xor_b32 exec_lo, exec_lo, s22
	s_cbranch_execnz .LBB6_8631
.LBB6_8080:                             ;   in Loop: Header=BB6_7970 Depth=3
	s_or_b32 exec_lo, exec_lo, s22
	s_and_saveexec_b32 s22, s16
	s_cbranch_execz .LBB6_8082
.LBB6_8081:                             ;   in Loop: Header=BB6_7970 Depth=3
	v_and_b32_e32 v87, 3, v35
	v_lshrrev_b16 v58, 2, v35
	v_ffbh_u32_e32 v46, v87
	v_and_b32_e32 v58, 31, v58
	v_min_u32_e32 v46, 32, v46
	v_cmp_eq_u32_e32 vcc_lo, 0, v58
	v_subrev_nc_u32_e32 v79, 29, v46
	v_sub_nc_u32_e32 v46, 30, v46
	v_lshlrev_b32_e32 v79, v79, v35
	v_lshlrev_b32_e32 v35, 24, v35
	v_cndmask_b32_e32 v46, v58, v46, vcc_lo
	v_and_b32_e32 v79, 3, v79
	v_and_b32_e32 v35, 0x80000000, v35
	v_lshl_add_u32 v46, v46, 23, 0x37800000
	v_cndmask_b32_e32 v87, v87, v79, vcc_lo
	v_lshlrev_b32_e32 v87, 21, v87
	v_or3_b32 v87, v35, v46, v87
.LBB6_8082:                             ;   in Loop: Header=BB6_7970 Depth=3
	s_or_b32 exec_lo, exec_lo, s22
	v_mul_f32_e32 v46, v86, v87
	v_and_b32_e32 v35, 0x7f800000, v46
	v_cmp_ne_u32_e32 vcc_lo, 0x7f800000, v35
	v_mov_b32_e32 v35, 0x80
	s_and_saveexec_b32 s22, vcc_lo
	s_cbranch_execz .LBB6_8090
; %bb.8083:                             ;   in Loop: Header=BB6_7970 Depth=3
	v_mov_b32_e32 v35, 0
	s_mov_b32 s23, exec_lo
	v_cmpx_ne_u32_e32 0, v46
	s_cbranch_execz .LBB6_8089
; %bb.8084:                             ;   in Loop: Header=BB6_7970 Depth=3
	v_bfe_u32 v86, v46, 23, 8
	v_and_b32_e32 v35, 0x7fffff, v46
	v_cmp_gt_u32_e64 s16, 0x71, v86
	v_sub_nc_u32_e32 v87, 0x70, v86
	v_cmp_eq_u32_e32 vcc_lo, 0, v86
	v_or_b32_e32 v58, 0x800000, v35
	v_cndmask_b32_e64 v87, 0, v87, s16
	v_cndmask_b32_e32 v35, v58, v35, vcc_lo
	v_cndmask_b32_e64 v87, v87, 0x6f, vcc_lo
	v_lshl_add_u32 v58, 0x200000, v87, -1
	v_lshlrev_b32_e64 v79, v87, 0x100000
	v_and_b32_e32 v58, v58, v35
	v_cmp_eq_u32_e64 s16, v58, v79
	v_lshrrev_b32_e32 v58, v87, v35
	v_add_nc_u32_e32 v35, 0xffffff91, v86
	v_lshrrev_b32_e32 v86, 23, v58
	v_cndmask_b32_e64 v35, v35, 0xffffff92, vcc_lo
	v_xor_b32_e32 v86, 1, v86
	v_add_nc_u32_e32 v35, v87, v35
	v_bfe_u32 v87, v58, 21, 1
	v_add_nc_u32_e32 v87, -1, v87
	v_cndmask_b32_e64 v87, 0, v87, s16
	s_mov_b32 s16, exec_lo
	v_add_nc_u32_e32 v87, v87, v58
	v_and_b32_e32 v87, 0x1fffff, v87
	v_add_nc_u32_e32 v87, v87, v58
                                        ; implicit-def: $vgpr58
	v_cmpx_ne_u32_e64 v35, v86
	s_xor_b32 s16, exec_lo, s16
; %bb.8085:                             ;   in Loop: Header=BB6_7970 Depth=3
	v_cmp_lt_u32_e32 vcc_lo, 0xffffff, v87
	v_sub_nc_u32_e32 v35, v35, v86
	v_cndmask_b32_e64 v86, 0, 1, vcc_lo
	v_add_co_ci_u32_e64 v58, null, 0, v35, vcc_lo
	v_lshrrev_b32_e32 v87, v86, v87
; %bb.8086:                             ;   in Loop: Header=BB6_7970 Depth=3
	s_andn2_saveexec_b32 s16, s16
; %bb.8087:                             ;   in Loop: Header=BB6_7970 Depth=3
	v_bfe_u32 v58, v87, 23, 1
; %bb.8088:                             ;   in Loop: Header=BB6_7970 Depth=3
	s_or_b32 exec_lo, exec_lo, s16
	v_lshrrev_b32_e32 v86, 21, v87
	v_cmp_gt_i32_e32 vcc_lo, 32, v58
	v_min_i32_e32 v87, 31, v58
	v_and_b32_sdwa v35, v46, v60 dst_sel:DWORD dst_unused:UNUSED_PAD src0_sel:BYTE_3 src1_sel:DWORD
	v_cndmask_b32_e32 v86, 3, v86, vcc_lo
	v_lshlrev_b32_e32 v87, 2, v87
	v_or_b32_e32 v46, v58, v86
	v_and_b32_e32 v86, 3, v86
	v_cmp_ne_u32_e32 vcc_lo, 0, v46
	v_or3_b32 v35, v87, v35, v86
	v_cndmask_b32_e32 v35, 0, v35, vcc_lo
.LBB6_8089:                             ;   in Loop: Header=BB6_7970 Depth=3
	s_or_b32 exec_lo, exec_lo, s23
.LBB6_8090:                             ;   in Loop: Header=BB6_7970 Depth=3
	s_or_b32 exec_lo, exec_lo, s22
	v_cmp_gt_i16_sdwa s22, v111, v59 src0_sel:BYTE_0 src1_sel:DWORD
	s_mov_b32 s16, 0
	s_and_saveexec_b32 s23, s22
	s_xor_b32 s22, exec_lo, s23
	s_cbranch_execz .LBB6_8632
; %bb.8091:                             ;   in Loop: Header=BB6_7970 Depth=3
	v_cmp_eq_u16_sdwa s72, v111, v60 src0_sel:BYTE_0 src1_sel:DWORD
	s_mov_b32 s16, -1
	s_and_saveexec_b32 s23, s72
; %bb.8092:                             ;   in Loop: Header=BB6_7970 Depth=3
	s_xor_b32 s16, exec_lo, -1
; %bb.8093:                             ;   in Loop: Header=BB6_7970 Depth=3
	s_or_b32 exec_lo, exec_lo, s23
	s_and_b32 s16, s16, exec_lo
	s_or_saveexec_b32 s22, s22
	v_mov_b32_e32 v86, 0x7f800001
	s_xor_b32 exec_lo, exec_lo, s22
	s_cbranch_execnz .LBB6_8633
.LBB6_8094:                             ;   in Loop: Header=BB6_7970 Depth=3
	s_or_b32 exec_lo, exec_lo, s22
	s_and_saveexec_b32 s22, s16
	s_cbranch_execz .LBB6_8096
.LBB6_8095:                             ;   in Loop: Header=BB6_7970 Depth=3
	v_and_b32_e32 v86, 3, v111
	v_lshrrev_b16 v46, 2, v111
	v_lshlrev_b32_e32 v79, 24, v111
	v_ffbh_u32_e32 v87, v86
	v_and_b32_e32 v46, 31, v46
	v_min_u32_e32 v87, 32, v87
	v_cmp_eq_u32_e32 vcc_lo, 0, v46
	v_subrev_nc_u32_e32 v58, 29, v87
	v_sub_nc_u32_e32 v87, 30, v87
	v_lshlrev_b32_e32 v58, v58, v111
	v_cndmask_b32_e32 v87, v46, v87, vcc_lo
	v_and_b32_e32 v46, 0x80000000, v79
	v_and_b32_e32 v58, 3, v58
	v_lshl_add_u32 v87, v87, 23, 0x37800000
	v_cndmask_b32_e32 v86, v86, v58, vcc_lo
	v_lshlrev_b32_e32 v86, 21, v86
	v_or3_b32 v86, v46, v87, v86
.LBB6_8096:                             ;   in Loop: Header=BB6_7970 Depth=3
	s_or_b32 exec_lo, exec_lo, s22
	s_waitcnt vmcnt(25) lgkmcnt(25)
	v_cmp_gt_i16_sdwa s22, v38, v59 src0_sel:BYTE_0 src1_sel:DWORD
	s_mov_b32 s16, 0
	s_and_saveexec_b32 s23, s22
	s_xor_b32 s22, exec_lo, s23
	s_cbranch_execz .LBB6_8634
; %bb.8097:                             ;   in Loop: Header=BB6_7970 Depth=3
	v_cmp_eq_u16_sdwa s72, v38, v60 src0_sel:BYTE_0 src1_sel:DWORD
	s_mov_b32 s16, -1
	s_and_saveexec_b32 s23, s72
; %bb.8098:                             ;   in Loop: Header=BB6_7970 Depth=3
	s_xor_b32 s16, exec_lo, -1
; %bb.8099:                             ;   in Loop: Header=BB6_7970 Depth=3
	s_or_b32 exec_lo, exec_lo, s23
	s_and_b32 s16, s16, exec_lo
	s_or_saveexec_b32 s22, s22
	v_mov_b32_e32 v87, 0x7f800001
	s_xor_b32 exec_lo, exec_lo, s22
	s_cbranch_execnz .LBB6_8635
.LBB6_8100:                             ;   in Loop: Header=BB6_7970 Depth=3
	s_or_b32 exec_lo, exec_lo, s22
	s_and_saveexec_b32 s22, s16
	s_cbranch_execz .LBB6_8102
.LBB6_8101:                             ;   in Loop: Header=BB6_7970 Depth=3
	v_and_b32_e32 v87, 3, v38
	v_lshrrev_b16 v58, 2, v38
	v_ffbh_u32_e32 v46, v87
	v_and_b32_e32 v58, 31, v58
	v_min_u32_e32 v46, 32, v46
	v_cmp_eq_u32_e32 vcc_lo, 0, v58
	v_subrev_nc_u32_e32 v79, 29, v46
	v_sub_nc_u32_e32 v46, 30, v46
	v_lshlrev_b32_e32 v79, v79, v38
	v_lshlrev_b32_e32 v38, 24, v38
	v_cndmask_b32_e32 v46, v58, v46, vcc_lo
	v_and_b32_e32 v79, 3, v79
	v_and_b32_e32 v38, 0x80000000, v38
	v_lshl_add_u32 v46, v46, 23, 0x37800000
	v_cndmask_b32_e32 v87, v87, v79, vcc_lo
	v_lshlrev_b32_e32 v87, 21, v87
	v_or3_b32 v87, v38, v46, v87
.LBB6_8102:                             ;   in Loop: Header=BB6_7970 Depth=3
	s_or_b32 exec_lo, exec_lo, s22
	v_mul_f32_e32 v46, v86, v87
	v_and_b32_e32 v38, 0x7f800000, v46
	v_cmp_ne_u32_e32 vcc_lo, 0x7f800000, v38
	v_mov_b32_e32 v38, 0x80
	s_and_saveexec_b32 s22, vcc_lo
	s_cbranch_execz .LBB6_8110
; %bb.8103:                             ;   in Loop: Header=BB6_7970 Depth=3
	v_mov_b32_e32 v38, 0
	s_mov_b32 s23, exec_lo
	v_cmpx_ne_u32_e32 0, v46
	s_cbranch_execz .LBB6_8109
; %bb.8104:                             ;   in Loop: Header=BB6_7970 Depth=3
	v_bfe_u32 v86, v46, 23, 8
	v_and_b32_e32 v38, 0x7fffff, v46
	v_cmp_gt_u32_e64 s16, 0x71, v86
	v_sub_nc_u32_e32 v87, 0x70, v86
	v_cmp_eq_u32_e32 vcc_lo, 0, v86
	v_or_b32_e32 v58, 0x800000, v38
	v_cndmask_b32_e64 v87, 0, v87, s16
	v_cndmask_b32_e32 v38, v58, v38, vcc_lo
	v_cndmask_b32_e64 v87, v87, 0x6f, vcc_lo
	v_lshl_add_u32 v58, 0x200000, v87, -1
	v_lshlrev_b32_e64 v79, v87, 0x100000
	v_and_b32_e32 v58, v58, v38
	v_cmp_eq_u32_e64 s16, v58, v79
	v_lshrrev_b32_e32 v58, v87, v38
	v_add_nc_u32_e32 v38, 0xffffff91, v86
	v_lshrrev_b32_e32 v86, 23, v58
	v_cndmask_b32_e64 v38, v38, 0xffffff92, vcc_lo
	v_xor_b32_e32 v86, 1, v86
	v_add_nc_u32_e32 v38, v87, v38
	v_bfe_u32 v87, v58, 21, 1
	v_add_nc_u32_e32 v87, -1, v87
	v_cndmask_b32_e64 v87, 0, v87, s16
	s_mov_b32 s16, exec_lo
	v_add_nc_u32_e32 v87, v87, v58
	v_and_b32_e32 v87, 0x1fffff, v87
	v_add_nc_u32_e32 v87, v87, v58
                                        ; implicit-def: $vgpr58
	v_cmpx_ne_u32_e64 v38, v86
	s_xor_b32 s16, exec_lo, s16
; %bb.8105:                             ;   in Loop: Header=BB6_7970 Depth=3
	v_cmp_lt_u32_e32 vcc_lo, 0xffffff, v87
	v_sub_nc_u32_e32 v38, v38, v86
	v_cndmask_b32_e64 v86, 0, 1, vcc_lo
	v_add_co_ci_u32_e64 v58, null, 0, v38, vcc_lo
	v_lshrrev_b32_e32 v87, v86, v87
; %bb.8106:                             ;   in Loop: Header=BB6_7970 Depth=3
	s_andn2_saveexec_b32 s16, s16
; %bb.8107:                             ;   in Loop: Header=BB6_7970 Depth=3
	v_bfe_u32 v58, v87, 23, 1
; %bb.8108:                             ;   in Loop: Header=BB6_7970 Depth=3
	s_or_b32 exec_lo, exec_lo, s16
	v_lshrrev_b32_e32 v86, 21, v87
	v_cmp_gt_i32_e32 vcc_lo, 32, v58
	v_min_i32_e32 v87, 31, v58
	v_and_b32_sdwa v38, v46, v60 dst_sel:DWORD dst_unused:UNUSED_PAD src0_sel:BYTE_3 src1_sel:DWORD
	v_cndmask_b32_e32 v86, 3, v86, vcc_lo
	v_lshlrev_b32_e32 v87, 2, v87
	v_or_b32_e32 v46, v58, v86
	v_and_b32_e32 v86, 3, v86
	v_cmp_ne_u32_e32 vcc_lo, 0, v46
	v_or3_b32 v38, v87, v38, v86
	v_cndmask_b32_e32 v38, 0, v38, vcc_lo
.LBB6_8109:                             ;   in Loop: Header=BB6_7970 Depth=3
	s_or_b32 exec_lo, exec_lo, s23
.LBB6_8110:                             ;   in Loop: Header=BB6_7970 Depth=3
	s_or_b32 exec_lo, exec_lo, s22
	v_cmp_gt_i16_sdwa s22, v110, v59 src0_sel:BYTE_0 src1_sel:DWORD
	s_mov_b32 s16, 0
	s_and_saveexec_b32 s23, s22
	s_xor_b32 s22, exec_lo, s23
	s_cbranch_execz .LBB6_8636
; %bb.8111:                             ;   in Loop: Header=BB6_7970 Depth=3
	v_cmp_eq_u16_sdwa s72, v110, v60 src0_sel:BYTE_0 src1_sel:DWORD
	s_mov_b32 s16, -1
	s_and_saveexec_b32 s23, s72
; %bb.8112:                             ;   in Loop: Header=BB6_7970 Depth=3
	s_xor_b32 s16, exec_lo, -1
; %bb.8113:                             ;   in Loop: Header=BB6_7970 Depth=3
	s_or_b32 exec_lo, exec_lo, s23
	s_and_b32 s16, s16, exec_lo
	s_or_saveexec_b32 s22, s22
	v_mov_b32_e32 v86, 0x7f800001
	s_xor_b32 exec_lo, exec_lo, s22
	s_cbranch_execnz .LBB6_8637
.LBB6_8114:                             ;   in Loop: Header=BB6_7970 Depth=3
	s_or_b32 exec_lo, exec_lo, s22
	s_and_saveexec_b32 s22, s16
	s_cbranch_execz .LBB6_8116
.LBB6_8115:                             ;   in Loop: Header=BB6_7970 Depth=3
	v_and_b32_e32 v86, 3, v110
	v_lshrrev_b16 v46, 2, v110
	v_lshlrev_b32_e32 v79, 24, v110
	v_ffbh_u32_e32 v87, v86
	v_and_b32_e32 v46, 31, v46
	v_min_u32_e32 v87, 32, v87
	v_cmp_eq_u32_e32 vcc_lo, 0, v46
	v_subrev_nc_u32_e32 v58, 29, v87
	v_sub_nc_u32_e32 v87, 30, v87
	v_lshlrev_b32_e32 v58, v58, v110
	v_cndmask_b32_e32 v87, v46, v87, vcc_lo
	v_and_b32_e32 v46, 0x80000000, v79
	v_and_b32_e32 v58, 3, v58
	v_lshl_add_u32 v87, v87, 23, 0x37800000
	v_cndmask_b32_e32 v86, v86, v58, vcc_lo
	v_lshlrev_b32_e32 v86, 21, v86
	v_or3_b32 v86, v46, v87, v86
.LBB6_8116:                             ;   in Loop: Header=BB6_7970 Depth=3
	s_or_b32 exec_lo, exec_lo, s22
	s_waitcnt vmcnt(24) lgkmcnt(24)
	v_cmp_gt_i16_sdwa s22, v49, v59 src0_sel:BYTE_0 src1_sel:DWORD
	s_mov_b32 s16, 0
	s_and_saveexec_b32 s23, s22
	s_xor_b32 s22, exec_lo, s23
	s_cbranch_execz .LBB6_8638
; %bb.8117:                             ;   in Loop: Header=BB6_7970 Depth=3
	v_cmp_eq_u16_sdwa s72, v49, v60 src0_sel:BYTE_0 src1_sel:DWORD
	s_mov_b32 s16, -1
	s_and_saveexec_b32 s23, s72
; %bb.8118:                             ;   in Loop: Header=BB6_7970 Depth=3
	s_xor_b32 s16, exec_lo, -1
; %bb.8119:                             ;   in Loop: Header=BB6_7970 Depth=3
	s_or_b32 exec_lo, exec_lo, s23
	s_and_b32 s16, s16, exec_lo
	s_or_saveexec_b32 s22, s22
	v_mov_b32_e32 v87, 0x7f800001
	s_xor_b32 exec_lo, exec_lo, s22
	s_cbranch_execnz .LBB6_8639
.LBB6_8120:                             ;   in Loop: Header=BB6_7970 Depth=3
	s_or_b32 exec_lo, exec_lo, s22
	s_and_saveexec_b32 s22, s16
	s_cbranch_execz .LBB6_8122
.LBB6_8121:                             ;   in Loop: Header=BB6_7970 Depth=3
	v_and_b32_e32 v87, 3, v49
	v_lshrrev_b16 v58, 2, v49
	v_ffbh_u32_e32 v46, v87
	v_and_b32_e32 v58, 31, v58
	v_min_u32_e32 v46, 32, v46
	v_cmp_eq_u32_e32 vcc_lo, 0, v58
	v_subrev_nc_u32_e32 v79, 29, v46
	v_sub_nc_u32_e32 v46, 30, v46
	v_lshlrev_b32_e32 v79, v79, v49
	v_lshlrev_b32_e32 v49, 24, v49
	v_cndmask_b32_e32 v46, v58, v46, vcc_lo
	v_and_b32_e32 v79, 3, v79
	v_and_b32_e32 v49, 0x80000000, v49
	v_lshl_add_u32 v46, v46, 23, 0x37800000
	v_cndmask_b32_e32 v87, v87, v79, vcc_lo
	v_lshlrev_b32_e32 v87, 21, v87
	v_or3_b32 v87, v49, v46, v87
.LBB6_8122:                             ;   in Loop: Header=BB6_7970 Depth=3
	s_or_b32 exec_lo, exec_lo, s22
	v_mul_f32_e32 v46, v86, v87
	v_and_b32_e32 v49, 0x7f800000, v46
	v_cmp_ne_u32_e32 vcc_lo, 0x7f800000, v49
	v_mov_b32_e32 v49, 0x80
	s_and_saveexec_b32 s22, vcc_lo
	s_cbranch_execz .LBB6_8130
; %bb.8123:                             ;   in Loop: Header=BB6_7970 Depth=3
	v_mov_b32_e32 v49, 0
	s_mov_b32 s23, exec_lo
	v_cmpx_ne_u32_e32 0, v46
	s_cbranch_execz .LBB6_8129
; %bb.8124:                             ;   in Loop: Header=BB6_7970 Depth=3
	v_bfe_u32 v86, v46, 23, 8
	v_and_b32_e32 v49, 0x7fffff, v46
	v_cmp_gt_u32_e64 s16, 0x71, v86
	v_sub_nc_u32_e32 v87, 0x70, v86
	v_cmp_eq_u32_e32 vcc_lo, 0, v86
	v_or_b32_e32 v58, 0x800000, v49
	v_cndmask_b32_e64 v87, 0, v87, s16
	v_cndmask_b32_e32 v49, v58, v49, vcc_lo
	v_cndmask_b32_e64 v87, v87, 0x6f, vcc_lo
	v_lshl_add_u32 v58, 0x200000, v87, -1
	v_lshlrev_b32_e64 v79, v87, 0x100000
	v_and_b32_e32 v58, v58, v49
	v_cmp_eq_u32_e64 s16, v58, v79
	v_lshrrev_b32_e32 v58, v87, v49
	v_add_nc_u32_e32 v49, 0xffffff91, v86
	v_lshrrev_b32_e32 v86, 23, v58
	v_cndmask_b32_e64 v49, v49, 0xffffff92, vcc_lo
	v_xor_b32_e32 v86, 1, v86
	v_add_nc_u32_e32 v49, v87, v49
	v_bfe_u32 v87, v58, 21, 1
	v_add_nc_u32_e32 v87, -1, v87
	v_cndmask_b32_e64 v87, 0, v87, s16
	s_mov_b32 s16, exec_lo
	v_add_nc_u32_e32 v87, v87, v58
	v_and_b32_e32 v87, 0x1fffff, v87
	v_add_nc_u32_e32 v87, v87, v58
                                        ; implicit-def: $vgpr58
	v_cmpx_ne_u32_e64 v49, v86
	s_xor_b32 s16, exec_lo, s16
; %bb.8125:                             ;   in Loop: Header=BB6_7970 Depth=3
	v_cmp_lt_u32_e32 vcc_lo, 0xffffff, v87
	v_sub_nc_u32_e32 v49, v49, v86
	v_cndmask_b32_e64 v86, 0, 1, vcc_lo
	v_add_co_ci_u32_e64 v58, null, 0, v49, vcc_lo
	v_lshrrev_b32_e32 v87, v86, v87
; %bb.8126:                             ;   in Loop: Header=BB6_7970 Depth=3
	s_andn2_saveexec_b32 s16, s16
; %bb.8127:                             ;   in Loop: Header=BB6_7970 Depth=3
	v_bfe_u32 v58, v87, 23, 1
; %bb.8128:                             ;   in Loop: Header=BB6_7970 Depth=3
	s_or_b32 exec_lo, exec_lo, s16
	v_lshrrev_b32_e32 v86, 21, v87
	v_cmp_gt_i32_e32 vcc_lo, 32, v58
	v_min_i32_e32 v87, 31, v58
	v_and_b32_sdwa v49, v46, v60 dst_sel:DWORD dst_unused:UNUSED_PAD src0_sel:BYTE_3 src1_sel:DWORD
	v_cndmask_b32_e32 v86, 3, v86, vcc_lo
	v_lshlrev_b32_e32 v87, 2, v87
	v_or_b32_e32 v46, v58, v86
	v_and_b32_e32 v86, 3, v86
	v_cmp_ne_u32_e32 vcc_lo, 0, v46
	v_or3_b32 v49, v87, v49, v86
	v_cndmask_b32_e32 v49, 0, v49, vcc_lo
.LBB6_8129:                             ;   in Loop: Header=BB6_7970 Depth=3
	s_or_b32 exec_lo, exec_lo, s23
.LBB6_8130:                             ;   in Loop: Header=BB6_7970 Depth=3
	s_or_b32 exec_lo, exec_lo, s22
	v_cmp_gt_i16_sdwa s22, v52, v59 src0_sel:BYTE_0 src1_sel:DWORD
	s_mov_b32 s16, 0
	s_and_saveexec_b32 s23, s22
	s_xor_b32 s22, exec_lo, s23
	s_cbranch_execz .LBB6_8640
; %bb.8131:                             ;   in Loop: Header=BB6_7970 Depth=3
	v_cmp_eq_u16_sdwa s72, v52, v60 src0_sel:BYTE_0 src1_sel:DWORD
	s_mov_b32 s16, -1
	s_and_saveexec_b32 s23, s72
; %bb.8132:                             ;   in Loop: Header=BB6_7970 Depth=3
	s_xor_b32 s16, exec_lo, -1
; %bb.8133:                             ;   in Loop: Header=BB6_7970 Depth=3
	s_or_b32 exec_lo, exec_lo, s23
	s_and_b32 s16, s16, exec_lo
	s_or_saveexec_b32 s22, s22
	v_mov_b32_e32 v86, 0x7f800001
	s_xor_b32 exec_lo, exec_lo, s22
	s_cbranch_execnz .LBB6_8641
.LBB6_8134:                             ;   in Loop: Header=BB6_7970 Depth=3
	s_or_b32 exec_lo, exec_lo, s22
	s_and_saveexec_b32 s22, s16
	s_cbranch_execz .LBB6_8136
.LBB6_8135:                             ;   in Loop: Header=BB6_7970 Depth=3
	v_and_b32_e32 v86, 3, v52
	v_lshrrev_b16 v46, 2, v52
	v_ffbh_u32_e32 v87, v86
	v_and_b32_e32 v46, 31, v46
	v_min_u32_e32 v87, 32, v87
	v_cmp_eq_u32_e32 vcc_lo, 0, v46
	v_subrev_nc_u32_e32 v58, 29, v87
	v_sub_nc_u32_e32 v87, 30, v87
	v_lshlrev_b32_e32 v58, v58, v52
	v_lshlrev_b32_e32 v52, 24, v52
	v_cndmask_b32_e32 v87, v46, v87, vcc_lo
	v_and_b32_e32 v58, 3, v58
	v_and_b32_e32 v52, 0x80000000, v52
	v_lshl_add_u32 v87, v87, 23, 0x37800000
	v_cndmask_b32_e32 v86, v86, v58, vcc_lo
	v_lshlrev_b32_e32 v86, 21, v86
	v_or3_b32 v86, v52, v87, v86
.LBB6_8136:                             ;   in Loop: Header=BB6_7970 Depth=3
	s_or_b32 exec_lo, exec_lo, s22
	s_waitcnt vmcnt(23) lgkmcnt(23)
	v_cmp_gt_i16_sdwa s22, v107, v59 src0_sel:BYTE_0 src1_sel:DWORD
	s_mov_b32 s16, 0
	s_and_saveexec_b32 s23, s22
	s_xor_b32 s22, exec_lo, s23
	s_cbranch_execz .LBB6_8642
; %bb.8137:                             ;   in Loop: Header=BB6_7970 Depth=3
	v_cmp_eq_u16_sdwa s72, v107, v60 src0_sel:BYTE_0 src1_sel:DWORD
	s_mov_b32 s16, -1
	s_and_saveexec_b32 s23, s72
; %bb.8138:                             ;   in Loop: Header=BB6_7970 Depth=3
	s_xor_b32 s16, exec_lo, -1
; %bb.8139:                             ;   in Loop: Header=BB6_7970 Depth=3
	s_or_b32 exec_lo, exec_lo, s23
	s_and_b32 s16, s16, exec_lo
	s_or_saveexec_b32 s22, s22
	v_mov_b32_e32 v52, 0x7f800001
	s_xor_b32 exec_lo, exec_lo, s22
	s_cbranch_execnz .LBB6_8643
.LBB6_8140:                             ;   in Loop: Header=BB6_7970 Depth=3
	s_or_b32 exec_lo, exec_lo, s22
	s_and_saveexec_b32 s22, s16
	s_cbranch_execz .LBB6_8142
.LBB6_8141:                             ;   in Loop: Header=BB6_7970 Depth=3
	v_and_b32_e32 v52, 3, v107
	v_lshrrev_b16 v46, 2, v107
	v_lshlrev_b32_e32 v79, 24, v107
	v_ffbh_u32_e32 v87, v52
	v_and_b32_e32 v46, 31, v46
	v_min_u32_e32 v87, 32, v87
	v_cmp_eq_u32_e32 vcc_lo, 0, v46
	v_subrev_nc_u32_e32 v58, 29, v87
	v_sub_nc_u32_e32 v87, 30, v87
	v_lshlrev_b32_e32 v58, v58, v107
	v_cndmask_b32_e32 v87, v46, v87, vcc_lo
	v_and_b32_e32 v46, 0x80000000, v79
	v_and_b32_e32 v58, 3, v58
	v_lshl_add_u32 v87, v87, 23, 0x37800000
	v_cndmask_b32_e32 v52, v52, v58, vcc_lo
	v_lshlrev_b32_e32 v52, 21, v52
	v_or3_b32 v52, v46, v87, v52
.LBB6_8142:                             ;   in Loop: Header=BB6_7970 Depth=3
	s_or_b32 exec_lo, exec_lo, s22
	v_mul_f32_e32 v46, v86, v52
	v_and_b32_e32 v52, 0x7f800000, v46
	v_cmp_ne_u32_e32 vcc_lo, 0x7f800000, v52
	v_mov_b32_e32 v52, 0x80
	s_and_saveexec_b32 s22, vcc_lo
	s_cbranch_execz .LBB6_8150
; %bb.8143:                             ;   in Loop: Header=BB6_7970 Depth=3
	v_mov_b32_e32 v52, 0
	s_mov_b32 s23, exec_lo
	v_cmpx_ne_u32_e32 0, v46
	s_cbranch_execz .LBB6_8149
; %bb.8144:                             ;   in Loop: Header=BB6_7970 Depth=3
	v_bfe_u32 v86, v46, 23, 8
	v_and_b32_e32 v52, 0x7fffff, v46
	v_cmp_gt_u32_e64 s16, 0x71, v86
	v_sub_nc_u32_e32 v87, 0x70, v86
	v_cmp_eq_u32_e32 vcc_lo, 0, v86
	v_or_b32_e32 v58, 0x800000, v52
	v_cndmask_b32_e64 v87, 0, v87, s16
	v_cndmask_b32_e32 v52, v58, v52, vcc_lo
	v_cndmask_b32_e64 v87, v87, 0x6f, vcc_lo
	v_lshl_add_u32 v58, 0x200000, v87, -1
	v_lshlrev_b32_e64 v79, v87, 0x100000
	v_and_b32_e32 v58, v58, v52
	v_cmp_eq_u32_e64 s16, v58, v79
	v_lshrrev_b32_e32 v58, v87, v52
	v_add_nc_u32_e32 v52, 0xffffff91, v86
	v_lshrrev_b32_e32 v86, 23, v58
	v_cndmask_b32_e64 v52, v52, 0xffffff92, vcc_lo
	v_xor_b32_e32 v86, 1, v86
	v_add_nc_u32_e32 v52, v87, v52
	v_bfe_u32 v87, v58, 21, 1
	v_add_nc_u32_e32 v87, -1, v87
	v_cndmask_b32_e64 v87, 0, v87, s16
	s_mov_b32 s16, exec_lo
	v_add_nc_u32_e32 v87, v87, v58
	v_and_b32_e32 v87, 0x1fffff, v87
	v_add_nc_u32_e32 v87, v87, v58
                                        ; implicit-def: $vgpr58
	v_cmpx_ne_u32_e64 v52, v86
	s_xor_b32 s16, exec_lo, s16
; %bb.8145:                             ;   in Loop: Header=BB6_7970 Depth=3
	v_cmp_lt_u32_e32 vcc_lo, 0xffffff, v87
	v_sub_nc_u32_e32 v52, v52, v86
	v_cndmask_b32_e64 v86, 0, 1, vcc_lo
	v_add_co_ci_u32_e64 v58, null, 0, v52, vcc_lo
	v_lshrrev_b32_e32 v87, v86, v87
; %bb.8146:                             ;   in Loop: Header=BB6_7970 Depth=3
	s_andn2_saveexec_b32 s16, s16
; %bb.8147:                             ;   in Loop: Header=BB6_7970 Depth=3
	v_bfe_u32 v58, v87, 23, 1
; %bb.8148:                             ;   in Loop: Header=BB6_7970 Depth=3
	s_or_b32 exec_lo, exec_lo, s16
	v_lshrrev_b32_e32 v86, 21, v87
	v_cmp_gt_i32_e32 vcc_lo, 32, v58
	v_min_i32_e32 v87, 31, v58
	v_and_b32_sdwa v52, v46, v60 dst_sel:DWORD dst_unused:UNUSED_PAD src0_sel:BYTE_3 src1_sel:DWORD
	v_cndmask_b32_e32 v86, 3, v86, vcc_lo
	v_lshlrev_b32_e32 v87, 2, v87
	v_or_b32_e32 v46, v58, v86
	v_and_b32_e32 v86, 3, v86
	v_cmp_ne_u32_e32 vcc_lo, 0, v46
	v_or3_b32 v52, v87, v52, v86
	v_cndmask_b32_e32 v52, 0, v52, vcc_lo
.LBB6_8149:                             ;   in Loop: Header=BB6_7970 Depth=3
	s_or_b32 exec_lo, exec_lo, s23
.LBB6_8150:                             ;   in Loop: Header=BB6_7970 Depth=3
	s_or_b32 exec_lo, exec_lo, s22
	v_cmp_gt_i16_sdwa s22, v55, v59 src0_sel:BYTE_0 src1_sel:DWORD
	s_mov_b32 s16, 0
	s_and_saveexec_b32 s23, s22
	s_xor_b32 s22, exec_lo, s23
	s_cbranch_execz .LBB6_8644
; %bb.8151:                             ;   in Loop: Header=BB6_7970 Depth=3
	v_cmp_eq_u16_sdwa s72, v55, v60 src0_sel:BYTE_0 src1_sel:DWORD
	s_mov_b32 s16, -1
	s_and_saveexec_b32 s23, s72
; %bb.8152:                             ;   in Loop: Header=BB6_7970 Depth=3
	s_xor_b32 s16, exec_lo, -1
; %bb.8153:                             ;   in Loop: Header=BB6_7970 Depth=3
	s_or_b32 exec_lo, exec_lo, s23
	s_and_b32 s16, s16, exec_lo
	s_or_saveexec_b32 s22, s22
	v_mov_b32_e32 v86, 0x7f800001
	s_xor_b32 exec_lo, exec_lo, s22
	s_cbranch_execnz .LBB6_8645
.LBB6_8154:                             ;   in Loop: Header=BB6_7970 Depth=3
	s_or_b32 exec_lo, exec_lo, s22
	s_and_saveexec_b32 s22, s16
	s_cbranch_execz .LBB6_8156
.LBB6_8155:                             ;   in Loop: Header=BB6_7970 Depth=3
	v_and_b32_e32 v86, 3, v55
	v_lshrrev_b16 v46, 2, v55
	v_ffbh_u32_e32 v87, v86
	v_and_b32_e32 v46, 31, v46
	v_min_u32_e32 v87, 32, v87
	v_cmp_eq_u32_e32 vcc_lo, 0, v46
	v_subrev_nc_u32_e32 v58, 29, v87
	v_sub_nc_u32_e32 v87, 30, v87
	v_lshlrev_b32_e32 v58, v58, v55
	v_lshlrev_b32_e32 v55, 24, v55
	v_cndmask_b32_e32 v87, v46, v87, vcc_lo
	v_and_b32_e32 v58, 3, v58
	v_and_b32_e32 v55, 0x80000000, v55
	v_lshl_add_u32 v87, v87, 23, 0x37800000
	v_cndmask_b32_e32 v86, v86, v58, vcc_lo
	v_lshlrev_b32_e32 v86, 21, v86
	v_or3_b32 v86, v55, v87, v86
.LBB6_8156:                             ;   in Loop: Header=BB6_7970 Depth=3
	s_or_b32 exec_lo, exec_lo, s22
	s_waitcnt vmcnt(22) lgkmcnt(22)
	v_cmp_gt_i16_sdwa s22, v73, v59 src0_sel:BYTE_0 src1_sel:DWORD
	s_mov_b32 s16, 0
	s_and_saveexec_b32 s23, s22
	s_xor_b32 s22, exec_lo, s23
	s_cbranch_execz .LBB6_8646
; %bb.8157:                             ;   in Loop: Header=BB6_7970 Depth=3
	v_cmp_eq_u16_sdwa s72, v73, v60 src0_sel:BYTE_0 src1_sel:DWORD
	s_mov_b32 s16, -1
	s_and_saveexec_b32 s23, s72
; %bb.8158:                             ;   in Loop: Header=BB6_7970 Depth=3
	s_xor_b32 s16, exec_lo, -1
; %bb.8159:                             ;   in Loop: Header=BB6_7970 Depth=3
	s_or_b32 exec_lo, exec_lo, s23
	s_and_b32 s16, s16, exec_lo
	s_or_saveexec_b32 s22, s22
	v_mov_b32_e32 v55, 0x7f800001
	s_xor_b32 exec_lo, exec_lo, s22
	s_cbranch_execnz .LBB6_8647
.LBB6_8160:                             ;   in Loop: Header=BB6_7970 Depth=3
	s_or_b32 exec_lo, exec_lo, s22
	s_and_saveexec_b32 s22, s16
	s_cbranch_execz .LBB6_8162
.LBB6_8161:                             ;   in Loop: Header=BB6_7970 Depth=3
	v_and_b32_e32 v55, 3, v73
	v_lshrrev_b16 v46, 2, v73
	v_ffbh_u32_e32 v87, v55
	v_and_b32_e32 v46, 31, v46
	v_min_u32_e32 v87, 32, v87
	v_cmp_eq_u32_e32 vcc_lo, 0, v46
	v_subrev_nc_u32_e32 v58, 29, v87
	v_sub_nc_u32_e32 v87, 30, v87
	v_lshlrev_b32_e32 v58, v58, v73
	v_lshlrev_b32_e32 v73, 24, v73
	v_cndmask_b32_e32 v87, v46, v87, vcc_lo
	v_and_b32_e32 v58, 3, v58
	v_and_b32_e32 v46, 0x80000000, v73
	v_lshl_add_u32 v87, v87, 23, 0x37800000
	v_cndmask_b32_e32 v55, v55, v58, vcc_lo
	v_lshlrev_b32_e32 v55, 21, v55
	v_or3_b32 v55, v46, v87, v55
.LBB6_8162:                             ;   in Loop: Header=BB6_7970 Depth=3
	s_or_b32 exec_lo, exec_lo, s22
	v_mul_f32_e32 v46, v86, v55
	v_and_b32_e32 v55, 0x7f800000, v46
	v_cmp_ne_u32_e32 vcc_lo, 0x7f800000, v55
	v_mov_b32_e32 v55, 0x80
	s_and_saveexec_b32 s22, vcc_lo
	s_cbranch_execz .LBB6_8170
; %bb.8163:                             ;   in Loop: Header=BB6_7970 Depth=3
	v_mov_b32_e32 v55, 0
	s_mov_b32 s23, exec_lo
	v_cmpx_ne_u32_e32 0, v46
	s_cbranch_execz .LBB6_8169
; %bb.8164:                             ;   in Loop: Header=BB6_7970 Depth=3
	v_bfe_u32 v86, v46, 23, 8
	v_and_b32_e32 v55, 0x7fffff, v46
	v_cmp_gt_u32_e64 s16, 0x71, v86
	v_sub_nc_u32_e32 v87, 0x70, v86
	v_cmp_eq_u32_e32 vcc_lo, 0, v86
	v_or_b32_e32 v58, 0x800000, v55
	v_cndmask_b32_e64 v87, 0, v87, s16
	v_cndmask_b32_e32 v55, v58, v55, vcc_lo
	v_cndmask_b32_e64 v87, v87, 0x6f, vcc_lo
	v_lshl_add_u32 v58, 0x200000, v87, -1
	v_lshlrev_b32_e64 v73, v87, 0x100000
	v_and_b32_e32 v58, v58, v55
	v_cmp_eq_u32_e64 s16, v58, v73
	v_lshrrev_b32_e32 v58, v87, v55
	v_add_nc_u32_e32 v55, 0xffffff91, v86
	v_lshrrev_b32_e32 v86, 23, v58
	v_cndmask_b32_e64 v55, v55, 0xffffff92, vcc_lo
	v_xor_b32_e32 v86, 1, v86
	v_add_nc_u32_e32 v55, v87, v55
	v_bfe_u32 v87, v58, 21, 1
	v_add_nc_u32_e32 v87, -1, v87
	v_cndmask_b32_e64 v87, 0, v87, s16
	s_mov_b32 s16, exec_lo
	v_add_nc_u32_e32 v87, v87, v58
	v_and_b32_e32 v87, 0x1fffff, v87
	v_add_nc_u32_e32 v87, v87, v58
                                        ; implicit-def: $vgpr58
	v_cmpx_ne_u32_e64 v55, v86
	s_xor_b32 s16, exec_lo, s16
; %bb.8165:                             ;   in Loop: Header=BB6_7970 Depth=3
	v_cmp_lt_u32_e32 vcc_lo, 0xffffff, v87
	v_sub_nc_u32_e32 v55, v55, v86
	v_cndmask_b32_e64 v86, 0, 1, vcc_lo
	v_add_co_ci_u32_e64 v58, null, 0, v55, vcc_lo
	v_lshrrev_b32_e32 v87, v86, v87
; %bb.8166:                             ;   in Loop: Header=BB6_7970 Depth=3
	s_andn2_saveexec_b32 s16, s16
; %bb.8167:                             ;   in Loop: Header=BB6_7970 Depth=3
	v_bfe_u32 v58, v87, 23, 1
; %bb.8168:                             ;   in Loop: Header=BB6_7970 Depth=3
	s_or_b32 exec_lo, exec_lo, s16
	v_lshrrev_b32_e32 v86, 21, v87
	v_cmp_gt_i32_e32 vcc_lo, 32, v58
	v_min_i32_e32 v87, 31, v58
	v_and_b32_sdwa v55, v46, v60 dst_sel:DWORD dst_unused:UNUSED_PAD src0_sel:BYTE_3 src1_sel:DWORD
	v_cndmask_b32_e32 v86, 3, v86, vcc_lo
	v_lshlrev_b32_e32 v87, 2, v87
	v_or_b32_e32 v46, v58, v86
	v_and_b32_e32 v86, 3, v86
	v_cmp_ne_u32_e32 vcc_lo, 0, v46
	v_or3_b32 v55, v87, v55, v86
	v_cndmask_b32_e32 v55, 0, v55, vcc_lo
.LBB6_8169:                             ;   in Loop: Header=BB6_7970 Depth=3
	s_or_b32 exec_lo, exec_lo, s23
.LBB6_8170:                             ;   in Loop: Header=BB6_7970 Depth=3
	s_or_b32 exec_lo, exec_lo, s22
	v_cmp_gt_i16_sdwa s22, v84, v59 src0_sel:BYTE_0 src1_sel:DWORD
	s_mov_b32 s16, 0
	s_and_saveexec_b32 s23, s22
	s_xor_b32 s22, exec_lo, s23
	s_cbranch_execz .LBB6_8648
; %bb.8171:                             ;   in Loop: Header=BB6_7970 Depth=3
	v_cmp_eq_u16_sdwa s72, v84, v60 src0_sel:BYTE_0 src1_sel:DWORD
	s_mov_b32 s16, -1
	s_and_saveexec_b32 s23, s72
; %bb.8172:                             ;   in Loop: Header=BB6_7970 Depth=3
	s_xor_b32 s16, exec_lo, -1
; %bb.8173:                             ;   in Loop: Header=BB6_7970 Depth=3
	s_or_b32 exec_lo, exec_lo, s23
	s_and_b32 s16, s16, exec_lo
	s_or_saveexec_b32 s22, s22
	v_mov_b32_e32 v86, 0x7f800001
	s_xor_b32 exec_lo, exec_lo, s22
	s_cbranch_execnz .LBB6_8649
.LBB6_8174:                             ;   in Loop: Header=BB6_7970 Depth=3
	s_or_b32 exec_lo, exec_lo, s22
	s_and_saveexec_b32 s22, s16
	s_cbranch_execz .LBB6_8176
.LBB6_8175:                             ;   in Loop: Header=BB6_7970 Depth=3
	v_and_b32_e32 v86, 3, v84
	v_lshrrev_b16 v46, 2, v84
	v_ffbh_u32_e32 v87, v86
	v_and_b32_e32 v46, 31, v46
	v_min_u32_e32 v87, 32, v87
	v_cmp_eq_u32_e32 vcc_lo, 0, v46
	v_subrev_nc_u32_e32 v58, 29, v87
	v_sub_nc_u32_e32 v87, 30, v87
	v_lshlrev_b32_e32 v58, v58, v84
	v_lshlrev_b32_e32 v84, 24, v84
	v_cndmask_b32_e32 v87, v46, v87, vcc_lo
	v_and_b32_e32 v58, 3, v58
	v_and_b32_e32 v84, 0x80000000, v84
	v_lshl_add_u32 v87, v87, 23, 0x37800000
	v_cndmask_b32_e32 v86, v86, v58, vcc_lo
	v_lshlrev_b32_e32 v86, 21, v86
	v_or3_b32 v86, v84, v87, v86
.LBB6_8176:                             ;   in Loop: Header=BB6_7970 Depth=3
	s_or_b32 exec_lo, exec_lo, s22
	s_waitcnt vmcnt(21) lgkmcnt(21)
	v_cmp_gt_i16_sdwa s22, v105, v59 src0_sel:BYTE_0 src1_sel:DWORD
	s_mov_b32 s16, 0
	s_and_saveexec_b32 s23, s22
	s_xor_b32 s22, exec_lo, s23
	s_cbranch_execz .LBB6_8650
; %bb.8177:                             ;   in Loop: Header=BB6_7970 Depth=3
	v_cmp_eq_u16_sdwa s72, v105, v60 src0_sel:BYTE_0 src1_sel:DWORD
	s_mov_b32 s16, -1
	s_and_saveexec_b32 s23, s72
; %bb.8178:                             ;   in Loop: Header=BB6_7970 Depth=3
	s_xor_b32 s16, exec_lo, -1
; %bb.8179:                             ;   in Loop: Header=BB6_7970 Depth=3
	s_or_b32 exec_lo, exec_lo, s23
	s_and_b32 s16, s16, exec_lo
	s_or_saveexec_b32 s22, s22
	v_mov_b32_e32 v84, 0x7f800001
	s_xor_b32 exec_lo, exec_lo, s22
	s_cbranch_execnz .LBB6_8651
.LBB6_8180:                             ;   in Loop: Header=BB6_7970 Depth=3
	s_or_b32 exec_lo, exec_lo, s22
	s_and_saveexec_b32 s22, s16
	s_cbranch_execz .LBB6_8182
.LBB6_8181:                             ;   in Loop: Header=BB6_7970 Depth=3
	v_and_b32_e32 v84, 3, v105
	v_lshrrev_b16 v46, 2, v105
	v_lshlrev_b32_e32 v73, 24, v105
	v_ffbh_u32_e32 v87, v84
	v_and_b32_e32 v46, 31, v46
	v_min_u32_e32 v87, 32, v87
	v_cmp_eq_u32_e32 vcc_lo, 0, v46
	v_subrev_nc_u32_e32 v58, 29, v87
	v_sub_nc_u32_e32 v87, 30, v87
	v_lshlrev_b32_e32 v58, v58, v105
	v_cndmask_b32_e32 v87, v46, v87, vcc_lo
	v_and_b32_e32 v46, 0x80000000, v73
	v_and_b32_e32 v58, 3, v58
	v_lshl_add_u32 v87, v87, 23, 0x37800000
	v_cndmask_b32_e32 v84, v84, v58, vcc_lo
	v_lshlrev_b32_e32 v84, 21, v84
	v_or3_b32 v84, v46, v87, v84
.LBB6_8182:                             ;   in Loop: Header=BB6_7970 Depth=3
	s_or_b32 exec_lo, exec_lo, s22
	v_mul_f32_e32 v46, v86, v84
	v_and_b32_e32 v84, 0x7f800000, v46
	v_cmp_ne_u32_e32 vcc_lo, 0x7f800000, v84
	v_mov_b32_e32 v84, 0x80
	s_and_saveexec_b32 s22, vcc_lo
	s_cbranch_execz .LBB6_8190
; %bb.8183:                             ;   in Loop: Header=BB6_7970 Depth=3
	v_mov_b32_e32 v84, 0
	s_mov_b32 s23, exec_lo
	v_cmpx_ne_u32_e32 0, v46
	s_cbranch_execz .LBB6_8189
; %bb.8184:                             ;   in Loop: Header=BB6_7970 Depth=3
	v_bfe_u32 v86, v46, 23, 8
	v_and_b32_e32 v84, 0x7fffff, v46
	v_cmp_gt_u32_e64 s16, 0x71, v86
	v_sub_nc_u32_e32 v87, 0x70, v86
	v_cmp_eq_u32_e32 vcc_lo, 0, v86
	v_or_b32_e32 v58, 0x800000, v84
	v_cndmask_b32_e64 v87, 0, v87, s16
	v_cndmask_b32_e32 v84, v58, v84, vcc_lo
	v_cndmask_b32_e64 v87, v87, 0x6f, vcc_lo
	v_lshl_add_u32 v58, 0x200000, v87, -1
	v_lshlrev_b32_e64 v73, v87, 0x100000
	v_and_b32_e32 v58, v58, v84
	v_cmp_eq_u32_e64 s16, v58, v73
	v_lshrrev_b32_e32 v58, v87, v84
	v_add_nc_u32_e32 v84, 0xffffff91, v86
	v_lshrrev_b32_e32 v86, 23, v58
	v_cndmask_b32_e64 v84, v84, 0xffffff92, vcc_lo
	v_xor_b32_e32 v86, 1, v86
	v_add_nc_u32_e32 v84, v87, v84
	v_bfe_u32 v87, v58, 21, 1
	v_add_nc_u32_e32 v87, -1, v87
	v_cndmask_b32_e64 v87, 0, v87, s16
	s_mov_b32 s16, exec_lo
	v_add_nc_u32_e32 v87, v87, v58
	v_and_b32_e32 v87, 0x1fffff, v87
	v_add_nc_u32_e32 v87, v87, v58
                                        ; implicit-def: $vgpr58
	v_cmpx_ne_u32_e64 v84, v86
	s_xor_b32 s16, exec_lo, s16
; %bb.8185:                             ;   in Loop: Header=BB6_7970 Depth=3
	v_cmp_lt_u32_e32 vcc_lo, 0xffffff, v87
	v_sub_nc_u32_e32 v84, v84, v86
	v_cndmask_b32_e64 v86, 0, 1, vcc_lo
	v_add_co_ci_u32_e64 v58, null, 0, v84, vcc_lo
	v_lshrrev_b32_e32 v87, v86, v87
; %bb.8186:                             ;   in Loop: Header=BB6_7970 Depth=3
	s_andn2_saveexec_b32 s16, s16
; %bb.8187:                             ;   in Loop: Header=BB6_7970 Depth=3
	v_bfe_u32 v58, v87, 23, 1
; %bb.8188:                             ;   in Loop: Header=BB6_7970 Depth=3
	s_or_b32 exec_lo, exec_lo, s16
	v_lshrrev_b32_e32 v86, 21, v87
	v_cmp_gt_i32_e32 vcc_lo, 32, v58
	v_min_i32_e32 v87, 31, v58
	v_and_b32_sdwa v84, v46, v60 dst_sel:DWORD dst_unused:UNUSED_PAD src0_sel:BYTE_3 src1_sel:DWORD
	v_cndmask_b32_e32 v86, 3, v86, vcc_lo
	v_lshlrev_b32_e32 v87, 2, v87
	v_or_b32_e32 v46, v58, v86
	v_and_b32_e32 v86, 3, v86
	v_cmp_ne_u32_e32 vcc_lo, 0, v46
	v_or3_b32 v84, v87, v84, v86
	v_cndmask_b32_e32 v84, 0, v84, vcc_lo
.LBB6_8189:                             ;   in Loop: Header=BB6_7970 Depth=3
	s_or_b32 exec_lo, exec_lo, s23
.LBB6_8190:                             ;   in Loop: Header=BB6_7970 Depth=3
	s_or_b32 exec_lo, exec_lo, s22
	v_cmp_gt_i16_sdwa s22, v85, v59 src0_sel:BYTE_0 src1_sel:DWORD
	s_mov_b32 s16, 0
	s_and_saveexec_b32 s23, s22
	s_xor_b32 s22, exec_lo, s23
	s_cbranch_execz .LBB6_8652
; %bb.8191:                             ;   in Loop: Header=BB6_7970 Depth=3
	v_cmp_eq_u16_sdwa s72, v85, v60 src0_sel:BYTE_0 src1_sel:DWORD
	s_mov_b32 s16, -1
	s_and_saveexec_b32 s23, s72
; %bb.8192:                             ;   in Loop: Header=BB6_7970 Depth=3
	s_xor_b32 s16, exec_lo, -1
; %bb.8193:                             ;   in Loop: Header=BB6_7970 Depth=3
	s_or_b32 exec_lo, exec_lo, s23
	s_and_b32 s16, s16, exec_lo
	s_or_saveexec_b32 s22, s22
	v_mov_b32_e32 v86, 0x7f800001
	s_xor_b32 exec_lo, exec_lo, s22
	s_cbranch_execnz .LBB6_8653
.LBB6_8194:                             ;   in Loop: Header=BB6_7970 Depth=3
	s_or_b32 exec_lo, exec_lo, s22
	s_and_saveexec_b32 s22, s16
	s_cbranch_execz .LBB6_8196
.LBB6_8195:                             ;   in Loop: Header=BB6_7970 Depth=3
	v_and_b32_e32 v86, 3, v85
	v_lshrrev_b16 v46, 2, v85
	v_ffbh_u32_e32 v87, v86
	v_and_b32_e32 v46, 31, v46
	v_min_u32_e32 v87, 32, v87
	v_cmp_eq_u32_e32 vcc_lo, 0, v46
	v_subrev_nc_u32_e32 v58, 29, v87
	v_sub_nc_u32_e32 v87, 30, v87
	v_lshlrev_b32_e32 v58, v58, v85
	v_lshlrev_b32_e32 v85, 24, v85
	v_cndmask_b32_e32 v87, v46, v87, vcc_lo
	v_and_b32_e32 v58, 3, v58
	v_and_b32_e32 v85, 0x80000000, v85
	v_lshl_add_u32 v87, v87, 23, 0x37800000
	v_cndmask_b32_e32 v86, v86, v58, vcc_lo
	v_lshlrev_b32_e32 v86, 21, v86
	v_or3_b32 v86, v85, v87, v86
.LBB6_8196:                             ;   in Loop: Header=BB6_7970 Depth=3
	s_or_b32 exec_lo, exec_lo, s22
	s_waitcnt vmcnt(20) lgkmcnt(20)
	v_cmp_gt_i16_sdwa s22, v91, v59 src0_sel:BYTE_0 src1_sel:DWORD
	s_mov_b32 s16, 0
	s_and_saveexec_b32 s23, s22
	s_xor_b32 s22, exec_lo, s23
	s_cbranch_execz .LBB6_8654
; %bb.8197:                             ;   in Loop: Header=BB6_7970 Depth=3
	v_cmp_eq_u16_sdwa s72, v91, v60 src0_sel:BYTE_0 src1_sel:DWORD
	s_mov_b32 s16, -1
	s_and_saveexec_b32 s23, s72
; %bb.8198:                             ;   in Loop: Header=BB6_7970 Depth=3
	s_xor_b32 s16, exec_lo, -1
; %bb.8199:                             ;   in Loop: Header=BB6_7970 Depth=3
	s_or_b32 exec_lo, exec_lo, s23
	s_and_b32 s16, s16, exec_lo
	s_or_saveexec_b32 s22, s22
	v_mov_b32_e32 v85, 0x7f800001
	s_xor_b32 exec_lo, exec_lo, s22
	s_cbranch_execnz .LBB6_8655
.LBB6_8200:                             ;   in Loop: Header=BB6_7970 Depth=3
	s_or_b32 exec_lo, exec_lo, s22
	s_and_saveexec_b32 s22, s16
	s_cbranch_execz .LBB6_8202
.LBB6_8201:                             ;   in Loop: Header=BB6_7970 Depth=3
	v_and_b32_e32 v85, 3, v91
	v_lshrrev_b16 v46, 2, v91
	v_lshlrev_b32_e32 v73, 24, v91
	v_ffbh_u32_e32 v87, v85
	v_and_b32_e32 v46, 31, v46
	v_min_u32_e32 v87, 32, v87
	v_cmp_eq_u32_e32 vcc_lo, 0, v46
	v_subrev_nc_u32_e32 v58, 29, v87
	v_sub_nc_u32_e32 v87, 30, v87
	v_lshlrev_b32_e32 v58, v58, v91
	v_cndmask_b32_e32 v87, v46, v87, vcc_lo
	v_and_b32_e32 v46, 0x80000000, v73
	v_and_b32_e32 v58, 3, v58
	v_lshl_add_u32 v87, v87, 23, 0x37800000
	v_cndmask_b32_e32 v85, v85, v58, vcc_lo
	v_lshlrev_b32_e32 v85, 21, v85
	v_or3_b32 v85, v46, v87, v85
.LBB6_8202:                             ;   in Loop: Header=BB6_7970 Depth=3
	s_or_b32 exec_lo, exec_lo, s22
	v_mul_f32_e32 v46, v86, v85
	v_and_b32_e32 v85, 0x7f800000, v46
	v_cmp_ne_u32_e32 vcc_lo, 0x7f800000, v85
	v_mov_b32_e32 v85, 0x80
	s_and_saveexec_b32 s22, vcc_lo
	s_cbranch_execz .LBB6_8210
; %bb.8203:                             ;   in Loop: Header=BB6_7970 Depth=3
	v_mov_b32_e32 v85, 0
	s_mov_b32 s23, exec_lo
	v_cmpx_ne_u32_e32 0, v46
	s_cbranch_execz .LBB6_8209
; %bb.8204:                             ;   in Loop: Header=BB6_7970 Depth=3
	v_bfe_u32 v86, v46, 23, 8
	v_and_b32_e32 v85, 0x7fffff, v46
	v_cmp_gt_u32_e64 s16, 0x71, v86
	v_sub_nc_u32_e32 v87, 0x70, v86
	v_cmp_eq_u32_e32 vcc_lo, 0, v86
	v_or_b32_e32 v58, 0x800000, v85
	v_cndmask_b32_e64 v87, 0, v87, s16
	v_cndmask_b32_e32 v85, v58, v85, vcc_lo
	v_cndmask_b32_e64 v87, v87, 0x6f, vcc_lo
	v_lshl_add_u32 v58, 0x200000, v87, -1
	v_lshlrev_b32_e64 v73, v87, 0x100000
	v_and_b32_e32 v58, v58, v85
	v_cmp_eq_u32_e64 s16, v58, v73
	v_lshrrev_b32_e32 v58, v87, v85
	v_add_nc_u32_e32 v85, 0xffffff91, v86
	v_lshrrev_b32_e32 v86, 23, v58
	v_cndmask_b32_e64 v85, v85, 0xffffff92, vcc_lo
	v_xor_b32_e32 v86, 1, v86
	v_add_nc_u32_e32 v85, v87, v85
	v_bfe_u32 v87, v58, 21, 1
	v_add_nc_u32_e32 v87, -1, v87
	v_cndmask_b32_e64 v87, 0, v87, s16
	s_mov_b32 s16, exec_lo
	v_add_nc_u32_e32 v87, v87, v58
	v_and_b32_e32 v87, 0x1fffff, v87
	v_add_nc_u32_e32 v87, v87, v58
                                        ; implicit-def: $vgpr58
	v_cmpx_ne_u32_e64 v85, v86
	s_xor_b32 s16, exec_lo, s16
; %bb.8205:                             ;   in Loop: Header=BB6_7970 Depth=3
	v_cmp_lt_u32_e32 vcc_lo, 0xffffff, v87
	v_sub_nc_u32_e32 v85, v85, v86
	v_cndmask_b32_e64 v86, 0, 1, vcc_lo
	v_add_co_ci_u32_e64 v58, null, 0, v85, vcc_lo
	v_lshrrev_b32_e32 v87, v86, v87
; %bb.8206:                             ;   in Loop: Header=BB6_7970 Depth=3
	s_andn2_saveexec_b32 s16, s16
; %bb.8207:                             ;   in Loop: Header=BB6_7970 Depth=3
	v_bfe_u32 v58, v87, 23, 1
; %bb.8208:                             ;   in Loop: Header=BB6_7970 Depth=3
	s_or_b32 exec_lo, exec_lo, s16
	v_lshrrev_b32_e32 v86, 21, v87
	v_cmp_gt_i32_e32 vcc_lo, 32, v58
	v_min_i32_e32 v87, 31, v58
	v_and_b32_sdwa v85, v46, v60 dst_sel:DWORD dst_unused:UNUSED_PAD src0_sel:BYTE_3 src1_sel:DWORD
	v_cndmask_b32_e32 v86, 3, v86, vcc_lo
	v_lshlrev_b32_e32 v87, 2, v87
	v_or_b32_e32 v46, v58, v86
	v_and_b32_e32 v86, 3, v86
	v_cmp_ne_u32_e32 vcc_lo, 0, v46
	v_or3_b32 v85, v87, v85, v86
	v_cndmask_b32_e32 v85, 0, v85, vcc_lo
.LBB6_8209:                             ;   in Loop: Header=BB6_7970 Depth=3
	s_or_b32 exec_lo, exec_lo, s23
.LBB6_8210:                             ;   in Loop: Header=BB6_7970 Depth=3
	s_or_b32 exec_lo, exec_lo, s22
	v_cmp_gt_i16_sdwa s22, v112, v59 src0_sel:BYTE_0 src1_sel:DWORD
	s_mov_b32 s16, 0
	s_and_saveexec_b32 s23, s22
	s_xor_b32 s22, exec_lo, s23
	s_cbranch_execz .LBB6_8656
; %bb.8211:                             ;   in Loop: Header=BB6_7970 Depth=3
	v_cmp_eq_u16_sdwa s72, v112, v60 src0_sel:BYTE_0 src1_sel:DWORD
	s_mov_b32 s16, -1
	s_and_saveexec_b32 s23, s72
; %bb.8212:                             ;   in Loop: Header=BB6_7970 Depth=3
	s_xor_b32 s16, exec_lo, -1
; %bb.8213:                             ;   in Loop: Header=BB6_7970 Depth=3
	s_or_b32 exec_lo, exec_lo, s23
	s_and_b32 s16, s16, exec_lo
	s_or_saveexec_b32 s22, s22
	v_mov_b32_e32 v86, 0x7f800001
	s_xor_b32 exec_lo, exec_lo, s22
	s_cbranch_execnz .LBB6_8657
.LBB6_8214:                             ;   in Loop: Header=BB6_7970 Depth=3
	s_or_b32 exec_lo, exec_lo, s22
	s_and_saveexec_b32 s22, s16
	s_cbranch_execz .LBB6_8216
.LBB6_8215:                             ;   in Loop: Header=BB6_7970 Depth=3
	v_and_b32_e32 v86, 3, v112
	v_lshrrev_b16 v46, 2, v112
	v_ffbh_u32_e32 v87, v86
	v_and_b32_e32 v46, 31, v46
	v_min_u32_e32 v87, 32, v87
	v_cmp_eq_u32_e32 vcc_lo, 0, v46
	v_subrev_nc_u32_e32 v58, 29, v87
	v_sub_nc_u32_e32 v87, 30, v87
	v_lshlrev_b32_e32 v58, v58, v112
	v_lshlrev_b32_e32 v112, 24, v112
	v_cndmask_b32_e32 v87, v46, v87, vcc_lo
	v_and_b32_e32 v58, 3, v58
	v_and_b32_e32 v112, 0x80000000, v112
	v_lshl_add_u32 v87, v87, 23, 0x37800000
	v_cndmask_b32_e32 v86, v86, v58, vcc_lo
	v_lshlrev_b32_e32 v86, 21, v86
	v_or3_b32 v86, v112, v87, v86
.LBB6_8216:                             ;   in Loop: Header=BB6_7970 Depth=3
	s_or_b32 exec_lo, exec_lo, s22
	s_waitcnt vmcnt(19) lgkmcnt(19)
	v_cmp_gt_i16_sdwa s22, v43, v59 src0_sel:BYTE_0 src1_sel:DWORD
	s_mov_b32 s16, 0
	s_and_saveexec_b32 s23, s22
	s_xor_b32 s22, exec_lo, s23
	s_cbranch_execz .LBB6_8658
; %bb.8217:                             ;   in Loop: Header=BB6_7970 Depth=3
	v_cmp_eq_u16_sdwa s72, v43, v60 src0_sel:BYTE_0 src1_sel:DWORD
	s_mov_b32 s16, -1
	s_and_saveexec_b32 s23, s72
; %bb.8218:                             ;   in Loop: Header=BB6_7970 Depth=3
	s_xor_b32 s16, exec_lo, -1
; %bb.8219:                             ;   in Loop: Header=BB6_7970 Depth=3
	s_or_b32 exec_lo, exec_lo, s23
	s_and_b32 s16, s16, exec_lo
	s_or_saveexec_b32 s22, s22
	v_mov_b32_e32 v87, 0x7f800001
	s_xor_b32 exec_lo, exec_lo, s22
	s_cbranch_execnz .LBB6_8659
.LBB6_8220:                             ;   in Loop: Header=BB6_7970 Depth=3
	s_or_b32 exec_lo, exec_lo, s22
	s_and_saveexec_b32 s22, s16
	s_cbranch_execz .LBB6_8222
.LBB6_8221:                             ;   in Loop: Header=BB6_7970 Depth=3
	v_and_b32_e32 v87, 3, v43
	v_lshrrev_b16 v46, 2, v43
	v_ffbh_u32_e32 v112, v87
	v_and_b32_e32 v46, 31, v46
	v_min_u32_e32 v112, 32, v112
	v_cmp_eq_u32_e32 vcc_lo, 0, v46
	v_subrev_nc_u32_e32 v58, 29, v112
	v_sub_nc_u32_e32 v112, 30, v112
	v_lshlrev_b32_e32 v58, v58, v43
	v_lshlrev_b32_e32 v43, 24, v43
	v_cndmask_b32_e32 v112, v46, v112, vcc_lo
	v_and_b32_e32 v58, 3, v58
	v_and_b32_e32 v43, 0x80000000, v43
	v_lshl_add_u32 v112, v112, 23, 0x37800000
	v_cndmask_b32_e32 v87, v87, v58, vcc_lo
	v_lshlrev_b32_e32 v87, 21, v87
	v_or3_b32 v87, v43, v112, v87
.LBB6_8222:                             ;   in Loop: Header=BB6_7970 Depth=3
	s_or_b32 exec_lo, exec_lo, s22
	v_mul_f32_e32 v43, v86, v87
	v_mov_b32_e32 v112, 0x80
	s_mov_b32 s22, exec_lo
	v_and_b32_e32 v86, 0x7f800000, v43
	v_cmpx_ne_u32_e32 0x7f800000, v86
	s_cbranch_execz .LBB6_8230
; %bb.8223:                             ;   in Loop: Header=BB6_7970 Depth=3
	v_mov_b32_e32 v112, 0
	s_mov_b32 s23, exec_lo
	v_cmpx_ne_u32_e32 0, v43
	s_cbranch_execz .LBB6_8229
; %bb.8224:                             ;   in Loop: Header=BB6_7970 Depth=3
	v_bfe_u32 v87, v43, 23, 8
	v_and_b32_e32 v86, 0x7fffff, v43
	v_cmp_gt_u32_e64 s16, 0x71, v87
	v_sub_nc_u32_e32 v112, 0x70, v87
	v_cmp_eq_u32_e32 vcc_lo, 0, v87
	v_or_b32_e32 v46, 0x800000, v86
	v_cndmask_b32_e64 v112, 0, v112, s16
	v_cndmask_b32_e32 v86, v46, v86, vcc_lo
	v_cndmask_b32_e64 v112, v112, 0x6f, vcc_lo
	v_lshl_add_u32 v46, 0x200000, v112, -1
	v_lshlrev_b32_e64 v58, v112, 0x100000
	v_and_b32_e32 v46, v46, v86
	v_cmp_eq_u32_e64 s16, v46, v58
	v_lshrrev_b32_e32 v46, v112, v86
	v_add_nc_u32_e32 v86, 0xffffff91, v87
	v_lshrrev_b32_e32 v87, 23, v46
	v_cndmask_b32_e64 v86, v86, 0xffffff92, vcc_lo
	v_xor_b32_e32 v87, 1, v87
	v_add_nc_u32_e32 v86, v112, v86
	v_bfe_u32 v112, v46, 21, 1
	v_add_nc_u32_e32 v112, -1, v112
	v_cndmask_b32_e64 v112, 0, v112, s16
	s_mov_b32 s16, exec_lo
	v_add_nc_u32_e32 v112, v112, v46
	v_and_b32_e32 v112, 0x1fffff, v112
	v_add_nc_u32_e32 v112, v112, v46
                                        ; implicit-def: $vgpr46
	v_cmpx_ne_u32_e64 v86, v87
	s_xor_b32 s16, exec_lo, s16
; %bb.8225:                             ;   in Loop: Header=BB6_7970 Depth=3
	v_cmp_lt_u32_e32 vcc_lo, 0xffffff, v112
	v_sub_nc_u32_e32 v86, v86, v87
	v_cndmask_b32_e64 v87, 0, 1, vcc_lo
	v_add_co_ci_u32_e64 v46, null, 0, v86, vcc_lo
	v_lshrrev_b32_e32 v112, v87, v112
; %bb.8226:                             ;   in Loop: Header=BB6_7970 Depth=3
	s_andn2_saveexec_b32 s16, s16
; %bb.8227:                             ;   in Loop: Header=BB6_7970 Depth=3
	v_bfe_u32 v46, v112, 23, 1
; %bb.8228:                             ;   in Loop: Header=BB6_7970 Depth=3
	s_or_b32 exec_lo, exec_lo, s16
	v_lshrrev_b32_e32 v87, 21, v112
	v_cmp_gt_i32_e32 vcc_lo, 32, v46
	v_min_i32_e32 v112, 31, v46
	v_and_b32_sdwa v86, v43, v60 dst_sel:DWORD dst_unused:UNUSED_PAD src0_sel:BYTE_3 src1_sel:DWORD
	v_cndmask_b32_e32 v87, 3, v87, vcc_lo
	v_lshlrev_b32_e32 v112, 2, v112
	v_or_b32_e32 v43, v46, v87
	v_and_b32_e32 v87, 3, v87
	v_cmp_ne_u32_e32 vcc_lo, 0, v43
	v_or3_b32 v86, v112, v86, v87
	v_cndmask_b32_e32 v112, 0, v86, vcc_lo
.LBB6_8229:                             ;   in Loop: Header=BB6_7970 Depth=3
	s_or_b32 exec_lo, exec_lo, s23
.LBB6_8230:                             ;   in Loop: Header=BB6_7970 Depth=3
	s_or_b32 exec_lo, exec_lo, s22
	v_cmp_gt_i16_sdwa s22, v115, v59 src0_sel:BYTE_0 src1_sel:DWORD
	s_mov_b32 s16, 0
	s_and_saveexec_b32 s23, s22
	s_xor_b32 s22, exec_lo, s23
	s_cbranch_execz .LBB6_8660
; %bb.8231:                             ;   in Loop: Header=BB6_7970 Depth=3
	v_cmp_eq_u16_sdwa s72, v115, v60 src0_sel:BYTE_0 src1_sel:DWORD
	s_mov_b32 s16, -1
	s_and_saveexec_b32 s23, s72
; %bb.8232:                             ;   in Loop: Header=BB6_7970 Depth=3
	s_xor_b32 s16, exec_lo, -1
; %bb.8233:                             ;   in Loop: Header=BB6_7970 Depth=3
	s_or_b32 exec_lo, exec_lo, s23
	s_and_b32 s16, s16, exec_lo
	s_or_saveexec_b32 s22, s22
	v_mov_b32_e32 v86, 0x7f800001
	s_xor_b32 exec_lo, exec_lo, s22
	s_cbranch_execnz .LBB6_8661
.LBB6_8234:                             ;   in Loop: Header=BB6_7970 Depth=3
	s_or_b32 exec_lo, exec_lo, s22
	s_and_saveexec_b32 s22, s16
	s_cbranch_execz .LBB6_8236
.LBB6_8235:                             ;   in Loop: Header=BB6_7970 Depth=3
	v_and_b32_e32 v86, 3, v115
	v_lshrrev_b16 v43, 2, v115
	v_ffbh_u32_e32 v87, v86
	v_and_b32_e32 v43, 31, v43
	v_min_u32_e32 v87, 32, v87
	v_cmp_eq_u32_e32 vcc_lo, 0, v43
	v_subrev_nc_u32_e32 v46, 29, v87
	v_sub_nc_u32_e32 v87, 30, v87
	v_lshlrev_b32_e32 v46, v46, v115
	v_lshlrev_b32_e32 v115, 24, v115
	v_cndmask_b32_e32 v87, v43, v87, vcc_lo
	v_and_b32_e32 v46, 3, v46
	v_and_b32_e32 v115, 0x80000000, v115
	v_lshl_add_u32 v87, v87, 23, 0x37800000
	v_cndmask_b32_e32 v86, v86, v46, vcc_lo
	v_lshlrev_b32_e32 v86, 21, v86
	v_or3_b32 v86, v115, v87, v86
.LBB6_8236:                             ;   in Loop: Header=BB6_7970 Depth=3
	s_or_b32 exec_lo, exec_lo, s22
	s_waitcnt vmcnt(18) lgkmcnt(18)
	v_cmp_gt_i16_sdwa s22, v118, v59 src0_sel:BYTE_0 src1_sel:DWORD
	s_mov_b32 s16, 0
	s_and_saveexec_b32 s23, s22
	s_xor_b32 s22, exec_lo, s23
	s_cbranch_execz .LBB6_8662
; %bb.8237:                             ;   in Loop: Header=BB6_7970 Depth=3
	v_cmp_eq_u16_sdwa s72, v118, v60 src0_sel:BYTE_0 src1_sel:DWORD
	s_mov_b32 s16, -1
	s_and_saveexec_b32 s23, s72
; %bb.8238:                             ;   in Loop: Header=BB6_7970 Depth=3
	s_xor_b32 s16, exec_lo, -1
; %bb.8239:                             ;   in Loop: Header=BB6_7970 Depth=3
	s_or_b32 exec_lo, exec_lo, s23
	s_and_b32 s16, s16, exec_lo
	s_or_saveexec_b32 s22, s22
	v_mov_b32_e32 v87, 0x7f800001
	s_xor_b32 exec_lo, exec_lo, s22
	s_cbranch_execnz .LBB6_8663
.LBB6_8240:                             ;   in Loop: Header=BB6_7970 Depth=3
	s_or_b32 exec_lo, exec_lo, s22
	s_and_saveexec_b32 s22, s16
	s_cbranch_execz .LBB6_8242
.LBB6_8241:                             ;   in Loop: Header=BB6_7970 Depth=3
	v_and_b32_e32 v87, 3, v118
	v_lshrrev_b16 v43, 2, v118
	v_ffbh_u32_e32 v115, v87
	v_and_b32_e32 v43, 31, v43
	v_min_u32_e32 v115, 32, v115
	v_cmp_eq_u32_e32 vcc_lo, 0, v43
	v_subrev_nc_u32_e32 v46, 29, v115
	v_sub_nc_u32_e32 v115, 30, v115
	v_lshlrev_b32_e32 v46, v46, v118
	v_lshlrev_b32_e32 v118, 24, v118
	v_cndmask_b32_e32 v115, v43, v115, vcc_lo
	v_and_b32_e32 v46, 3, v46
	v_and_b32_e32 v118, 0x80000000, v118
	v_lshl_add_u32 v115, v115, 23, 0x37800000
	v_cndmask_b32_e32 v87, v87, v46, vcc_lo
	v_lshlrev_b32_e32 v87, 21, v87
	v_or3_b32 v87, v118, v115, v87
.LBB6_8242:                             ;   in Loop: Header=BB6_7970 Depth=3
	s_or_b32 exec_lo, exec_lo, s22
	v_mul_f32_e32 v118, v86, v87
	v_mov_b32_e32 v115, 0x80
	s_mov_b32 s22, exec_lo
	v_and_b32_e32 v86, 0x7f800000, v118
	v_cmpx_ne_u32_e32 0x7f800000, v86
	s_cbranch_execz .LBB6_8250
; %bb.8243:                             ;   in Loop: Header=BB6_7970 Depth=3
	v_mov_b32_e32 v115, 0
	s_mov_b32 s23, exec_lo
	v_cmpx_ne_u32_e32 0, v118
	s_cbranch_execz .LBB6_8249
; %bb.8244:                             ;   in Loop: Header=BB6_7970 Depth=3
	v_bfe_u32 v87, v118, 23, 8
	v_and_b32_e32 v86, 0x7fffff, v118
	v_cmp_gt_u32_e64 s16, 0x71, v87
	v_sub_nc_u32_e32 v115, 0x70, v87
	v_cmp_eq_u32_e32 vcc_lo, 0, v87
	v_or_b32_e32 v43, 0x800000, v86
	v_cndmask_b32_e64 v115, 0, v115, s16
	v_cndmask_b32_e32 v86, v43, v86, vcc_lo
	v_cndmask_b32_e64 v115, v115, 0x6f, vcc_lo
	v_lshl_add_u32 v43, 0x200000, v115, -1
	v_lshlrev_b32_e64 v46, v115, 0x100000
	v_and_b32_e32 v43, v43, v86
	v_cmp_eq_u32_e64 s16, v43, v46
	v_lshrrev_b32_e32 v43, v115, v86
	v_add_nc_u32_e32 v86, 0xffffff91, v87
	v_lshrrev_b32_e32 v87, 23, v43
	v_cndmask_b32_e64 v86, v86, 0xffffff92, vcc_lo
	v_xor_b32_e32 v87, 1, v87
	v_add_nc_u32_e32 v86, v115, v86
	v_bfe_u32 v115, v43, 21, 1
	v_add_nc_u32_e32 v115, -1, v115
	v_cndmask_b32_e64 v115, 0, v115, s16
	s_mov_b32 s16, exec_lo
	v_add_nc_u32_e32 v115, v115, v43
	v_and_b32_e32 v115, 0x1fffff, v115
	v_add_nc_u32_e32 v115, v115, v43
                                        ; implicit-def: $vgpr43
	v_cmpx_ne_u32_e64 v86, v87
	s_xor_b32 s16, exec_lo, s16
; %bb.8245:                             ;   in Loop: Header=BB6_7970 Depth=3
	v_cmp_lt_u32_e32 vcc_lo, 0xffffff, v115
	v_sub_nc_u32_e32 v86, v86, v87
	v_cndmask_b32_e64 v87, 0, 1, vcc_lo
	v_add_co_ci_u32_e64 v43, null, 0, v86, vcc_lo
	v_lshrrev_b32_e32 v115, v87, v115
; %bb.8246:                             ;   in Loop: Header=BB6_7970 Depth=3
	s_andn2_saveexec_b32 s16, s16
; %bb.8247:                             ;   in Loop: Header=BB6_7970 Depth=3
	v_bfe_u32 v43, v115, 23, 1
; %bb.8248:                             ;   in Loop: Header=BB6_7970 Depth=3
	s_or_b32 exec_lo, exec_lo, s16
	v_lshrrev_b32_e32 v87, 21, v115
	v_cmp_gt_i32_e32 vcc_lo, 32, v43
	v_min_i32_e32 v115, 31, v43
	v_and_b32_sdwa v86, v118, v60 dst_sel:DWORD dst_unused:UNUSED_PAD src0_sel:BYTE_3 src1_sel:DWORD
	v_cndmask_b32_e32 v87, 3, v87, vcc_lo
	v_lshlrev_b32_e32 v115, 2, v115
	v_or_b32_e32 v118, v43, v87
	v_and_b32_e32 v87, 3, v87
	v_cmp_ne_u32_e32 vcc_lo, 0, v118
	v_or3_b32 v86, v115, v86, v87
	v_cndmask_b32_e32 v115, 0, v86, vcc_lo
.LBB6_8249:                             ;   in Loop: Header=BB6_7970 Depth=3
	s_or_b32 exec_lo, exec_lo, s23
.LBB6_8250:                             ;   in Loop: Header=BB6_7970 Depth=3
	s_or_b32 exec_lo, exec_lo, s22
	v_cmp_gt_i16_sdwa s22, v98, v59 src0_sel:BYTE_0 src1_sel:DWORD
	s_mov_b32 s16, 0
	s_and_saveexec_b32 s23, s22
	s_xor_b32 s22, exec_lo, s23
	s_cbranch_execz .LBB6_8664
; %bb.8251:                             ;   in Loop: Header=BB6_7970 Depth=3
	v_cmp_eq_u16_sdwa s72, v98, v60 src0_sel:BYTE_0 src1_sel:DWORD
	s_mov_b32 s16, -1
	s_and_saveexec_b32 s23, s72
; %bb.8252:                             ;   in Loop: Header=BB6_7970 Depth=3
	s_xor_b32 s16, exec_lo, -1
; %bb.8253:                             ;   in Loop: Header=BB6_7970 Depth=3
	s_or_b32 exec_lo, exec_lo, s23
	s_and_b32 s16, s16, exec_lo
	s_or_saveexec_b32 s22, s22
	v_mov_b32_e32 v86, 0x7f800001
	s_xor_b32 exec_lo, exec_lo, s22
	s_cbranch_execnz .LBB6_8665
.LBB6_8254:                             ;   in Loop: Header=BB6_7970 Depth=3
	s_or_b32 exec_lo, exec_lo, s22
	s_and_saveexec_b32 s22, s16
	s_cbranch_execz .LBB6_8256
.LBB6_8255:                             ;   in Loop: Header=BB6_7970 Depth=3
	v_and_b32_e32 v86, 3, v98
	v_lshrrev_b16 v118, 2, v98
	v_ffbh_u32_e32 v87, v86
	v_and_b32_e32 v118, 31, v118
	v_min_u32_e32 v87, 32, v87
	v_cmp_eq_u32_e32 vcc_lo, 0, v118
	v_subrev_nc_u32_e32 v43, 29, v87
	v_sub_nc_u32_e32 v87, 30, v87
	v_lshlrev_b32_e32 v43, v43, v98
	v_lshlrev_b32_e32 v98, 24, v98
	v_cndmask_b32_e32 v87, v118, v87, vcc_lo
	v_and_b32_e32 v43, 3, v43
	v_and_b32_e32 v98, 0x80000000, v98
	v_lshl_add_u32 v87, v87, 23, 0x37800000
	v_cndmask_b32_e32 v86, v86, v43, vcc_lo
	v_lshlrev_b32_e32 v86, 21, v86
	v_or3_b32 v86, v98, v87, v86
.LBB6_8256:                             ;   in Loop: Header=BB6_7970 Depth=3
	s_or_b32 exec_lo, exec_lo, s22
	s_waitcnt vmcnt(17) lgkmcnt(17)
	v_cmp_gt_i16_sdwa s22, v99, v59 src0_sel:BYTE_0 src1_sel:DWORD
	s_mov_b32 s16, 0
	s_and_saveexec_b32 s23, s22
	s_xor_b32 s22, exec_lo, s23
	s_cbranch_execz .LBB6_8666
; %bb.8257:                             ;   in Loop: Header=BB6_7970 Depth=3
	v_cmp_eq_u16_sdwa s72, v99, v60 src0_sel:BYTE_0 src1_sel:DWORD
	s_mov_b32 s16, -1
	s_and_saveexec_b32 s23, s72
; %bb.8258:                             ;   in Loop: Header=BB6_7970 Depth=3
	s_xor_b32 s16, exec_lo, -1
; %bb.8259:                             ;   in Loop: Header=BB6_7970 Depth=3
	s_or_b32 exec_lo, exec_lo, s23
	s_and_b32 s16, s16, exec_lo
	s_or_saveexec_b32 s22, s22
	v_mov_b32_e32 v87, 0x7f800001
	s_xor_b32 exec_lo, exec_lo, s22
	s_cbranch_execnz .LBB6_8667
.LBB6_8260:                             ;   in Loop: Header=BB6_7970 Depth=3
	s_or_b32 exec_lo, exec_lo, s22
	s_and_saveexec_b32 s22, s16
	s_cbranch_execz .LBB6_8262
.LBB6_8261:                             ;   in Loop: Header=BB6_7970 Depth=3
	v_and_b32_e32 v87, 3, v99
	v_lshrrev_b16 v118, 2, v99
	v_ffbh_u32_e32 v98, v87
	v_and_b32_e32 v118, 31, v118
	v_min_u32_e32 v98, 32, v98
	v_cmp_eq_u32_e32 vcc_lo, 0, v118
	v_subrev_nc_u32_e32 v43, 29, v98
	v_sub_nc_u32_e32 v98, 30, v98
	v_lshlrev_b32_e32 v43, v43, v99
	v_lshlrev_b32_e32 v99, 24, v99
	v_cndmask_b32_e32 v98, v118, v98, vcc_lo
	v_and_b32_e32 v43, 3, v43
	v_and_b32_e32 v99, 0x80000000, v99
	v_lshl_add_u32 v98, v98, 23, 0x37800000
	v_cndmask_b32_e32 v87, v87, v43, vcc_lo
	v_lshlrev_b32_e32 v87, 21, v87
	v_or3_b32 v87, v99, v98, v87
.LBB6_8262:                             ;   in Loop: Header=BB6_7970 Depth=3
	s_or_b32 exec_lo, exec_lo, s22
	v_mul_f32_e32 v98, v86, v87
	v_mov_b32_e32 v118, 0x80
	s_mov_b32 s22, exec_lo
	v_and_b32_e32 v86, 0x7f800000, v98
	v_cmpx_ne_u32_e32 0x7f800000, v86
	s_cbranch_execz .LBB6_8270
; %bb.8263:                             ;   in Loop: Header=BB6_7970 Depth=3
	v_mov_b32_e32 v118, 0
	s_mov_b32 s23, exec_lo
	v_cmpx_ne_u32_e32 0, v98
	s_cbranch_execz .LBB6_8269
; %bb.8264:                             ;   in Loop: Header=BB6_7970 Depth=3
	v_bfe_u32 v87, v98, 23, 8
	v_and_b32_e32 v86, 0x7fffff, v98
	v_cmp_gt_u32_e64 s16, 0x71, v87
	v_sub_nc_u32_e32 v99, 0x70, v87
	v_cmp_eq_u32_e32 vcc_lo, 0, v87
	v_or_b32_e32 v118, 0x800000, v86
	v_cndmask_b32_e64 v99, 0, v99, s16
	v_cndmask_b32_e32 v86, v118, v86, vcc_lo
	v_cndmask_b32_e64 v99, v99, 0x6f, vcc_lo
	v_lshl_add_u32 v118, 0x200000, v99, -1
	v_lshlrev_b32_e64 v43, v99, 0x100000
	v_and_b32_e32 v118, v118, v86
	v_cmp_eq_u32_e64 s16, v118, v43
	v_lshrrev_b32_e32 v118, v99, v86
	v_add_nc_u32_e32 v86, 0xffffff91, v87
	v_lshrrev_b32_e32 v87, 23, v118
	v_cndmask_b32_e64 v86, v86, 0xffffff92, vcc_lo
	v_xor_b32_e32 v87, 1, v87
	v_add_nc_u32_e32 v86, v99, v86
	v_bfe_u32 v99, v118, 21, 1
	v_add_nc_u32_e32 v99, -1, v99
	v_cndmask_b32_e64 v99, 0, v99, s16
	s_mov_b32 s16, exec_lo
	v_add_nc_u32_e32 v99, v99, v118
	v_and_b32_e32 v99, 0x1fffff, v99
	v_add_nc_u32_e32 v99, v99, v118
                                        ; implicit-def: $vgpr118
	v_cmpx_ne_u32_e64 v86, v87
	s_xor_b32 s16, exec_lo, s16
; %bb.8265:                             ;   in Loop: Header=BB6_7970 Depth=3
	v_cmp_lt_u32_e32 vcc_lo, 0xffffff, v99
	v_sub_nc_u32_e32 v86, v86, v87
	v_cndmask_b32_e64 v87, 0, 1, vcc_lo
	v_add_co_ci_u32_e64 v118, null, 0, v86, vcc_lo
	v_lshrrev_b32_e32 v99, v87, v99
; %bb.8266:                             ;   in Loop: Header=BB6_7970 Depth=3
	s_andn2_saveexec_b32 s16, s16
; %bb.8267:                             ;   in Loop: Header=BB6_7970 Depth=3
	v_bfe_u32 v118, v99, 23, 1
; %bb.8268:                             ;   in Loop: Header=BB6_7970 Depth=3
	s_or_b32 exec_lo, exec_lo, s16
	v_lshrrev_b32_e32 v87, 21, v99
	v_cmp_gt_i32_e32 vcc_lo, 32, v118
	v_and_b32_sdwa v86, v98, v60 dst_sel:DWORD dst_unused:UNUSED_PAD src0_sel:BYTE_3 src1_sel:DWORD
	v_min_i32_e32 v98, 31, v118
	v_cndmask_b32_e32 v87, 3, v87, vcc_lo
	v_lshlrev_b32_e32 v98, 2, v98
	v_or_b32_e32 v99, v118, v87
	v_and_b32_e32 v87, 3, v87
	v_cmp_ne_u32_e32 vcc_lo, 0, v99
	v_or3_b32 v86, v98, v86, v87
	v_cndmask_b32_e32 v118, 0, v86, vcc_lo
.LBB6_8269:                             ;   in Loop: Header=BB6_7970 Depth=3
	s_or_b32 exec_lo, exec_lo, s23
.LBB6_8270:                             ;   in Loop: Header=BB6_7970 Depth=3
	s_or_b32 exec_lo, exec_lo, s22
	v_cmp_gt_i16_sdwa s22, v41, v59 src0_sel:BYTE_0 src1_sel:DWORD
	s_mov_b32 s16, 0
	s_and_saveexec_b32 s23, s22
	s_xor_b32 s22, exec_lo, s23
	s_cbranch_execz .LBB6_8668
; %bb.8271:                             ;   in Loop: Header=BB6_7970 Depth=3
	v_cmp_eq_u16_sdwa s72, v41, v60 src0_sel:BYTE_0 src1_sel:DWORD
	s_mov_b32 s16, -1
	s_and_saveexec_b32 s23, s72
; %bb.8272:                             ;   in Loop: Header=BB6_7970 Depth=3
	s_xor_b32 s16, exec_lo, -1
; %bb.8273:                             ;   in Loop: Header=BB6_7970 Depth=3
	s_or_b32 exec_lo, exec_lo, s23
	s_and_b32 s16, s16, exec_lo
	s_or_saveexec_b32 s22, s22
	v_mov_b32_e32 v86, 0x7f800001
	s_xor_b32 exec_lo, exec_lo, s22
	s_cbranch_execnz .LBB6_8669
.LBB6_8274:                             ;   in Loop: Header=BB6_7970 Depth=3
	s_or_b32 exec_lo, exec_lo, s22
	s_and_saveexec_b32 s22, s16
	s_cbranch_execz .LBB6_8276
.LBB6_8275:                             ;   in Loop: Header=BB6_7970 Depth=3
	v_and_b32_e32 v86, 3, v41
	v_lshrrev_b16 v98, 2, v41
	v_ffbh_u32_e32 v87, v86
	v_and_b32_e32 v98, 31, v98
	v_min_u32_e32 v87, 32, v87
	v_cmp_eq_u32_e32 vcc_lo, 0, v98
	v_subrev_nc_u32_e32 v99, 29, v87
	v_sub_nc_u32_e32 v87, 30, v87
	v_lshlrev_b32_e32 v99, v99, v41
	v_lshlrev_b32_e32 v41, 24, v41
	v_cndmask_b32_e32 v87, v98, v87, vcc_lo
	v_and_b32_e32 v99, 3, v99
	v_and_b32_e32 v98, 0x80000000, v41
	v_lshl_add_u32 v87, v87, 23, 0x37800000
	v_cndmask_b32_e32 v86, v86, v99, vcc_lo
	v_lshlrev_b32_e32 v86, 21, v86
	v_or3_b32 v86, v98, v87, v86
.LBB6_8276:                             ;   in Loop: Header=BB6_7970 Depth=3
	s_or_b32 exec_lo, exec_lo, s22
	s_waitcnt vmcnt(16) lgkmcnt(16)
	v_cmp_gt_i16_sdwa s22, v42, v59 src0_sel:BYTE_0 src1_sel:DWORD
	s_mov_b32 s16, 0
	s_and_saveexec_b32 s23, s22
	s_xor_b32 s22, exec_lo, s23
	s_cbranch_execz .LBB6_8670
; %bb.8277:                             ;   in Loop: Header=BB6_7970 Depth=3
	v_cmp_eq_u16_sdwa s72, v42, v60 src0_sel:BYTE_0 src1_sel:DWORD
	s_mov_b32 s16, -1
	s_and_saveexec_b32 s23, s72
; %bb.8278:                             ;   in Loop: Header=BB6_7970 Depth=3
	s_xor_b32 s16, exec_lo, -1
; %bb.8279:                             ;   in Loop: Header=BB6_7970 Depth=3
	s_or_b32 exec_lo, exec_lo, s23
	s_and_b32 s16, s16, exec_lo
	s_or_saveexec_b32 s22, s22
	v_mov_b32_e32 v87, 0x7f800001
	s_xor_b32 exec_lo, exec_lo, s22
	s_cbranch_execnz .LBB6_8671
.LBB6_8280:                             ;   in Loop: Header=BB6_7970 Depth=3
	s_or_b32 exec_lo, exec_lo, s22
	s_and_saveexec_b32 s22, s16
	s_cbranch_execz .LBB6_8282
.LBB6_8281:                             ;   in Loop: Header=BB6_7970 Depth=3
	v_and_b32_e32 v87, 3, v42
	v_lshrrev_b16 v99, 2, v42
	v_ffbh_u32_e32 v98, v87
	v_and_b32_e32 v99, 31, v99
	v_min_u32_e32 v98, 32, v98
	v_cmp_eq_u32_e32 vcc_lo, 0, v99
	v_subrev_nc_u32_e32 v41, 29, v98
	v_sub_nc_u32_e32 v98, 30, v98
	v_lshlrev_b32_e32 v41, v41, v42
	v_lshlrev_b32_e32 v42, 24, v42
	v_cndmask_b32_e32 v98, v99, v98, vcc_lo
	v_and_b32_e32 v41, 3, v41
	v_and_b32_e32 v99, 0x80000000, v42
	v_lshl_add_u32 v98, v98, 23, 0x37800000
	v_cndmask_b32_e32 v87, v87, v41, vcc_lo
	v_lshlrev_b32_e32 v87, 21, v87
	v_or3_b32 v87, v99, v98, v87
.LBB6_8282:                             ;   in Loop: Header=BB6_7970 Depth=3
	s_or_b32 exec_lo, exec_lo, s22
	v_mul_f32_e32 v98, v86, v87
	v_mov_b32_e32 v41, 0x80
	s_mov_b32 s22, exec_lo
	v_and_b32_e32 v86, 0x7f800000, v98
	v_cmpx_ne_u32_e32 0x7f800000, v86
	s_cbranch_execz .LBB6_8290
; %bb.8283:                             ;   in Loop: Header=BB6_7970 Depth=3
	v_mov_b32_e32 v41, 0
	s_mov_b32 s23, exec_lo
	v_cmpx_ne_u32_e32 0, v98
	s_cbranch_execz .LBB6_8289
; %bb.8284:                             ;   in Loop: Header=BB6_7970 Depth=3
	v_bfe_u32 v87, v98, 23, 8
	v_and_b32_e32 v86, 0x7fffff, v98
	v_cmp_gt_u32_e64 s16, 0x71, v87
	v_sub_nc_u32_e32 v99, 0x70, v87
	v_cmp_eq_u32_e32 vcc_lo, 0, v87
	v_or_b32_e32 v41, 0x800000, v86
	v_cndmask_b32_e64 v99, 0, v99, s16
	v_cndmask_b32_e32 v86, v41, v86, vcc_lo
	v_cndmask_b32_e64 v99, v99, 0x6f, vcc_lo
	v_lshl_add_u32 v41, 0x200000, v99, -1
	v_lshlrev_b32_e64 v42, v99, 0x100000
	v_and_b32_e32 v41, v41, v86
	v_cmp_eq_u32_e64 s16, v41, v42
	v_lshrrev_b32_e32 v41, v99, v86
	v_add_nc_u32_e32 v86, 0xffffff91, v87
	v_lshrrev_b32_e32 v87, 23, v41
	v_cndmask_b32_e64 v86, v86, 0xffffff92, vcc_lo
	v_xor_b32_e32 v87, 1, v87
	v_add_nc_u32_e32 v86, v99, v86
	v_bfe_u32 v99, v41, 21, 1
	v_add_nc_u32_e32 v99, -1, v99
	v_cndmask_b32_e64 v99, 0, v99, s16
	s_mov_b32 s16, exec_lo
	v_add_nc_u32_e32 v99, v99, v41
	v_and_b32_e32 v99, 0x1fffff, v99
	v_add_nc_u32_e32 v99, v99, v41
                                        ; implicit-def: $vgpr41
	v_cmpx_ne_u32_e64 v86, v87
	s_xor_b32 s16, exec_lo, s16
; %bb.8285:                             ;   in Loop: Header=BB6_7970 Depth=3
	v_cmp_lt_u32_e32 vcc_lo, 0xffffff, v99
	v_sub_nc_u32_e32 v86, v86, v87
	v_cndmask_b32_e64 v87, 0, 1, vcc_lo
	v_add_co_ci_u32_e64 v41, null, 0, v86, vcc_lo
	v_lshrrev_b32_e32 v99, v87, v99
; %bb.8286:                             ;   in Loop: Header=BB6_7970 Depth=3
	s_andn2_saveexec_b32 s16, s16
; %bb.8287:                             ;   in Loop: Header=BB6_7970 Depth=3
	v_bfe_u32 v41, v99, 23, 1
; %bb.8288:                             ;   in Loop: Header=BB6_7970 Depth=3
	s_or_b32 exec_lo, exec_lo, s16
	v_lshrrev_b32_e32 v87, 21, v99
	v_cmp_gt_i32_e32 vcc_lo, 32, v41
	v_and_b32_sdwa v86, v98, v60 dst_sel:DWORD dst_unused:UNUSED_PAD src0_sel:BYTE_3 src1_sel:DWORD
	v_min_i32_e32 v98, 31, v41
	v_cndmask_b32_e32 v87, 3, v87, vcc_lo
	v_lshlrev_b32_e32 v98, 2, v98
	v_or_b32_e32 v99, v41, v87
	v_and_b32_e32 v87, 3, v87
	v_cmp_ne_u32_e32 vcc_lo, 0, v99
	v_or3_b32 v86, v98, v86, v87
	v_cndmask_b32_e32 v41, 0, v86, vcc_lo
.LBB6_8289:                             ;   in Loop: Header=BB6_7970 Depth=3
	s_or_b32 exec_lo, exec_lo, s23
.LBB6_8290:                             ;   in Loop: Header=BB6_7970 Depth=3
	s_or_b32 exec_lo, exec_lo, s22
	v_cmp_gt_i16_sdwa s22, v119, v59 src0_sel:BYTE_0 src1_sel:DWORD
	s_mov_b32 s16, 0
	s_and_saveexec_b32 s23, s22
	s_xor_b32 s22, exec_lo, s23
	s_cbranch_execz .LBB6_8672
; %bb.8291:                             ;   in Loop: Header=BB6_7970 Depth=3
	v_cmp_eq_u16_sdwa s72, v119, v60 src0_sel:BYTE_0 src1_sel:DWORD
	s_mov_b32 s16, -1
	s_and_saveexec_b32 s23, s72
; %bb.8292:                             ;   in Loop: Header=BB6_7970 Depth=3
	s_xor_b32 s16, exec_lo, -1
; %bb.8293:                             ;   in Loop: Header=BB6_7970 Depth=3
	s_or_b32 exec_lo, exec_lo, s23
	s_and_b32 s16, s16, exec_lo
	s_or_saveexec_b32 s22, s22
	v_mov_b32_e32 v86, 0x7f800001
	s_xor_b32 exec_lo, exec_lo, s22
	s_cbranch_execnz .LBB6_8673
.LBB6_8294:                             ;   in Loop: Header=BB6_7970 Depth=3
	s_or_b32 exec_lo, exec_lo, s22
	s_and_saveexec_b32 s22, s16
	s_cbranch_execz .LBB6_8296
.LBB6_8295:                             ;   in Loop: Header=BB6_7970 Depth=3
	v_and_b32_e32 v86, 3, v119
	v_lshrrev_b16 v98, 2, v119
	v_ffbh_u32_e32 v87, v86
	v_and_b32_e32 v98, 31, v98
	v_min_u32_e32 v87, 32, v87
	v_cmp_eq_u32_e32 vcc_lo, 0, v98
	v_subrev_nc_u32_e32 v99, 29, v87
	v_sub_nc_u32_e32 v87, 30, v87
	v_lshlrev_b32_e32 v99, v99, v119
	v_lshlrev_b32_e32 v119, 24, v119
	v_cndmask_b32_e32 v87, v98, v87, vcc_lo
	v_and_b32_e32 v99, 3, v99
	v_and_b32_e32 v98, 0x80000000, v119
	v_lshl_add_u32 v87, v87, 23, 0x37800000
	v_cndmask_b32_e32 v86, v86, v99, vcc_lo
	v_lshlrev_b32_e32 v86, 21, v86
	v_or3_b32 v86, v98, v87, v86
.LBB6_8296:                             ;   in Loop: Header=BB6_7970 Depth=3
	s_or_b32 exec_lo, exec_lo, s22
	s_waitcnt vmcnt(15) lgkmcnt(15)
	v_cmp_gt_i16_sdwa s22, v40, v59 src0_sel:BYTE_0 src1_sel:DWORD
	s_mov_b32 s16, 0
	s_and_saveexec_b32 s23, s22
	s_xor_b32 s22, exec_lo, s23
	s_cbranch_execz .LBB6_8674
; %bb.8297:                             ;   in Loop: Header=BB6_7970 Depth=3
	v_cmp_eq_u16_sdwa s72, v40, v60 src0_sel:BYTE_0 src1_sel:DWORD
	s_mov_b32 s16, -1
	s_and_saveexec_b32 s23, s72
; %bb.8298:                             ;   in Loop: Header=BB6_7970 Depth=3
	s_xor_b32 s16, exec_lo, -1
; %bb.8299:                             ;   in Loop: Header=BB6_7970 Depth=3
	s_or_b32 exec_lo, exec_lo, s23
	s_and_b32 s16, s16, exec_lo
	s_or_saveexec_b32 s22, s22
	v_mov_b32_e32 v87, 0x7f800001
	s_xor_b32 exec_lo, exec_lo, s22
	s_cbranch_execnz .LBB6_8675
.LBB6_8300:                             ;   in Loop: Header=BB6_7970 Depth=3
	s_or_b32 exec_lo, exec_lo, s22
	s_and_saveexec_b32 s22, s16
	s_cbranch_execz .LBB6_8302
.LBB6_8301:                             ;   in Loop: Header=BB6_7970 Depth=3
	v_and_b32_e32 v87, 3, v40
	v_lshrrev_b16 v99, 2, v40
	v_ffbh_u32_e32 v98, v87
	v_and_b32_e32 v99, 31, v99
	v_min_u32_e32 v98, 32, v98
	v_cmp_eq_u32_e32 vcc_lo, 0, v99
	v_subrev_nc_u32_e32 v119, 29, v98
	v_sub_nc_u32_e32 v98, 30, v98
	v_lshlrev_b32_e32 v119, v119, v40
	v_lshlrev_b32_e32 v40, 24, v40
	v_cndmask_b32_e32 v98, v99, v98, vcc_lo
	v_and_b32_e32 v119, 3, v119
	v_and_b32_e32 v99, 0x80000000, v40
	v_lshl_add_u32 v98, v98, 23, 0x37800000
	v_cndmask_b32_e32 v87, v87, v119, vcc_lo
	v_lshlrev_b32_e32 v87, 21, v87
	v_or3_b32 v87, v99, v98, v87
.LBB6_8302:                             ;   in Loop: Header=BB6_7970 Depth=3
	s_or_b32 exec_lo, exec_lo, s22
	v_mul_f32_e32 v99, v86, v87
	v_mov_b32_e32 v98, 0x80
	s_mov_b32 s22, exec_lo
	v_and_b32_e32 v86, 0x7f800000, v99
	v_cmpx_ne_u32_e32 0x7f800000, v86
	s_cbranch_execz .LBB6_8310
; %bb.8303:                             ;   in Loop: Header=BB6_7970 Depth=3
	v_mov_b32_e32 v98, 0
	s_mov_b32 s23, exec_lo
	v_cmpx_ne_u32_e32 0, v99
	s_cbranch_execz .LBB6_8309
; %bb.8304:                             ;   in Loop: Header=BB6_7970 Depth=3
	v_bfe_u32 v87, v99, 23, 8
	v_and_b32_e32 v86, 0x7fffff, v99
	v_cmp_gt_u32_e64 s16, 0x71, v87
	v_sub_nc_u32_e32 v98, 0x70, v87
	v_cmp_eq_u32_e32 vcc_lo, 0, v87
	v_or_b32_e32 v119, 0x800000, v86
	v_cndmask_b32_e64 v98, 0, v98, s16
	v_cndmask_b32_e32 v86, v119, v86, vcc_lo
	v_cndmask_b32_e64 v98, v98, 0x6f, vcc_lo
	v_lshl_add_u32 v119, 0x200000, v98, -1
	v_lshlrev_b32_e64 v40, v98, 0x100000
	v_and_b32_e32 v119, v119, v86
	v_cmp_eq_u32_e64 s16, v119, v40
	v_lshrrev_b32_e32 v119, v98, v86
	v_add_nc_u32_e32 v86, 0xffffff91, v87
	v_lshrrev_b32_e32 v87, 23, v119
	v_cndmask_b32_e64 v86, v86, 0xffffff92, vcc_lo
	v_xor_b32_e32 v87, 1, v87
	v_add_nc_u32_e32 v86, v98, v86
	v_bfe_u32 v98, v119, 21, 1
	v_add_nc_u32_e32 v98, -1, v98
	v_cndmask_b32_e64 v98, 0, v98, s16
	s_mov_b32 s16, exec_lo
	v_add_nc_u32_e32 v98, v98, v119
	v_and_b32_e32 v98, 0x1fffff, v98
	v_add_nc_u32_e32 v98, v98, v119
                                        ; implicit-def: $vgpr119
	v_cmpx_ne_u32_e64 v86, v87
	s_xor_b32 s16, exec_lo, s16
; %bb.8305:                             ;   in Loop: Header=BB6_7970 Depth=3
	v_cmp_lt_u32_e32 vcc_lo, 0xffffff, v98
	v_sub_nc_u32_e32 v86, v86, v87
	v_cndmask_b32_e64 v87, 0, 1, vcc_lo
	v_add_co_ci_u32_e64 v119, null, 0, v86, vcc_lo
	v_lshrrev_b32_e32 v98, v87, v98
; %bb.8306:                             ;   in Loop: Header=BB6_7970 Depth=3
	s_andn2_saveexec_b32 s16, s16
; %bb.8307:                             ;   in Loop: Header=BB6_7970 Depth=3
	v_bfe_u32 v119, v98, 23, 1
; %bb.8308:                             ;   in Loop: Header=BB6_7970 Depth=3
	s_or_b32 exec_lo, exec_lo, s16
	v_lshrrev_b32_e32 v87, 21, v98
	v_cmp_gt_i32_e32 vcc_lo, 32, v119
	v_min_i32_e32 v98, 31, v119
	v_and_b32_sdwa v86, v99, v60 dst_sel:DWORD dst_unused:UNUSED_PAD src0_sel:BYTE_3 src1_sel:DWORD
	v_cndmask_b32_e32 v87, 3, v87, vcc_lo
	v_lshlrev_b32_e32 v98, 2, v98
	v_or_b32_e32 v99, v119, v87
	v_and_b32_e32 v87, 3, v87
	v_cmp_ne_u32_e32 vcc_lo, 0, v99
	v_or3_b32 v86, v98, v86, v87
	v_cndmask_b32_e32 v98, 0, v86, vcc_lo
.LBB6_8309:                             ;   in Loop: Header=BB6_7970 Depth=3
	s_or_b32 exec_lo, exec_lo, s23
.LBB6_8310:                             ;   in Loop: Header=BB6_7970 Depth=3
	s_or_b32 exec_lo, exec_lo, s22
	v_cmp_gt_i16_sdwa s22, v116, v59 src0_sel:BYTE_0 src1_sel:DWORD
	s_mov_b32 s16, 0
	s_and_saveexec_b32 s23, s22
	s_xor_b32 s22, exec_lo, s23
	s_cbranch_execz .LBB6_8676
; %bb.8311:                             ;   in Loop: Header=BB6_7970 Depth=3
	v_cmp_eq_u16_sdwa s72, v116, v60 src0_sel:BYTE_0 src1_sel:DWORD
	s_mov_b32 s16, -1
	s_and_saveexec_b32 s23, s72
; %bb.8312:                             ;   in Loop: Header=BB6_7970 Depth=3
	s_xor_b32 s16, exec_lo, -1
; %bb.8313:                             ;   in Loop: Header=BB6_7970 Depth=3
	s_or_b32 exec_lo, exec_lo, s23
	s_and_b32 s16, s16, exec_lo
	s_or_saveexec_b32 s22, s22
	v_mov_b32_e32 v86, 0x7f800001
	s_xor_b32 exec_lo, exec_lo, s22
	s_cbranch_execnz .LBB6_8677
.LBB6_8314:                             ;   in Loop: Header=BB6_7970 Depth=3
	s_or_b32 exec_lo, exec_lo, s22
	s_and_saveexec_b32 s22, s16
	s_cbranch_execz .LBB6_8316
.LBB6_8315:                             ;   in Loop: Header=BB6_7970 Depth=3
	v_and_b32_e32 v86, 3, v116
	v_lshrrev_b16 v99, 2, v116
	v_ffbh_u32_e32 v87, v86
	v_and_b32_e32 v99, 31, v99
	v_min_u32_e32 v87, 32, v87
	v_cmp_eq_u32_e32 vcc_lo, 0, v99
	v_subrev_nc_u32_e32 v119, 29, v87
	v_sub_nc_u32_e32 v87, 30, v87
	v_lshlrev_b32_e32 v119, v119, v116
	v_lshlrev_b32_e32 v116, 24, v116
	v_cndmask_b32_e32 v87, v99, v87, vcc_lo
	v_and_b32_e32 v119, 3, v119
	v_and_b32_e32 v99, 0x80000000, v116
	v_lshl_add_u32 v87, v87, 23, 0x37800000
	v_cndmask_b32_e32 v86, v86, v119, vcc_lo
	v_lshlrev_b32_e32 v86, 21, v86
	v_or3_b32 v86, v99, v87, v86
.LBB6_8316:                             ;   in Loop: Header=BB6_7970 Depth=3
	s_or_b32 exec_lo, exec_lo, s22
	s_waitcnt vmcnt(14) lgkmcnt(14)
	v_cmp_gt_i16_sdwa s22, v117, v59 src0_sel:BYTE_0 src1_sel:DWORD
	s_mov_b32 s16, 0
	s_and_saveexec_b32 s23, s22
	s_xor_b32 s22, exec_lo, s23
	s_cbranch_execz .LBB6_8678
; %bb.8317:                             ;   in Loop: Header=BB6_7970 Depth=3
	v_cmp_eq_u16_sdwa s72, v117, v60 src0_sel:BYTE_0 src1_sel:DWORD
	s_mov_b32 s16, -1
	s_and_saveexec_b32 s23, s72
; %bb.8318:                             ;   in Loop: Header=BB6_7970 Depth=3
	s_xor_b32 s16, exec_lo, -1
; %bb.8319:                             ;   in Loop: Header=BB6_7970 Depth=3
	s_or_b32 exec_lo, exec_lo, s23
	s_and_b32 s16, s16, exec_lo
	s_or_saveexec_b32 s22, s22
	v_mov_b32_e32 v87, 0x7f800001
	s_xor_b32 exec_lo, exec_lo, s22
	s_cbranch_execnz .LBB6_8679
.LBB6_8320:                             ;   in Loop: Header=BB6_7970 Depth=3
	s_or_b32 exec_lo, exec_lo, s22
	s_and_saveexec_b32 s22, s16
	s_cbranch_execz .LBB6_8322
.LBB6_8321:                             ;   in Loop: Header=BB6_7970 Depth=3
	v_and_b32_e32 v87, 3, v117
	v_lshrrev_b16 v116, 2, v117
	v_ffbh_u32_e32 v99, v87
	v_and_b32_e32 v116, 31, v116
	v_min_u32_e32 v99, 32, v99
	v_cmp_eq_u32_e32 vcc_lo, 0, v116
	v_subrev_nc_u32_e32 v119, 29, v99
	v_sub_nc_u32_e32 v99, 30, v99
	v_lshlrev_b32_e32 v119, v119, v117
	v_lshlrev_b32_e32 v117, 24, v117
	v_cndmask_b32_e32 v99, v116, v99, vcc_lo
	v_and_b32_e32 v119, 3, v119
	v_and_b32_e32 v116, 0x80000000, v117
	v_lshl_add_u32 v99, v99, 23, 0x37800000
	v_cndmask_b32_e32 v87, v87, v119, vcc_lo
	v_lshlrev_b32_e32 v87, 21, v87
	v_or3_b32 v87, v116, v99, v87
.LBB6_8322:                             ;   in Loop: Header=BB6_7970 Depth=3
	s_or_b32 exec_lo, exec_lo, s22
	v_mul_f32_e32 v116, v86, v87
	v_mov_b32_e32 v99, 0x80
	s_mov_b32 s22, exec_lo
	v_and_b32_e32 v86, 0x7f800000, v116
	v_cmpx_ne_u32_e32 0x7f800000, v86
	s_cbranch_execz .LBB6_8330
; %bb.8323:                             ;   in Loop: Header=BB6_7970 Depth=3
	v_mov_b32_e32 v99, 0
	s_mov_b32 s23, exec_lo
	v_cmpx_ne_u32_e32 0, v116
	s_cbranch_execz .LBB6_8329
; %bb.8324:                             ;   in Loop: Header=BB6_7970 Depth=3
	v_bfe_u32 v87, v116, 23, 8
	v_and_b32_e32 v86, 0x7fffff, v116
	v_cmp_gt_u32_e64 s16, 0x71, v87
	v_sub_nc_u32_e32 v99, 0x70, v87
	v_cmp_eq_u32_e32 vcc_lo, 0, v87
	v_or_b32_e32 v117, 0x800000, v86
	v_cndmask_b32_e64 v99, 0, v99, s16
	v_cndmask_b32_e32 v86, v117, v86, vcc_lo
	v_cndmask_b32_e64 v99, v99, 0x6f, vcc_lo
	v_lshl_add_u32 v117, 0x200000, v99, -1
	v_lshlrev_b32_e64 v119, v99, 0x100000
	v_and_b32_e32 v117, v117, v86
	v_cmp_eq_u32_e64 s16, v117, v119
	v_lshrrev_b32_e32 v117, v99, v86
	v_add_nc_u32_e32 v86, 0xffffff91, v87
	v_lshrrev_b32_e32 v87, 23, v117
	v_cndmask_b32_e64 v86, v86, 0xffffff92, vcc_lo
	v_xor_b32_e32 v87, 1, v87
	v_add_nc_u32_e32 v86, v99, v86
	v_bfe_u32 v99, v117, 21, 1
	v_add_nc_u32_e32 v99, -1, v99
	v_cndmask_b32_e64 v99, 0, v99, s16
	s_mov_b32 s16, exec_lo
	v_add_nc_u32_e32 v99, v99, v117
	v_and_b32_e32 v99, 0x1fffff, v99
	v_add_nc_u32_e32 v99, v99, v117
                                        ; implicit-def: $vgpr117
	v_cmpx_ne_u32_e64 v86, v87
	s_xor_b32 s16, exec_lo, s16
; %bb.8325:                             ;   in Loop: Header=BB6_7970 Depth=3
	v_cmp_lt_u32_e32 vcc_lo, 0xffffff, v99
	v_sub_nc_u32_e32 v86, v86, v87
	v_cndmask_b32_e64 v87, 0, 1, vcc_lo
	v_add_co_ci_u32_e64 v117, null, 0, v86, vcc_lo
	v_lshrrev_b32_e32 v99, v87, v99
; %bb.8326:                             ;   in Loop: Header=BB6_7970 Depth=3
	s_andn2_saveexec_b32 s16, s16
; %bb.8327:                             ;   in Loop: Header=BB6_7970 Depth=3
	v_bfe_u32 v117, v99, 23, 1
; %bb.8328:                             ;   in Loop: Header=BB6_7970 Depth=3
	s_or_b32 exec_lo, exec_lo, s16
	v_lshrrev_b32_e32 v87, 21, v99
	v_cmp_gt_i32_e32 vcc_lo, 32, v117
	v_min_i32_e32 v99, 31, v117
	v_and_b32_sdwa v86, v116, v60 dst_sel:DWORD dst_unused:UNUSED_PAD src0_sel:BYTE_3 src1_sel:DWORD
	v_cndmask_b32_e32 v87, 3, v87, vcc_lo
	v_lshlrev_b32_e32 v99, 2, v99
	v_or_b32_e32 v116, v117, v87
	v_and_b32_e32 v87, 3, v87
	v_cmp_ne_u32_e32 vcc_lo, 0, v116
	v_or3_b32 v86, v99, v86, v87
	v_cndmask_b32_e32 v99, 0, v86, vcc_lo
.LBB6_8329:                             ;   in Loop: Header=BB6_7970 Depth=3
	s_or_b32 exec_lo, exec_lo, s23
.LBB6_8330:                             ;   in Loop: Header=BB6_7970 Depth=3
	s_or_b32 exec_lo, exec_lo, s22
	v_cmp_gt_i16_sdwa s22, v113, v59 src0_sel:BYTE_0 src1_sel:DWORD
	s_mov_b32 s16, 0
	s_and_saveexec_b32 s23, s22
	s_xor_b32 s22, exec_lo, s23
	s_cbranch_execz .LBB6_8680
; %bb.8331:                             ;   in Loop: Header=BB6_7970 Depth=3
	v_cmp_eq_u16_sdwa s72, v113, v60 src0_sel:BYTE_0 src1_sel:DWORD
	s_mov_b32 s16, -1
	s_and_saveexec_b32 s23, s72
; %bb.8332:                             ;   in Loop: Header=BB6_7970 Depth=3
	s_xor_b32 s16, exec_lo, -1
; %bb.8333:                             ;   in Loop: Header=BB6_7970 Depth=3
	s_or_b32 exec_lo, exec_lo, s23
	s_and_b32 s16, s16, exec_lo
	s_or_saveexec_b32 s22, s22
	v_mov_b32_e32 v86, 0x7f800001
	s_xor_b32 exec_lo, exec_lo, s22
	s_cbranch_execnz .LBB6_8681
.LBB6_8334:                             ;   in Loop: Header=BB6_7970 Depth=3
	s_or_b32 exec_lo, exec_lo, s22
	s_and_saveexec_b32 s22, s16
	s_cbranch_execz .LBB6_8336
.LBB6_8335:                             ;   in Loop: Header=BB6_7970 Depth=3
	v_and_b32_e32 v86, 3, v113
	v_lshrrev_b16 v116, 2, v113
	v_ffbh_u32_e32 v87, v86
	v_and_b32_e32 v116, 31, v116
	v_min_u32_e32 v87, 32, v87
	v_cmp_eq_u32_e32 vcc_lo, 0, v116
	v_subrev_nc_u32_e32 v117, 29, v87
	v_sub_nc_u32_e32 v87, 30, v87
	v_lshlrev_b32_e32 v117, v117, v113
	v_lshlrev_b32_e32 v113, 24, v113
	v_cndmask_b32_e32 v87, v116, v87, vcc_lo
	v_and_b32_e32 v117, 3, v117
	v_and_b32_e32 v113, 0x80000000, v113
	v_lshl_add_u32 v87, v87, 23, 0x37800000
	v_cndmask_b32_e32 v86, v86, v117, vcc_lo
	v_lshlrev_b32_e32 v86, 21, v86
	v_or3_b32 v86, v113, v87, v86
.LBB6_8336:                             ;   in Loop: Header=BB6_7970 Depth=3
	s_or_b32 exec_lo, exec_lo, s22
	s_waitcnt vmcnt(13) lgkmcnt(13)
	v_cmp_gt_i16_sdwa s22, v114, v59 src0_sel:BYTE_0 src1_sel:DWORD
	s_mov_b32 s16, 0
	s_and_saveexec_b32 s23, s22
	s_xor_b32 s22, exec_lo, s23
	s_cbranch_execz .LBB6_8682
; %bb.8337:                             ;   in Loop: Header=BB6_7970 Depth=3
	v_cmp_eq_u16_sdwa s72, v114, v60 src0_sel:BYTE_0 src1_sel:DWORD
	s_mov_b32 s16, -1
	s_and_saveexec_b32 s23, s72
; %bb.8338:                             ;   in Loop: Header=BB6_7970 Depth=3
	s_xor_b32 s16, exec_lo, -1
; %bb.8339:                             ;   in Loop: Header=BB6_7970 Depth=3
	s_or_b32 exec_lo, exec_lo, s23
	s_and_b32 s16, s16, exec_lo
	s_or_saveexec_b32 s22, s22
	v_mov_b32_e32 v87, 0x7f800001
	s_xor_b32 exec_lo, exec_lo, s22
	s_cbranch_execnz .LBB6_8683
.LBB6_8340:                             ;   in Loop: Header=BB6_7970 Depth=3
	s_or_b32 exec_lo, exec_lo, s22
	s_and_saveexec_b32 s22, s16
	s_cbranch_execz .LBB6_8342
.LBB6_8341:                             ;   in Loop: Header=BB6_7970 Depth=3
	v_and_b32_e32 v87, 3, v114
	v_lshrrev_b16 v116, 2, v114
	v_ffbh_u32_e32 v113, v87
	v_and_b32_e32 v116, 31, v116
	v_min_u32_e32 v113, 32, v113
	v_cmp_eq_u32_e32 vcc_lo, 0, v116
	v_subrev_nc_u32_e32 v117, 29, v113
	v_sub_nc_u32_e32 v113, 30, v113
	v_lshlrev_b32_e32 v117, v117, v114
	v_lshlrev_b32_e32 v114, 24, v114
	v_cndmask_b32_e32 v113, v116, v113, vcc_lo
	v_and_b32_e32 v117, 3, v117
	v_and_b32_e32 v114, 0x80000000, v114
	v_lshl_add_u32 v113, v113, 23, 0x37800000
	v_cndmask_b32_e32 v87, v87, v117, vcc_lo
	v_lshlrev_b32_e32 v87, 21, v87
	v_or3_b32 v87, v114, v113, v87
.LBB6_8342:                             ;   in Loop: Header=BB6_7970 Depth=3
	s_or_b32 exec_lo, exec_lo, s22
	v_mul_f32_e32 v114, v86, v87
	v_mov_b32_e32 v113, 0x80
	s_mov_b32 s22, exec_lo
	v_and_b32_e32 v86, 0x7f800000, v114
	v_cmpx_ne_u32_e32 0x7f800000, v86
	s_cbranch_execz .LBB6_8350
; %bb.8343:                             ;   in Loop: Header=BB6_7970 Depth=3
	v_mov_b32_e32 v113, 0
	s_mov_b32 s23, exec_lo
	v_cmpx_ne_u32_e32 0, v114
	s_cbranch_execz .LBB6_8349
; %bb.8344:                             ;   in Loop: Header=BB6_7970 Depth=3
	v_bfe_u32 v87, v114, 23, 8
	v_and_b32_e32 v86, 0x7fffff, v114
	v_cmp_gt_u32_e64 s16, 0x71, v87
	v_sub_nc_u32_e32 v113, 0x70, v87
	v_cmp_eq_u32_e32 vcc_lo, 0, v87
	v_or_b32_e32 v116, 0x800000, v86
	v_cndmask_b32_e64 v113, 0, v113, s16
	v_cndmask_b32_e32 v86, v116, v86, vcc_lo
	v_cndmask_b32_e64 v113, v113, 0x6f, vcc_lo
	v_lshl_add_u32 v116, 0x200000, v113, -1
	v_lshlrev_b32_e64 v117, v113, 0x100000
	v_and_b32_e32 v116, v116, v86
	v_cmp_eq_u32_e64 s16, v116, v117
	v_lshrrev_b32_e32 v116, v113, v86
	v_add_nc_u32_e32 v86, 0xffffff91, v87
	v_lshrrev_b32_e32 v87, 23, v116
	v_cndmask_b32_e64 v86, v86, 0xffffff92, vcc_lo
	v_xor_b32_e32 v87, 1, v87
	v_add_nc_u32_e32 v86, v113, v86
	v_bfe_u32 v113, v116, 21, 1
	v_add_nc_u32_e32 v113, -1, v113
	v_cndmask_b32_e64 v113, 0, v113, s16
	s_mov_b32 s16, exec_lo
	v_add_nc_u32_e32 v113, v113, v116
	v_and_b32_e32 v113, 0x1fffff, v113
	v_add_nc_u32_e32 v113, v113, v116
                                        ; implicit-def: $vgpr116
	v_cmpx_ne_u32_e64 v86, v87
	s_xor_b32 s16, exec_lo, s16
; %bb.8345:                             ;   in Loop: Header=BB6_7970 Depth=3
	v_cmp_lt_u32_e32 vcc_lo, 0xffffff, v113
	v_sub_nc_u32_e32 v86, v86, v87
	v_cndmask_b32_e64 v87, 0, 1, vcc_lo
	v_add_co_ci_u32_e64 v116, null, 0, v86, vcc_lo
	v_lshrrev_b32_e32 v113, v87, v113
; %bb.8346:                             ;   in Loop: Header=BB6_7970 Depth=3
	s_andn2_saveexec_b32 s16, s16
; %bb.8347:                             ;   in Loop: Header=BB6_7970 Depth=3
	v_bfe_u32 v116, v113, 23, 1
; %bb.8348:                             ;   in Loop: Header=BB6_7970 Depth=3
	s_or_b32 exec_lo, exec_lo, s16
	v_lshrrev_b32_e32 v87, 21, v113
	v_cmp_gt_i32_e32 vcc_lo, 32, v116
	v_min_i32_e32 v113, 31, v116
	v_and_b32_sdwa v86, v114, v60 dst_sel:DWORD dst_unused:UNUSED_PAD src0_sel:BYTE_3 src1_sel:DWORD
	v_cndmask_b32_e32 v87, 3, v87, vcc_lo
	v_lshlrev_b32_e32 v113, 2, v113
	v_or_b32_e32 v114, v116, v87
	v_and_b32_e32 v87, 3, v87
	v_cmp_ne_u32_e32 vcc_lo, 0, v114
	v_or3_b32 v86, v113, v86, v87
	v_cndmask_b32_e32 v113, 0, v86, vcc_lo
.LBB6_8349:                             ;   in Loop: Header=BB6_7970 Depth=3
	s_or_b32 exec_lo, exec_lo, s23
.LBB6_8350:                             ;   in Loop: Header=BB6_7970 Depth=3
	s_or_b32 exec_lo, exec_lo, s22
	v_cmp_gt_i16_sdwa s22, v101, v59 src0_sel:BYTE_0 src1_sel:DWORD
	s_mov_b32 s16, 0
	s_and_saveexec_b32 s23, s22
	s_xor_b32 s22, exec_lo, s23
	s_cbranch_execz .LBB6_8684
; %bb.8351:                             ;   in Loop: Header=BB6_7970 Depth=3
	v_cmp_eq_u16_sdwa s72, v101, v60 src0_sel:BYTE_0 src1_sel:DWORD
	s_mov_b32 s16, -1
	s_and_saveexec_b32 s23, s72
; %bb.8352:                             ;   in Loop: Header=BB6_7970 Depth=3
	s_xor_b32 s16, exec_lo, -1
; %bb.8353:                             ;   in Loop: Header=BB6_7970 Depth=3
	s_or_b32 exec_lo, exec_lo, s23
	s_and_b32 s16, s16, exec_lo
	s_or_saveexec_b32 s22, s22
	v_mov_b32_e32 v86, 0x7f800001
	s_xor_b32 exec_lo, exec_lo, s22
	s_cbranch_execnz .LBB6_8685
.LBB6_8354:                             ;   in Loop: Header=BB6_7970 Depth=3
	s_or_b32 exec_lo, exec_lo, s22
	s_and_saveexec_b32 s22, s16
	s_cbranch_execz .LBB6_8356
.LBB6_8355:                             ;   in Loop: Header=BB6_7970 Depth=3
	v_and_b32_e32 v86, 3, v101
	v_lshrrev_b16 v114, 2, v101
	v_ffbh_u32_e32 v87, v86
	v_and_b32_e32 v114, 31, v114
	v_min_u32_e32 v87, 32, v87
	v_cmp_eq_u32_e32 vcc_lo, 0, v114
	v_subrev_nc_u32_e32 v116, 29, v87
	v_sub_nc_u32_e32 v87, 30, v87
	v_lshlrev_b32_e32 v116, v116, v101
	v_lshlrev_b32_e32 v101, 24, v101
	v_cndmask_b32_e32 v87, v114, v87, vcc_lo
	v_and_b32_e32 v116, 3, v116
	v_and_b32_e32 v101, 0x80000000, v101
	v_lshl_add_u32 v87, v87, 23, 0x37800000
	v_cndmask_b32_e32 v86, v86, v116, vcc_lo
	v_lshlrev_b32_e32 v86, 21, v86
	v_or3_b32 v86, v101, v87, v86
.LBB6_8356:                             ;   in Loop: Header=BB6_7970 Depth=3
	s_or_b32 exec_lo, exec_lo, s22
	s_waitcnt vmcnt(12) lgkmcnt(12)
	v_cmp_gt_i16_sdwa s22, v102, v59 src0_sel:BYTE_0 src1_sel:DWORD
	s_mov_b32 s16, 0
	s_and_saveexec_b32 s23, s22
	s_xor_b32 s22, exec_lo, s23
	s_cbranch_execz .LBB6_8686
; %bb.8357:                             ;   in Loop: Header=BB6_7970 Depth=3
	v_cmp_eq_u16_sdwa s72, v102, v60 src0_sel:BYTE_0 src1_sel:DWORD
	s_mov_b32 s16, -1
	s_and_saveexec_b32 s23, s72
; %bb.8358:                             ;   in Loop: Header=BB6_7970 Depth=3
	s_xor_b32 s16, exec_lo, -1
; %bb.8359:                             ;   in Loop: Header=BB6_7970 Depth=3
	s_or_b32 exec_lo, exec_lo, s23
	s_and_b32 s16, s16, exec_lo
	s_or_saveexec_b32 s22, s22
	v_mov_b32_e32 v87, 0x7f800001
	s_xor_b32 exec_lo, exec_lo, s22
	s_cbranch_execnz .LBB6_8687
.LBB6_8360:                             ;   in Loop: Header=BB6_7970 Depth=3
	s_or_b32 exec_lo, exec_lo, s22
	s_and_saveexec_b32 s22, s16
	s_cbranch_execz .LBB6_8362
.LBB6_8361:                             ;   in Loop: Header=BB6_7970 Depth=3
	v_and_b32_e32 v87, 3, v102
	v_lshrrev_b16 v114, 2, v102
	v_ffbh_u32_e32 v101, v87
	v_and_b32_e32 v114, 31, v114
	v_min_u32_e32 v101, 32, v101
	v_cmp_eq_u32_e32 vcc_lo, 0, v114
	v_subrev_nc_u32_e32 v116, 29, v101
	v_sub_nc_u32_e32 v101, 30, v101
	v_lshlrev_b32_e32 v116, v116, v102
	v_lshlrev_b32_e32 v102, 24, v102
	v_cndmask_b32_e32 v101, v114, v101, vcc_lo
	v_and_b32_e32 v116, 3, v116
	v_and_b32_e32 v102, 0x80000000, v102
	v_lshl_add_u32 v101, v101, 23, 0x37800000
	v_cndmask_b32_e32 v87, v87, v116, vcc_lo
	v_lshlrev_b32_e32 v87, 21, v87
	v_or3_b32 v87, v102, v101, v87
.LBB6_8362:                             ;   in Loop: Header=BB6_7970 Depth=3
	s_or_b32 exec_lo, exec_lo, s22
	v_mul_f32_e32 v102, v86, v87
	v_mov_b32_e32 v101, 0x80
	s_mov_b32 s22, exec_lo
	v_and_b32_e32 v86, 0x7f800000, v102
	v_cmpx_ne_u32_e32 0x7f800000, v86
	s_cbranch_execz .LBB6_8370
; %bb.8363:                             ;   in Loop: Header=BB6_7970 Depth=3
	v_mov_b32_e32 v101, 0
	s_mov_b32 s23, exec_lo
	v_cmpx_ne_u32_e32 0, v102
	s_cbranch_execz .LBB6_8369
; %bb.8364:                             ;   in Loop: Header=BB6_7970 Depth=3
	v_bfe_u32 v87, v102, 23, 8
	v_and_b32_e32 v86, 0x7fffff, v102
	v_cmp_gt_u32_e64 s16, 0x71, v87
	v_sub_nc_u32_e32 v101, 0x70, v87
	v_cmp_eq_u32_e32 vcc_lo, 0, v87
	v_or_b32_e32 v114, 0x800000, v86
	v_cndmask_b32_e64 v101, 0, v101, s16
	v_cndmask_b32_e32 v86, v114, v86, vcc_lo
	v_cndmask_b32_e64 v101, v101, 0x6f, vcc_lo
	v_lshl_add_u32 v114, 0x200000, v101, -1
	v_lshlrev_b32_e64 v116, v101, 0x100000
	v_and_b32_e32 v114, v114, v86
	v_cmp_eq_u32_e64 s16, v114, v116
	v_lshrrev_b32_e32 v114, v101, v86
	v_add_nc_u32_e32 v86, 0xffffff91, v87
	v_lshrrev_b32_e32 v87, 23, v114
	v_cndmask_b32_e64 v86, v86, 0xffffff92, vcc_lo
	v_xor_b32_e32 v87, 1, v87
	v_add_nc_u32_e32 v86, v101, v86
	v_bfe_u32 v101, v114, 21, 1
	v_add_nc_u32_e32 v101, -1, v101
	v_cndmask_b32_e64 v101, 0, v101, s16
	s_mov_b32 s16, exec_lo
	v_add_nc_u32_e32 v101, v101, v114
	v_and_b32_e32 v101, 0x1fffff, v101
	v_add_nc_u32_e32 v101, v101, v114
                                        ; implicit-def: $vgpr114
	v_cmpx_ne_u32_e64 v86, v87
	s_xor_b32 s16, exec_lo, s16
; %bb.8365:                             ;   in Loop: Header=BB6_7970 Depth=3
	v_cmp_lt_u32_e32 vcc_lo, 0xffffff, v101
	v_sub_nc_u32_e32 v86, v86, v87
	v_cndmask_b32_e64 v87, 0, 1, vcc_lo
	v_add_co_ci_u32_e64 v114, null, 0, v86, vcc_lo
	v_lshrrev_b32_e32 v101, v87, v101
; %bb.8366:                             ;   in Loop: Header=BB6_7970 Depth=3
	s_andn2_saveexec_b32 s16, s16
; %bb.8367:                             ;   in Loop: Header=BB6_7970 Depth=3
	v_bfe_u32 v114, v101, 23, 1
; %bb.8368:                             ;   in Loop: Header=BB6_7970 Depth=3
	s_or_b32 exec_lo, exec_lo, s16
	v_lshrrev_b32_e32 v87, 21, v101
	v_cmp_gt_i32_e32 vcc_lo, 32, v114
	v_min_i32_e32 v101, 31, v114
	v_and_b32_sdwa v86, v102, v60 dst_sel:DWORD dst_unused:UNUSED_PAD src0_sel:BYTE_3 src1_sel:DWORD
	v_cndmask_b32_e32 v87, 3, v87, vcc_lo
	v_lshlrev_b32_e32 v101, 2, v101
	v_or_b32_e32 v102, v114, v87
	v_and_b32_e32 v87, 3, v87
	v_cmp_ne_u32_e32 vcc_lo, 0, v102
	v_or3_b32 v86, v101, v86, v87
	v_cndmask_b32_e32 v101, 0, v86, vcc_lo
.LBB6_8369:                             ;   in Loop: Header=BB6_7970 Depth=3
	s_or_b32 exec_lo, exec_lo, s23
.LBB6_8370:                             ;   in Loop: Header=BB6_7970 Depth=3
	s_or_b32 exec_lo, exec_lo, s22
	v_cmp_gt_i16_sdwa s22, v82, v59 src0_sel:BYTE_0 src1_sel:DWORD
	s_mov_b32 s16, 0
	s_and_saveexec_b32 s23, s22
	s_xor_b32 s22, exec_lo, s23
	s_cbranch_execz .LBB6_8688
; %bb.8371:                             ;   in Loop: Header=BB6_7970 Depth=3
	v_cmp_eq_u16_sdwa s72, v82, v60 src0_sel:BYTE_0 src1_sel:DWORD
	s_mov_b32 s16, -1
	s_and_saveexec_b32 s23, s72
; %bb.8372:                             ;   in Loop: Header=BB6_7970 Depth=3
	s_xor_b32 s16, exec_lo, -1
; %bb.8373:                             ;   in Loop: Header=BB6_7970 Depth=3
	s_or_b32 exec_lo, exec_lo, s23
	s_and_b32 s16, s16, exec_lo
	s_or_saveexec_b32 s22, s22
	v_mov_b32_e32 v86, 0x7f800001
	s_xor_b32 exec_lo, exec_lo, s22
	s_cbranch_execnz .LBB6_8689
.LBB6_8374:                             ;   in Loop: Header=BB6_7970 Depth=3
	s_or_b32 exec_lo, exec_lo, s22
	s_and_saveexec_b32 s22, s16
	s_cbranch_execz .LBB6_8376
.LBB6_8375:                             ;   in Loop: Header=BB6_7970 Depth=3
	v_and_b32_e32 v86, 3, v82
	v_lshrrev_b16 v102, 2, v82
	v_ffbh_u32_e32 v87, v86
	v_and_b32_e32 v102, 31, v102
	v_min_u32_e32 v87, 32, v87
	v_cmp_eq_u32_e32 vcc_lo, 0, v102
	v_subrev_nc_u32_e32 v114, 29, v87
	v_sub_nc_u32_e32 v87, 30, v87
	v_lshlrev_b32_e32 v114, v114, v82
	v_lshlrev_b32_e32 v82, 24, v82
	v_cndmask_b32_e32 v87, v102, v87, vcc_lo
	v_and_b32_e32 v114, 3, v114
	v_and_b32_e32 v82, 0x80000000, v82
	v_lshl_add_u32 v87, v87, 23, 0x37800000
	v_cndmask_b32_e32 v86, v86, v114, vcc_lo
	v_lshlrev_b32_e32 v86, 21, v86
	v_or3_b32 v86, v82, v87, v86
.LBB6_8376:                             ;   in Loop: Header=BB6_7970 Depth=3
	s_or_b32 exec_lo, exec_lo, s22
	s_waitcnt vmcnt(11) lgkmcnt(11)
	v_cmp_gt_i16_sdwa s22, v83, v59 src0_sel:BYTE_0 src1_sel:DWORD
	s_mov_b32 s16, 0
	s_and_saveexec_b32 s23, s22
	s_xor_b32 s22, exec_lo, s23
	s_cbranch_execz .LBB6_8690
; %bb.8377:                             ;   in Loop: Header=BB6_7970 Depth=3
	v_cmp_eq_u16_sdwa s72, v83, v60 src0_sel:BYTE_0 src1_sel:DWORD
	s_mov_b32 s16, -1
	s_and_saveexec_b32 s23, s72
; %bb.8378:                             ;   in Loop: Header=BB6_7970 Depth=3
	s_xor_b32 s16, exec_lo, -1
; %bb.8379:                             ;   in Loop: Header=BB6_7970 Depth=3
	s_or_b32 exec_lo, exec_lo, s23
	s_and_b32 s16, s16, exec_lo
	s_or_saveexec_b32 s22, s22
	v_mov_b32_e32 v82, 0x7f800001
	s_xor_b32 exec_lo, exec_lo, s22
	s_cbranch_execnz .LBB6_8691
.LBB6_8380:                             ;   in Loop: Header=BB6_7970 Depth=3
	s_or_b32 exec_lo, exec_lo, s22
	s_and_saveexec_b32 s22, s16
	s_cbranch_execz .LBB6_8382
.LBB6_8381:                             ;   in Loop: Header=BB6_7970 Depth=3
	v_and_b32_e32 v82, 3, v83
	v_lshrrev_b16 v102, 2, v83
	v_ffbh_u32_e32 v87, v82
	v_and_b32_e32 v102, 31, v102
	v_min_u32_e32 v87, 32, v87
	v_cmp_eq_u32_e32 vcc_lo, 0, v102
	v_subrev_nc_u32_e32 v114, 29, v87
	v_sub_nc_u32_e32 v87, 30, v87
	v_lshlrev_b32_e32 v114, v114, v83
	v_lshlrev_b32_e32 v83, 24, v83
	v_cndmask_b32_e32 v87, v102, v87, vcc_lo
	v_and_b32_e32 v114, 3, v114
	v_and_b32_e32 v83, 0x80000000, v83
	v_lshl_add_u32 v87, v87, 23, 0x37800000
	v_cndmask_b32_e32 v82, v82, v114, vcc_lo
	v_lshlrev_b32_e32 v82, 21, v82
	v_or3_b32 v82, v83, v87, v82
.LBB6_8382:                             ;   in Loop: Header=BB6_7970 Depth=3
	s_or_b32 exec_lo, exec_lo, s22
	v_mul_f32_e32 v83, v86, v82
	v_and_b32_e32 v82, 0x7f800000, v83
	v_cmp_ne_u32_e32 vcc_lo, 0x7f800000, v82
	v_mov_b32_e32 v82, 0x80
	s_and_saveexec_b32 s22, vcc_lo
	s_cbranch_execz .LBB6_8390
; %bb.8383:                             ;   in Loop: Header=BB6_7970 Depth=3
	v_mov_b32_e32 v82, 0
	s_mov_b32 s23, exec_lo
	v_cmpx_ne_u32_e32 0, v83
	s_cbranch_execz .LBB6_8389
; %bb.8384:                             ;   in Loop: Header=BB6_7970 Depth=3
	v_bfe_u32 v86, v83, 23, 8
	v_and_b32_e32 v82, 0x7fffff, v83
	v_cmp_gt_u32_e64 s16, 0x71, v86
	v_sub_nc_u32_e32 v87, 0x70, v86
	v_cmp_eq_u32_e32 vcc_lo, 0, v86
	v_or_b32_e32 v102, 0x800000, v82
	v_cndmask_b32_e64 v87, 0, v87, s16
	v_cndmask_b32_e32 v82, v102, v82, vcc_lo
	v_cndmask_b32_e64 v87, v87, 0x6f, vcc_lo
	v_lshl_add_u32 v102, 0x200000, v87, -1
	v_lshlrev_b32_e64 v114, v87, 0x100000
	v_and_b32_e32 v102, v102, v82
	v_cmp_eq_u32_e64 s16, v102, v114
	v_lshrrev_b32_e32 v102, v87, v82
	v_add_nc_u32_e32 v82, 0xffffff91, v86
	v_lshrrev_b32_e32 v86, 23, v102
	v_cndmask_b32_e64 v82, v82, 0xffffff92, vcc_lo
	v_xor_b32_e32 v86, 1, v86
	v_add_nc_u32_e32 v82, v87, v82
	v_bfe_u32 v87, v102, 21, 1
	v_add_nc_u32_e32 v87, -1, v87
	v_cndmask_b32_e64 v87, 0, v87, s16
	s_mov_b32 s16, exec_lo
	v_add_nc_u32_e32 v87, v87, v102
	v_and_b32_e32 v87, 0x1fffff, v87
	v_add_nc_u32_e32 v87, v87, v102
                                        ; implicit-def: $vgpr102
	v_cmpx_ne_u32_e64 v82, v86
	s_xor_b32 s16, exec_lo, s16
; %bb.8385:                             ;   in Loop: Header=BB6_7970 Depth=3
	v_cmp_lt_u32_e32 vcc_lo, 0xffffff, v87
	v_sub_nc_u32_e32 v82, v82, v86
	v_cndmask_b32_e64 v86, 0, 1, vcc_lo
	v_add_co_ci_u32_e64 v102, null, 0, v82, vcc_lo
	v_lshrrev_b32_e32 v87, v86, v87
; %bb.8386:                             ;   in Loop: Header=BB6_7970 Depth=3
	s_andn2_saveexec_b32 s16, s16
; %bb.8387:                             ;   in Loop: Header=BB6_7970 Depth=3
	v_bfe_u32 v102, v87, 23, 1
; %bb.8388:                             ;   in Loop: Header=BB6_7970 Depth=3
	s_or_b32 exec_lo, exec_lo, s16
	v_and_b32_sdwa v82, v83, v60 dst_sel:DWORD dst_unused:UNUSED_PAD src0_sel:BYTE_3 src1_sel:DWORD
	v_lshrrev_b32_e32 v83, 21, v87
	v_cmp_gt_i32_e32 vcc_lo, 32, v102
	v_min_i32_e32 v86, 31, v102
	v_cndmask_b32_e32 v83, 3, v83, vcc_lo
	v_lshlrev_b32_e32 v86, 2, v86
	v_or_b32_e32 v87, v102, v83
	v_and_b32_e32 v83, 3, v83
	v_cmp_ne_u32_e32 vcc_lo, 0, v87
	v_or3_b32 v82, v86, v82, v83
	v_cndmask_b32_e32 v82, 0, v82, vcc_lo
.LBB6_8389:                             ;   in Loop: Header=BB6_7970 Depth=3
	s_or_b32 exec_lo, exec_lo, s23
.LBB6_8390:                             ;   in Loop: Header=BB6_7970 Depth=3
	s_or_b32 exec_lo, exec_lo, s22
	v_cmp_gt_i16_sdwa s22, v53, v59 src0_sel:BYTE_0 src1_sel:DWORD
	s_mov_b32 s16, 0
	s_and_saveexec_b32 s23, s22
	s_xor_b32 s22, exec_lo, s23
	s_cbranch_execz .LBB6_8692
; %bb.8391:                             ;   in Loop: Header=BB6_7970 Depth=3
	v_cmp_eq_u16_sdwa s72, v53, v60 src0_sel:BYTE_0 src1_sel:DWORD
	s_mov_b32 s16, -1
	s_and_saveexec_b32 s23, s72
; %bb.8392:                             ;   in Loop: Header=BB6_7970 Depth=3
	s_xor_b32 s16, exec_lo, -1
; %bb.8393:                             ;   in Loop: Header=BB6_7970 Depth=3
	s_or_b32 exec_lo, exec_lo, s23
	s_and_b32 s16, s16, exec_lo
	s_or_saveexec_b32 s22, s22
	v_mov_b32_e32 v83, 0x7f800001
	s_xor_b32 exec_lo, exec_lo, s22
	s_cbranch_execnz .LBB6_8693
.LBB6_8394:                             ;   in Loop: Header=BB6_7970 Depth=3
	s_or_b32 exec_lo, exec_lo, s22
	s_and_saveexec_b32 s22, s16
	s_cbranch_execz .LBB6_8396
.LBB6_8395:                             ;   in Loop: Header=BB6_7970 Depth=3
	v_and_b32_e32 v83, 3, v53
	v_lshrrev_b16 v87, 2, v53
	v_ffbh_u32_e32 v86, v83
	v_and_b32_e32 v87, 31, v87
	v_min_u32_e32 v86, 32, v86
	v_cmp_eq_u32_e32 vcc_lo, 0, v87
	v_subrev_nc_u32_e32 v102, 29, v86
	v_sub_nc_u32_e32 v86, 30, v86
	v_lshlrev_b32_e32 v102, v102, v53
	v_lshlrev_b32_e32 v53, 24, v53
	v_cndmask_b32_e32 v86, v87, v86, vcc_lo
	v_and_b32_e32 v102, 3, v102
	v_and_b32_e32 v53, 0x80000000, v53
	v_lshl_add_u32 v86, v86, 23, 0x37800000
	v_cndmask_b32_e32 v83, v83, v102, vcc_lo
	v_lshlrev_b32_e32 v83, 21, v83
	v_or3_b32 v83, v53, v86, v83
.LBB6_8396:                             ;   in Loop: Header=BB6_7970 Depth=3
	s_or_b32 exec_lo, exec_lo, s22
	s_waitcnt vmcnt(10) lgkmcnt(10)
	v_cmp_gt_i16_sdwa s22, v54, v59 src0_sel:BYTE_0 src1_sel:DWORD
	s_mov_b32 s16, 0
	s_and_saveexec_b32 s23, s22
	s_xor_b32 s22, exec_lo, s23
	s_cbranch_execz .LBB6_8694
; %bb.8397:                             ;   in Loop: Header=BB6_7970 Depth=3
	v_cmp_eq_u16_sdwa s72, v54, v60 src0_sel:BYTE_0 src1_sel:DWORD
	s_mov_b32 s16, -1
	s_and_saveexec_b32 s23, s72
; %bb.8398:                             ;   in Loop: Header=BB6_7970 Depth=3
	s_xor_b32 s16, exec_lo, -1
; %bb.8399:                             ;   in Loop: Header=BB6_7970 Depth=3
	s_or_b32 exec_lo, exec_lo, s23
	s_and_b32 s16, s16, exec_lo
	s_or_saveexec_b32 s22, s22
	v_mov_b32_e32 v53, 0x7f800001
	s_xor_b32 exec_lo, exec_lo, s22
	s_cbranch_execnz .LBB6_8695
.LBB6_8400:                             ;   in Loop: Header=BB6_7970 Depth=3
	s_or_b32 exec_lo, exec_lo, s22
	s_and_saveexec_b32 s22, s16
	s_cbranch_execz .LBB6_8402
.LBB6_8401:                             ;   in Loop: Header=BB6_7970 Depth=3
	v_and_b32_e32 v53, 3, v54
	v_lshrrev_b16 v87, 2, v54
	v_ffbh_u32_e32 v86, v53
	v_and_b32_e32 v87, 31, v87
	v_min_u32_e32 v86, 32, v86
	v_cmp_eq_u32_e32 vcc_lo, 0, v87
	v_subrev_nc_u32_e32 v102, 29, v86
	v_sub_nc_u32_e32 v86, 30, v86
	v_lshlrev_b32_e32 v102, v102, v54
	v_lshlrev_b32_e32 v54, 24, v54
	v_cndmask_b32_e32 v86, v87, v86, vcc_lo
	v_and_b32_e32 v102, 3, v102
	v_and_b32_e32 v54, 0x80000000, v54
	v_lshl_add_u32 v86, v86, 23, 0x37800000
	v_cndmask_b32_e32 v53, v53, v102, vcc_lo
	v_lshlrev_b32_e32 v53, 21, v53
	v_or3_b32 v53, v54, v86, v53
.LBB6_8402:                             ;   in Loop: Header=BB6_7970 Depth=3
	s_or_b32 exec_lo, exec_lo, s22
	v_mul_f32_e32 v54, v83, v53
	v_and_b32_e32 v53, 0x7f800000, v54
	v_cmp_ne_u32_e32 vcc_lo, 0x7f800000, v53
	v_mov_b32_e32 v53, 0x80
	s_and_saveexec_b32 s22, vcc_lo
	s_cbranch_execz .LBB6_8410
; %bb.8403:                             ;   in Loop: Header=BB6_7970 Depth=3
	v_mov_b32_e32 v53, 0
	s_mov_b32 s23, exec_lo
	v_cmpx_ne_u32_e32 0, v54
	s_cbranch_execz .LBB6_8409
; %bb.8404:                             ;   in Loop: Header=BB6_7970 Depth=3
	v_bfe_u32 v83, v54, 23, 8
	v_and_b32_e32 v53, 0x7fffff, v54
	v_cmp_gt_u32_e64 s16, 0x71, v83
	v_sub_nc_u32_e32 v86, 0x70, v83
	v_cmp_eq_u32_e32 vcc_lo, 0, v83
	v_or_b32_e32 v87, 0x800000, v53
	v_cndmask_b32_e64 v86, 0, v86, s16
	v_cndmask_b32_e32 v53, v87, v53, vcc_lo
	v_cndmask_b32_e64 v86, v86, 0x6f, vcc_lo
	v_lshl_add_u32 v87, 0x200000, v86, -1
	v_lshlrev_b32_e64 v102, v86, 0x100000
	v_and_b32_e32 v87, v87, v53
	v_cmp_eq_u32_e64 s16, v87, v102
	v_lshrrev_b32_e32 v87, v86, v53
	v_add_nc_u32_e32 v53, 0xffffff91, v83
	v_lshrrev_b32_e32 v83, 23, v87
	v_cndmask_b32_e64 v53, v53, 0xffffff92, vcc_lo
	v_xor_b32_e32 v83, 1, v83
	v_add_nc_u32_e32 v53, v86, v53
	v_bfe_u32 v86, v87, 21, 1
	v_add_nc_u32_e32 v86, -1, v86
	v_cndmask_b32_e64 v86, 0, v86, s16
	s_mov_b32 s16, exec_lo
	v_add_nc_u32_e32 v86, v86, v87
	v_and_b32_e32 v86, 0x1fffff, v86
	v_add_nc_u32_e32 v86, v86, v87
                                        ; implicit-def: $vgpr87
	v_cmpx_ne_u32_e64 v53, v83
	s_xor_b32 s16, exec_lo, s16
; %bb.8405:                             ;   in Loop: Header=BB6_7970 Depth=3
	v_cmp_lt_u32_e32 vcc_lo, 0xffffff, v86
	v_sub_nc_u32_e32 v53, v53, v83
	v_cndmask_b32_e64 v83, 0, 1, vcc_lo
	v_add_co_ci_u32_e64 v87, null, 0, v53, vcc_lo
	v_lshrrev_b32_e32 v86, v83, v86
; %bb.8406:                             ;   in Loop: Header=BB6_7970 Depth=3
	s_andn2_saveexec_b32 s16, s16
; %bb.8407:                             ;   in Loop: Header=BB6_7970 Depth=3
	v_bfe_u32 v87, v86, 23, 1
; %bb.8408:                             ;   in Loop: Header=BB6_7970 Depth=3
	s_or_b32 exec_lo, exec_lo, s16
	v_and_b32_sdwa v53, v54, v60 dst_sel:DWORD dst_unused:UNUSED_PAD src0_sel:BYTE_3 src1_sel:DWORD
	v_lshrrev_b32_e32 v54, 21, v86
	v_cmp_gt_i32_e32 vcc_lo, 32, v87
	v_min_i32_e32 v83, 31, v87
	v_cndmask_b32_e32 v54, 3, v54, vcc_lo
	v_lshlrev_b32_e32 v83, 2, v83
	v_or_b32_e32 v86, v87, v54
	v_and_b32_e32 v54, 3, v54
	v_cmp_ne_u32_e32 vcc_lo, 0, v86
	v_or3_b32 v53, v83, v53, v54
	v_cndmask_b32_e32 v53, 0, v53, vcc_lo
.LBB6_8409:                             ;   in Loop: Header=BB6_7970 Depth=3
	s_or_b32 exec_lo, exec_lo, s23
.LBB6_8410:                             ;   in Loop: Header=BB6_7970 Depth=3
	s_or_b32 exec_lo, exec_lo, s22
	v_cmp_gt_i16_sdwa s22, v50, v59 src0_sel:BYTE_0 src1_sel:DWORD
	s_mov_b32 s16, 0
	s_and_saveexec_b32 s23, s22
	s_xor_b32 s22, exec_lo, s23
	s_cbranch_execz .LBB6_8696
; %bb.8411:                             ;   in Loop: Header=BB6_7970 Depth=3
	v_cmp_eq_u16_sdwa s72, v50, v60 src0_sel:BYTE_0 src1_sel:DWORD
	s_mov_b32 s16, -1
	s_and_saveexec_b32 s23, s72
; %bb.8412:                             ;   in Loop: Header=BB6_7970 Depth=3
	s_xor_b32 s16, exec_lo, -1
; %bb.8413:                             ;   in Loop: Header=BB6_7970 Depth=3
	s_or_b32 exec_lo, exec_lo, s23
	s_and_b32 s16, s16, exec_lo
	s_or_saveexec_b32 s22, s22
	v_mov_b32_e32 v54, 0x7f800001
	s_xor_b32 exec_lo, exec_lo, s22
	s_cbranch_execnz .LBB6_8697
.LBB6_8414:                             ;   in Loop: Header=BB6_7970 Depth=3
	s_or_b32 exec_lo, exec_lo, s22
	s_and_saveexec_b32 s22, s16
	s_cbranch_execz .LBB6_8416
.LBB6_8415:                             ;   in Loop: Header=BB6_7970 Depth=3
	v_and_b32_e32 v54, 3, v50
	v_lshrrev_b16 v86, 2, v50
	v_ffbh_u32_e32 v83, v54
	v_and_b32_e32 v86, 31, v86
	v_min_u32_e32 v83, 32, v83
	v_cmp_eq_u32_e32 vcc_lo, 0, v86
	v_subrev_nc_u32_e32 v87, 29, v83
	v_sub_nc_u32_e32 v83, 30, v83
	v_lshlrev_b32_e32 v87, v87, v50
	v_lshlrev_b32_e32 v50, 24, v50
	v_cndmask_b32_e32 v83, v86, v83, vcc_lo
	v_and_b32_e32 v87, 3, v87
	v_and_b32_e32 v50, 0x80000000, v50
	v_lshl_add_u32 v83, v83, 23, 0x37800000
	v_cndmask_b32_e32 v54, v54, v87, vcc_lo
	v_lshlrev_b32_e32 v54, 21, v54
	v_or3_b32 v54, v50, v83, v54
.LBB6_8416:                             ;   in Loop: Header=BB6_7970 Depth=3
	s_or_b32 exec_lo, exec_lo, s22
	s_waitcnt vmcnt(9) lgkmcnt(9)
	v_cmp_gt_i16_sdwa s22, v51, v59 src0_sel:BYTE_0 src1_sel:DWORD
	s_mov_b32 s16, 0
	s_and_saveexec_b32 s23, s22
	s_xor_b32 s22, exec_lo, s23
	s_cbranch_execz .LBB6_8698
; %bb.8417:                             ;   in Loop: Header=BB6_7970 Depth=3
	v_cmp_eq_u16_sdwa s72, v51, v60 src0_sel:BYTE_0 src1_sel:DWORD
	s_mov_b32 s16, -1
	s_and_saveexec_b32 s23, s72
; %bb.8418:                             ;   in Loop: Header=BB6_7970 Depth=3
	s_xor_b32 s16, exec_lo, -1
; %bb.8419:                             ;   in Loop: Header=BB6_7970 Depth=3
	s_or_b32 exec_lo, exec_lo, s23
	s_and_b32 s16, s16, exec_lo
	s_or_saveexec_b32 s22, s22
	v_mov_b32_e32 v50, 0x7f800001
	s_xor_b32 exec_lo, exec_lo, s22
	s_cbranch_execnz .LBB6_8699
.LBB6_8420:                             ;   in Loop: Header=BB6_7970 Depth=3
	s_or_b32 exec_lo, exec_lo, s22
	s_and_saveexec_b32 s22, s16
	s_cbranch_execz .LBB6_8422
.LBB6_8421:                             ;   in Loop: Header=BB6_7970 Depth=3
	v_and_b32_e32 v50, 3, v51
	v_lshrrev_b16 v86, 2, v51
	v_ffbh_u32_e32 v83, v50
	v_and_b32_e32 v86, 31, v86
	v_min_u32_e32 v83, 32, v83
	v_cmp_eq_u32_e32 vcc_lo, 0, v86
	v_subrev_nc_u32_e32 v87, 29, v83
	v_sub_nc_u32_e32 v83, 30, v83
	v_lshlrev_b32_e32 v87, v87, v51
	v_lshlrev_b32_e32 v51, 24, v51
	v_cndmask_b32_e32 v83, v86, v83, vcc_lo
	v_and_b32_e32 v87, 3, v87
	v_and_b32_e32 v51, 0x80000000, v51
	v_lshl_add_u32 v83, v83, 23, 0x37800000
	v_cndmask_b32_e32 v50, v50, v87, vcc_lo
	v_lshlrev_b32_e32 v50, 21, v50
	v_or3_b32 v50, v51, v83, v50
.LBB6_8422:                             ;   in Loop: Header=BB6_7970 Depth=3
	s_or_b32 exec_lo, exec_lo, s22
	v_mul_f32_e32 v51, v54, v50
	v_and_b32_e32 v50, 0x7f800000, v51
	v_cmp_ne_u32_e32 vcc_lo, 0x7f800000, v50
	v_mov_b32_e32 v50, 0x80
	s_and_saveexec_b32 s22, vcc_lo
	s_cbranch_execz .LBB6_8430
; %bb.8423:                             ;   in Loop: Header=BB6_7970 Depth=3
	v_mov_b32_e32 v50, 0
	s_mov_b32 s23, exec_lo
	v_cmpx_ne_u32_e32 0, v51
	s_cbranch_execz .LBB6_8429
; %bb.8424:                             ;   in Loop: Header=BB6_7970 Depth=3
	v_bfe_u32 v54, v51, 23, 8
	v_and_b32_e32 v50, 0x7fffff, v51
	v_cmp_gt_u32_e64 s16, 0x71, v54
	v_sub_nc_u32_e32 v83, 0x70, v54
	v_cmp_eq_u32_e32 vcc_lo, 0, v54
	v_or_b32_e32 v86, 0x800000, v50
	v_cndmask_b32_e64 v83, 0, v83, s16
	v_cndmask_b32_e32 v50, v86, v50, vcc_lo
	v_cndmask_b32_e64 v83, v83, 0x6f, vcc_lo
	v_lshl_add_u32 v86, 0x200000, v83, -1
	v_lshlrev_b32_e64 v87, v83, 0x100000
	v_and_b32_e32 v86, v86, v50
	v_cmp_eq_u32_e64 s16, v86, v87
	v_lshrrev_b32_e32 v86, v83, v50
	v_add_nc_u32_e32 v50, 0xffffff91, v54
	v_lshrrev_b32_e32 v54, 23, v86
	v_cndmask_b32_e64 v50, v50, 0xffffff92, vcc_lo
	v_xor_b32_e32 v54, 1, v54
	v_add_nc_u32_e32 v50, v83, v50
	v_bfe_u32 v83, v86, 21, 1
	v_add_nc_u32_e32 v83, -1, v83
	v_cndmask_b32_e64 v83, 0, v83, s16
	s_mov_b32 s16, exec_lo
	v_add_nc_u32_e32 v83, v83, v86
	v_and_b32_e32 v83, 0x1fffff, v83
	v_add_nc_u32_e32 v83, v83, v86
                                        ; implicit-def: $vgpr86
	v_cmpx_ne_u32_e64 v50, v54
	s_xor_b32 s16, exec_lo, s16
; %bb.8425:                             ;   in Loop: Header=BB6_7970 Depth=3
	v_cmp_lt_u32_e32 vcc_lo, 0xffffff, v83
	v_sub_nc_u32_e32 v50, v50, v54
	v_cndmask_b32_e64 v54, 0, 1, vcc_lo
	v_add_co_ci_u32_e64 v86, null, 0, v50, vcc_lo
	v_lshrrev_b32_e32 v83, v54, v83
; %bb.8426:                             ;   in Loop: Header=BB6_7970 Depth=3
	s_andn2_saveexec_b32 s16, s16
; %bb.8427:                             ;   in Loop: Header=BB6_7970 Depth=3
	v_bfe_u32 v86, v83, 23, 1
; %bb.8428:                             ;   in Loop: Header=BB6_7970 Depth=3
	s_or_b32 exec_lo, exec_lo, s16
	v_and_b32_sdwa v50, v51, v60 dst_sel:DWORD dst_unused:UNUSED_PAD src0_sel:BYTE_3 src1_sel:DWORD
	v_lshrrev_b32_e32 v51, 21, v83
	v_cmp_gt_i32_e32 vcc_lo, 32, v86
	v_min_i32_e32 v54, 31, v86
	v_cndmask_b32_e32 v51, 3, v51, vcc_lo
	v_lshlrev_b32_e32 v54, 2, v54
	v_or_b32_e32 v83, v86, v51
	v_and_b32_e32 v51, 3, v51
	v_cmp_ne_u32_e32 vcc_lo, 0, v83
	v_or3_b32 v50, v54, v50, v51
	v_cndmask_b32_e32 v50, 0, v50, vcc_lo
.LBB6_8429:                             ;   in Loop: Header=BB6_7970 Depth=3
	s_or_b32 exec_lo, exec_lo, s23
.LBB6_8430:                             ;   in Loop: Header=BB6_7970 Depth=3
	s_or_b32 exec_lo, exec_lo, s22
	v_cmp_gt_i16_sdwa s22, v39, v59 src0_sel:BYTE_0 src1_sel:DWORD
	s_mov_b32 s16, 0
	s_and_saveexec_b32 s23, s22
	s_xor_b32 s22, exec_lo, s23
	s_cbranch_execz .LBB6_8700
; %bb.8431:                             ;   in Loop: Header=BB6_7970 Depth=3
	v_cmp_eq_u16_sdwa s72, v39, v60 src0_sel:BYTE_0 src1_sel:DWORD
	s_mov_b32 s16, -1
	s_and_saveexec_b32 s23, s72
; %bb.8432:                             ;   in Loop: Header=BB6_7970 Depth=3
	s_xor_b32 s16, exec_lo, -1
; %bb.8433:                             ;   in Loop: Header=BB6_7970 Depth=3
	s_or_b32 exec_lo, exec_lo, s23
	s_and_b32 s16, s16, exec_lo
	s_or_saveexec_b32 s22, s22
	v_mov_b32_e32 v51, 0x7f800001
	s_xor_b32 exec_lo, exec_lo, s22
	s_cbranch_execnz .LBB6_8701
.LBB6_8434:                             ;   in Loop: Header=BB6_7970 Depth=3
	s_or_b32 exec_lo, exec_lo, s22
	s_and_saveexec_b32 s22, s16
	s_cbranch_execz .LBB6_8436
.LBB6_8435:                             ;   in Loop: Header=BB6_7970 Depth=3
	v_and_b32_e32 v51, 3, v39
	v_lshrrev_b16 v83, 2, v39
	v_ffbh_u32_e32 v54, v51
	v_and_b32_e32 v83, 31, v83
	v_min_u32_e32 v54, 32, v54
	v_cmp_eq_u32_e32 vcc_lo, 0, v83
	v_subrev_nc_u32_e32 v86, 29, v54
	v_sub_nc_u32_e32 v54, 30, v54
	v_lshlrev_b32_e32 v86, v86, v39
	v_lshlrev_b32_e32 v39, 24, v39
	v_cndmask_b32_e32 v54, v83, v54, vcc_lo
	v_and_b32_e32 v86, 3, v86
	v_and_b32_e32 v39, 0x80000000, v39
	v_lshl_add_u32 v54, v54, 23, 0x37800000
	v_cndmask_b32_e32 v51, v51, v86, vcc_lo
	v_lshlrev_b32_e32 v51, 21, v51
	v_or3_b32 v51, v39, v54, v51
.LBB6_8436:                             ;   in Loop: Header=BB6_7970 Depth=3
	s_or_b32 exec_lo, exec_lo, s22
	s_waitcnt vmcnt(8) lgkmcnt(8)
	v_cmp_gt_i16_sdwa s22, v48, v59 src0_sel:BYTE_0 src1_sel:DWORD
	s_mov_b32 s16, 0
	s_and_saveexec_b32 s23, s22
	s_xor_b32 s22, exec_lo, s23
	s_cbranch_execz .LBB6_8702
; %bb.8437:                             ;   in Loop: Header=BB6_7970 Depth=3
	v_cmp_eq_u16_sdwa s72, v48, v60 src0_sel:BYTE_0 src1_sel:DWORD
	s_mov_b32 s16, -1
	s_and_saveexec_b32 s23, s72
; %bb.8438:                             ;   in Loop: Header=BB6_7970 Depth=3
	s_xor_b32 s16, exec_lo, -1
; %bb.8439:                             ;   in Loop: Header=BB6_7970 Depth=3
	s_or_b32 exec_lo, exec_lo, s23
	s_and_b32 s16, s16, exec_lo
	s_or_saveexec_b32 s22, s22
	v_mov_b32_e32 v39, 0x7f800001
	s_xor_b32 exec_lo, exec_lo, s22
	s_cbranch_execnz .LBB6_8703
.LBB6_8440:                             ;   in Loop: Header=BB6_7970 Depth=3
	s_or_b32 exec_lo, exec_lo, s22
	s_and_saveexec_b32 s22, s16
	s_cbranch_execz .LBB6_8442
.LBB6_8441:                             ;   in Loop: Header=BB6_7970 Depth=3
	v_and_b32_e32 v39, 3, v48
	v_lshrrev_b16 v83, 2, v48
	v_ffbh_u32_e32 v54, v39
	v_and_b32_e32 v83, 31, v83
	v_min_u32_e32 v54, 32, v54
	v_cmp_eq_u32_e32 vcc_lo, 0, v83
	v_subrev_nc_u32_e32 v86, 29, v54
	v_sub_nc_u32_e32 v54, 30, v54
	v_lshlrev_b32_e32 v86, v86, v48
	v_lshlrev_b32_e32 v48, 24, v48
	v_cndmask_b32_e32 v54, v83, v54, vcc_lo
	v_and_b32_e32 v86, 3, v86
	v_and_b32_e32 v48, 0x80000000, v48
	v_lshl_add_u32 v54, v54, 23, 0x37800000
	v_cndmask_b32_e32 v39, v39, v86, vcc_lo
	v_lshlrev_b32_e32 v39, 21, v39
	v_or3_b32 v39, v48, v54, v39
.LBB6_8442:                             ;   in Loop: Header=BB6_7970 Depth=3
	s_or_b32 exec_lo, exec_lo, s22
	v_mul_f32_e32 v48, v51, v39
	v_and_b32_e32 v39, 0x7f800000, v48
	v_cmp_ne_u32_e32 vcc_lo, 0x7f800000, v39
	v_mov_b32_e32 v39, 0x80
	s_and_saveexec_b32 s22, vcc_lo
	s_cbranch_execz .LBB6_8450
; %bb.8443:                             ;   in Loop: Header=BB6_7970 Depth=3
	v_mov_b32_e32 v39, 0
	s_mov_b32 s23, exec_lo
	v_cmpx_ne_u32_e32 0, v48
	s_cbranch_execz .LBB6_8449
; %bb.8444:                             ;   in Loop: Header=BB6_7970 Depth=3
	v_bfe_u32 v51, v48, 23, 8
	v_and_b32_e32 v39, 0x7fffff, v48
	v_cmp_gt_u32_e64 s16, 0x71, v51
	v_sub_nc_u32_e32 v54, 0x70, v51
	v_cmp_eq_u32_e32 vcc_lo, 0, v51
	v_or_b32_e32 v83, 0x800000, v39
	v_cndmask_b32_e64 v54, 0, v54, s16
	v_cndmask_b32_e32 v39, v83, v39, vcc_lo
	v_cndmask_b32_e64 v54, v54, 0x6f, vcc_lo
	v_lshl_add_u32 v83, 0x200000, v54, -1
	v_lshlrev_b32_e64 v86, v54, 0x100000
	v_and_b32_e32 v83, v83, v39
	v_cmp_eq_u32_e64 s16, v83, v86
	v_lshrrev_b32_e32 v83, v54, v39
	v_add_nc_u32_e32 v39, 0xffffff91, v51
	v_lshrrev_b32_e32 v51, 23, v83
	v_cndmask_b32_e64 v39, v39, 0xffffff92, vcc_lo
	v_xor_b32_e32 v51, 1, v51
	v_add_nc_u32_e32 v39, v54, v39
	v_bfe_u32 v54, v83, 21, 1
	v_add_nc_u32_e32 v54, -1, v54
	v_cndmask_b32_e64 v54, 0, v54, s16
	s_mov_b32 s16, exec_lo
	v_add_nc_u32_e32 v54, v54, v83
	v_and_b32_e32 v54, 0x1fffff, v54
	v_add_nc_u32_e32 v54, v54, v83
                                        ; implicit-def: $vgpr83
	v_cmpx_ne_u32_e64 v39, v51
	s_xor_b32 s16, exec_lo, s16
; %bb.8445:                             ;   in Loop: Header=BB6_7970 Depth=3
	v_cmp_lt_u32_e32 vcc_lo, 0xffffff, v54
	v_sub_nc_u32_e32 v39, v39, v51
	v_cndmask_b32_e64 v51, 0, 1, vcc_lo
	v_add_co_ci_u32_e64 v83, null, 0, v39, vcc_lo
	v_lshrrev_b32_e32 v54, v51, v54
; %bb.8446:                             ;   in Loop: Header=BB6_7970 Depth=3
	s_andn2_saveexec_b32 s16, s16
; %bb.8447:                             ;   in Loop: Header=BB6_7970 Depth=3
	v_bfe_u32 v83, v54, 23, 1
; %bb.8448:                             ;   in Loop: Header=BB6_7970 Depth=3
	s_or_b32 exec_lo, exec_lo, s16
	v_and_b32_sdwa v39, v48, v60 dst_sel:DWORD dst_unused:UNUSED_PAD src0_sel:BYTE_3 src1_sel:DWORD
	v_lshrrev_b32_e32 v48, 21, v54
	v_cmp_gt_i32_e32 vcc_lo, 32, v83
	v_min_i32_e32 v51, 31, v83
	v_cndmask_b32_e32 v48, 3, v48, vcc_lo
	v_lshlrev_b32_e32 v51, 2, v51
	v_or_b32_e32 v54, v83, v48
	v_and_b32_e32 v48, 3, v48
	v_cmp_ne_u32_e32 vcc_lo, 0, v54
	v_or3_b32 v39, v51, v39, v48
	v_cndmask_b32_e32 v39, 0, v39, vcc_lo
.LBB6_8449:                             ;   in Loop: Header=BB6_7970 Depth=3
	s_or_b32 exec_lo, exec_lo, s23
.LBB6_8450:                             ;   in Loop: Header=BB6_7970 Depth=3
	s_or_b32 exec_lo, exec_lo, s22
	v_cmp_gt_i16_sdwa s22, v36, v59 src0_sel:BYTE_0 src1_sel:DWORD
	s_mov_b32 s16, 0
	s_and_saveexec_b32 s23, s22
	s_xor_b32 s22, exec_lo, s23
	s_cbranch_execz .LBB6_8704
; %bb.8451:                             ;   in Loop: Header=BB6_7970 Depth=3
	v_cmp_eq_u16_sdwa s72, v36, v60 src0_sel:BYTE_0 src1_sel:DWORD
	s_mov_b32 s16, -1
	s_and_saveexec_b32 s23, s72
; %bb.8452:                             ;   in Loop: Header=BB6_7970 Depth=3
	s_xor_b32 s16, exec_lo, -1
; %bb.8453:                             ;   in Loop: Header=BB6_7970 Depth=3
	s_or_b32 exec_lo, exec_lo, s23
	s_and_b32 s16, s16, exec_lo
	s_or_saveexec_b32 s22, s22
	v_mov_b32_e32 v48, 0x7f800001
	s_xor_b32 exec_lo, exec_lo, s22
	s_cbranch_execnz .LBB6_8705
.LBB6_8454:                             ;   in Loop: Header=BB6_7970 Depth=3
	s_or_b32 exec_lo, exec_lo, s22
	s_and_saveexec_b32 s22, s16
	s_cbranch_execz .LBB6_8456
.LBB6_8455:                             ;   in Loop: Header=BB6_7970 Depth=3
	v_and_b32_e32 v48, 3, v36
	v_lshrrev_b16 v54, 2, v36
	v_ffbh_u32_e32 v51, v48
	v_and_b32_e32 v54, 31, v54
	v_min_u32_e32 v51, 32, v51
	v_cmp_eq_u32_e32 vcc_lo, 0, v54
	v_subrev_nc_u32_e32 v83, 29, v51
	v_sub_nc_u32_e32 v51, 30, v51
	v_lshlrev_b32_e32 v83, v83, v36
	v_lshlrev_b32_e32 v36, 24, v36
	v_cndmask_b32_e32 v51, v54, v51, vcc_lo
	v_and_b32_e32 v83, 3, v83
	v_and_b32_e32 v36, 0x80000000, v36
	v_lshl_add_u32 v51, v51, 23, 0x37800000
	v_cndmask_b32_e32 v48, v48, v83, vcc_lo
	v_lshlrev_b32_e32 v48, 21, v48
	v_or3_b32 v48, v36, v51, v48
.LBB6_8456:                             ;   in Loop: Header=BB6_7970 Depth=3
	s_or_b32 exec_lo, exec_lo, s22
	s_waitcnt vmcnt(7) lgkmcnt(7)
	v_cmp_gt_i16_sdwa s22, v37, v59 src0_sel:BYTE_0 src1_sel:DWORD
	s_mov_b32 s16, 0
	s_and_saveexec_b32 s23, s22
	s_xor_b32 s22, exec_lo, s23
	s_cbranch_execz .LBB6_8706
; %bb.8457:                             ;   in Loop: Header=BB6_7970 Depth=3
	v_cmp_eq_u16_sdwa s72, v37, v60 src0_sel:BYTE_0 src1_sel:DWORD
	s_mov_b32 s16, -1
	s_and_saveexec_b32 s23, s72
; %bb.8458:                             ;   in Loop: Header=BB6_7970 Depth=3
	s_xor_b32 s16, exec_lo, -1
; %bb.8459:                             ;   in Loop: Header=BB6_7970 Depth=3
	s_or_b32 exec_lo, exec_lo, s23
	s_and_b32 s16, s16, exec_lo
	s_or_saveexec_b32 s22, s22
	v_mov_b32_e32 v36, 0x7f800001
	s_xor_b32 exec_lo, exec_lo, s22
	s_cbranch_execnz .LBB6_8707
.LBB6_8460:                             ;   in Loop: Header=BB6_7970 Depth=3
	s_or_b32 exec_lo, exec_lo, s22
	s_and_saveexec_b32 s22, s16
	s_cbranch_execz .LBB6_8462
.LBB6_8461:                             ;   in Loop: Header=BB6_7970 Depth=3
	v_and_b32_e32 v36, 3, v37
	v_lshrrev_b16 v54, 2, v37
	v_ffbh_u32_e32 v51, v36
	v_and_b32_e32 v54, 31, v54
	v_min_u32_e32 v51, 32, v51
	v_cmp_eq_u32_e32 vcc_lo, 0, v54
	v_subrev_nc_u32_e32 v83, 29, v51
	v_sub_nc_u32_e32 v51, 30, v51
	v_lshlrev_b32_e32 v83, v83, v37
	v_lshlrev_b32_e32 v37, 24, v37
	v_cndmask_b32_e32 v51, v54, v51, vcc_lo
	v_and_b32_e32 v83, 3, v83
	v_and_b32_e32 v37, 0x80000000, v37
	v_lshl_add_u32 v51, v51, 23, 0x37800000
	v_cndmask_b32_e32 v36, v36, v83, vcc_lo
	v_lshlrev_b32_e32 v36, 21, v36
	v_or3_b32 v36, v37, v51, v36
.LBB6_8462:                             ;   in Loop: Header=BB6_7970 Depth=3
	s_or_b32 exec_lo, exec_lo, s22
	v_mul_f32_e32 v37, v48, v36
	v_and_b32_e32 v36, 0x7f800000, v37
	v_cmp_ne_u32_e32 vcc_lo, 0x7f800000, v36
	v_mov_b32_e32 v36, 0x80
	s_and_saveexec_b32 s22, vcc_lo
	s_cbranch_execz .LBB6_8470
; %bb.8463:                             ;   in Loop: Header=BB6_7970 Depth=3
	v_mov_b32_e32 v36, 0
	s_mov_b32 s23, exec_lo
	v_cmpx_ne_u32_e32 0, v37
	s_cbranch_execz .LBB6_8469
; %bb.8464:                             ;   in Loop: Header=BB6_7970 Depth=3
	v_bfe_u32 v48, v37, 23, 8
	v_and_b32_e32 v36, 0x7fffff, v37
	v_cmp_gt_u32_e64 s16, 0x71, v48
	v_sub_nc_u32_e32 v51, 0x70, v48
	v_cmp_eq_u32_e32 vcc_lo, 0, v48
	v_or_b32_e32 v54, 0x800000, v36
	v_cndmask_b32_e64 v51, 0, v51, s16
	v_cndmask_b32_e32 v36, v54, v36, vcc_lo
	v_cndmask_b32_e64 v51, v51, 0x6f, vcc_lo
	v_lshl_add_u32 v54, 0x200000, v51, -1
	v_lshlrev_b32_e64 v83, v51, 0x100000
	v_and_b32_e32 v54, v54, v36
	v_cmp_eq_u32_e64 s16, v54, v83
	v_lshrrev_b32_e32 v54, v51, v36
	v_add_nc_u32_e32 v36, 0xffffff91, v48
	v_lshrrev_b32_e32 v48, 23, v54
	v_cndmask_b32_e64 v36, v36, 0xffffff92, vcc_lo
	v_xor_b32_e32 v48, 1, v48
	v_add_nc_u32_e32 v36, v51, v36
	v_bfe_u32 v51, v54, 21, 1
	v_add_nc_u32_e32 v51, -1, v51
	v_cndmask_b32_e64 v51, 0, v51, s16
	s_mov_b32 s16, exec_lo
	v_add_nc_u32_e32 v51, v51, v54
	v_and_b32_e32 v51, 0x1fffff, v51
	v_add_nc_u32_e32 v51, v51, v54
                                        ; implicit-def: $vgpr54
	v_cmpx_ne_u32_e64 v36, v48
	s_xor_b32 s16, exec_lo, s16
; %bb.8465:                             ;   in Loop: Header=BB6_7970 Depth=3
	v_cmp_lt_u32_e32 vcc_lo, 0xffffff, v51
	v_sub_nc_u32_e32 v36, v36, v48
	v_cndmask_b32_e64 v48, 0, 1, vcc_lo
	v_add_co_ci_u32_e64 v54, null, 0, v36, vcc_lo
	v_lshrrev_b32_e32 v51, v48, v51
; %bb.8466:                             ;   in Loop: Header=BB6_7970 Depth=3
	s_andn2_saveexec_b32 s16, s16
; %bb.8467:                             ;   in Loop: Header=BB6_7970 Depth=3
	v_bfe_u32 v54, v51, 23, 1
; %bb.8468:                             ;   in Loop: Header=BB6_7970 Depth=3
	s_or_b32 exec_lo, exec_lo, s16
	v_and_b32_sdwa v36, v37, v60 dst_sel:DWORD dst_unused:UNUSED_PAD src0_sel:BYTE_3 src1_sel:DWORD
	v_lshrrev_b32_e32 v37, 21, v51
	v_cmp_gt_i32_e32 vcc_lo, 32, v54
	v_min_i32_e32 v48, 31, v54
	v_cndmask_b32_e32 v37, 3, v37, vcc_lo
	v_lshlrev_b32_e32 v48, 2, v48
	v_or_b32_e32 v51, v54, v37
	v_and_b32_e32 v37, 3, v37
	v_cmp_ne_u32_e32 vcc_lo, 0, v51
	v_or3_b32 v36, v48, v36, v37
	v_cndmask_b32_e32 v36, 0, v36, vcc_lo
.LBB6_8469:                             ;   in Loop: Header=BB6_7970 Depth=3
	s_or_b32 exec_lo, exec_lo, s23
.LBB6_8470:                             ;   in Loop: Header=BB6_7970 Depth=3
	s_or_b32 exec_lo, exec_lo, s22
	v_cmp_gt_i16_sdwa s22, v33, v59 src0_sel:BYTE_0 src1_sel:DWORD
	s_mov_b32 s16, 0
	s_and_saveexec_b32 s23, s22
	s_xor_b32 s22, exec_lo, s23
	s_cbranch_execz .LBB6_8708
; %bb.8471:                             ;   in Loop: Header=BB6_7970 Depth=3
	v_cmp_eq_u16_sdwa s72, v33, v60 src0_sel:BYTE_0 src1_sel:DWORD
	s_mov_b32 s16, -1
	s_and_saveexec_b32 s23, s72
; %bb.8472:                             ;   in Loop: Header=BB6_7970 Depth=3
	s_xor_b32 s16, exec_lo, -1
; %bb.8473:                             ;   in Loop: Header=BB6_7970 Depth=3
	s_or_b32 exec_lo, exec_lo, s23
	s_and_b32 s16, s16, exec_lo
	s_or_saveexec_b32 s22, s22
	v_mov_b32_e32 v37, 0x7f800001
	s_xor_b32 exec_lo, exec_lo, s22
	s_cbranch_execnz .LBB6_8709
.LBB6_8474:                             ;   in Loop: Header=BB6_7970 Depth=3
	s_or_b32 exec_lo, exec_lo, s22
	s_and_saveexec_b32 s22, s16
	s_cbranch_execz .LBB6_8476
.LBB6_8475:                             ;   in Loop: Header=BB6_7970 Depth=3
	v_and_b32_e32 v37, 3, v33
	v_lshrrev_b16 v51, 2, v33
	v_ffbh_u32_e32 v48, v37
	v_and_b32_e32 v51, 31, v51
	v_min_u32_e32 v48, 32, v48
	v_cmp_eq_u32_e32 vcc_lo, 0, v51
	v_subrev_nc_u32_e32 v54, 29, v48
	v_sub_nc_u32_e32 v48, 30, v48
	v_lshlrev_b32_e32 v54, v54, v33
	v_lshlrev_b32_e32 v33, 24, v33
	v_cndmask_b32_e32 v48, v51, v48, vcc_lo
	v_and_b32_e32 v54, 3, v54
	v_and_b32_e32 v33, 0x80000000, v33
	v_lshl_add_u32 v48, v48, 23, 0x37800000
	v_cndmask_b32_e32 v37, v37, v54, vcc_lo
	v_lshlrev_b32_e32 v37, 21, v37
	v_or3_b32 v37, v33, v48, v37
.LBB6_8476:                             ;   in Loop: Header=BB6_7970 Depth=3
	s_or_b32 exec_lo, exec_lo, s22
	s_waitcnt vmcnt(6) lgkmcnt(6)
	v_cmp_gt_i16_sdwa s22, v34, v59 src0_sel:BYTE_0 src1_sel:DWORD
	s_mov_b32 s16, 0
	s_and_saveexec_b32 s23, s22
	s_xor_b32 s22, exec_lo, s23
	s_cbranch_execz .LBB6_8710
; %bb.8477:                             ;   in Loop: Header=BB6_7970 Depth=3
	v_cmp_eq_u16_sdwa s72, v34, v60 src0_sel:BYTE_0 src1_sel:DWORD
	s_mov_b32 s16, -1
	s_and_saveexec_b32 s23, s72
; %bb.8478:                             ;   in Loop: Header=BB6_7970 Depth=3
	s_xor_b32 s16, exec_lo, -1
; %bb.8479:                             ;   in Loop: Header=BB6_7970 Depth=3
	s_or_b32 exec_lo, exec_lo, s23
	s_and_b32 s16, s16, exec_lo
	s_or_saveexec_b32 s22, s22
	v_mov_b32_e32 v33, 0x7f800001
	s_xor_b32 exec_lo, exec_lo, s22
	s_cbranch_execnz .LBB6_8711
.LBB6_8480:                             ;   in Loop: Header=BB6_7970 Depth=3
	s_or_b32 exec_lo, exec_lo, s22
	s_and_saveexec_b32 s22, s16
	s_cbranch_execz .LBB6_8482
.LBB6_8481:                             ;   in Loop: Header=BB6_7970 Depth=3
	v_and_b32_e32 v33, 3, v34
	v_lshrrev_b16 v51, 2, v34
	v_ffbh_u32_e32 v48, v33
	v_and_b32_e32 v51, 31, v51
	v_min_u32_e32 v48, 32, v48
	v_cmp_eq_u32_e32 vcc_lo, 0, v51
	v_subrev_nc_u32_e32 v54, 29, v48
	v_sub_nc_u32_e32 v48, 30, v48
	v_lshlrev_b32_e32 v54, v54, v34
	v_lshlrev_b32_e32 v34, 24, v34
	v_cndmask_b32_e32 v48, v51, v48, vcc_lo
	v_and_b32_e32 v54, 3, v54
	v_and_b32_e32 v34, 0x80000000, v34
	v_lshl_add_u32 v48, v48, 23, 0x37800000
	v_cndmask_b32_e32 v33, v33, v54, vcc_lo
	v_lshlrev_b32_e32 v33, 21, v33
	v_or3_b32 v33, v34, v48, v33
.LBB6_8482:                             ;   in Loop: Header=BB6_7970 Depth=3
	s_or_b32 exec_lo, exec_lo, s22
	v_mul_f32_e32 v34, v37, v33
	v_and_b32_e32 v33, 0x7f800000, v34
	v_cmp_ne_u32_e32 vcc_lo, 0x7f800000, v33
	v_mov_b32_e32 v33, 0x80
	s_and_saveexec_b32 s22, vcc_lo
	s_cbranch_execz .LBB6_8490
; %bb.8483:                             ;   in Loop: Header=BB6_7970 Depth=3
	v_mov_b32_e32 v33, 0
	s_mov_b32 s23, exec_lo
	v_cmpx_ne_u32_e32 0, v34
	s_cbranch_execz .LBB6_8489
; %bb.8484:                             ;   in Loop: Header=BB6_7970 Depth=3
	v_bfe_u32 v37, v34, 23, 8
	v_and_b32_e32 v33, 0x7fffff, v34
	v_cmp_gt_u32_e64 s16, 0x71, v37
	v_sub_nc_u32_e32 v48, 0x70, v37
	v_cmp_eq_u32_e32 vcc_lo, 0, v37
	v_or_b32_e32 v51, 0x800000, v33
	v_cndmask_b32_e64 v48, 0, v48, s16
	v_cndmask_b32_e32 v33, v51, v33, vcc_lo
	v_cndmask_b32_e64 v48, v48, 0x6f, vcc_lo
	v_lshl_add_u32 v51, 0x200000, v48, -1
	v_lshlrev_b32_e64 v54, v48, 0x100000
	v_and_b32_e32 v51, v51, v33
	v_cmp_eq_u32_e64 s16, v51, v54
	v_lshrrev_b32_e32 v51, v48, v33
	v_add_nc_u32_e32 v33, 0xffffff91, v37
	v_lshrrev_b32_e32 v37, 23, v51
	v_cndmask_b32_e64 v33, v33, 0xffffff92, vcc_lo
	v_xor_b32_e32 v37, 1, v37
	v_add_nc_u32_e32 v33, v48, v33
	v_bfe_u32 v48, v51, 21, 1
	v_add_nc_u32_e32 v48, -1, v48
	v_cndmask_b32_e64 v48, 0, v48, s16
	s_mov_b32 s16, exec_lo
	v_add_nc_u32_e32 v48, v48, v51
	v_and_b32_e32 v48, 0x1fffff, v48
	v_add_nc_u32_e32 v48, v48, v51
                                        ; implicit-def: $vgpr51
	v_cmpx_ne_u32_e64 v33, v37
	s_xor_b32 s16, exec_lo, s16
; %bb.8485:                             ;   in Loop: Header=BB6_7970 Depth=3
	v_cmp_lt_u32_e32 vcc_lo, 0xffffff, v48
	v_sub_nc_u32_e32 v33, v33, v37
	v_cndmask_b32_e64 v37, 0, 1, vcc_lo
	v_add_co_ci_u32_e64 v51, null, 0, v33, vcc_lo
	v_lshrrev_b32_e32 v48, v37, v48
; %bb.8486:                             ;   in Loop: Header=BB6_7970 Depth=3
	s_andn2_saveexec_b32 s16, s16
; %bb.8487:                             ;   in Loop: Header=BB6_7970 Depth=3
	v_bfe_u32 v51, v48, 23, 1
; %bb.8488:                             ;   in Loop: Header=BB6_7970 Depth=3
	s_or_b32 exec_lo, exec_lo, s16
	v_and_b32_sdwa v33, v34, v60 dst_sel:DWORD dst_unused:UNUSED_PAD src0_sel:BYTE_3 src1_sel:DWORD
	v_lshrrev_b32_e32 v34, 21, v48
	v_cmp_gt_i32_e32 vcc_lo, 32, v51
	v_min_i32_e32 v37, 31, v51
	v_cndmask_b32_e32 v34, 3, v34, vcc_lo
	v_lshlrev_b32_e32 v37, 2, v37
	v_or_b32_e32 v48, v51, v34
	v_and_b32_e32 v34, 3, v34
	v_cmp_ne_u32_e32 vcc_lo, 0, v48
	v_or3_b32 v33, v37, v33, v34
	v_cndmask_b32_e32 v33, 0, v33, vcc_lo
.LBB6_8489:                             ;   in Loop: Header=BB6_7970 Depth=3
	s_or_b32 exec_lo, exec_lo, s23
.LBB6_8490:                             ;   in Loop: Header=BB6_7970 Depth=3
	s_or_b32 exec_lo, exec_lo, s22
	v_cmp_gt_i16_sdwa s22, v30, v59 src0_sel:BYTE_0 src1_sel:DWORD
	s_mov_b32 s16, 0
	s_and_saveexec_b32 s23, s22
	s_xor_b32 s22, exec_lo, s23
	s_cbranch_execz .LBB6_8712
; %bb.8491:                             ;   in Loop: Header=BB6_7970 Depth=3
	v_cmp_eq_u16_sdwa s72, v30, v60 src0_sel:BYTE_0 src1_sel:DWORD
	s_mov_b32 s16, -1
	s_and_saveexec_b32 s23, s72
; %bb.8492:                             ;   in Loop: Header=BB6_7970 Depth=3
	s_xor_b32 s16, exec_lo, -1
; %bb.8493:                             ;   in Loop: Header=BB6_7970 Depth=3
	s_or_b32 exec_lo, exec_lo, s23
	s_and_b32 s16, s16, exec_lo
	s_or_saveexec_b32 s22, s22
	v_mov_b32_e32 v34, 0x7f800001
	s_xor_b32 exec_lo, exec_lo, s22
	s_cbranch_execnz .LBB6_8713
.LBB6_8494:                             ;   in Loop: Header=BB6_7970 Depth=3
	s_or_b32 exec_lo, exec_lo, s22
	s_and_saveexec_b32 s22, s16
	s_cbranch_execz .LBB6_8496
.LBB6_8495:                             ;   in Loop: Header=BB6_7970 Depth=3
	v_and_b32_e32 v34, 3, v30
	v_lshrrev_b16 v48, 2, v30
	v_ffbh_u32_e32 v37, v34
	v_and_b32_e32 v48, 31, v48
	v_min_u32_e32 v37, 32, v37
	v_cmp_eq_u32_e32 vcc_lo, 0, v48
	v_subrev_nc_u32_e32 v51, 29, v37
	v_sub_nc_u32_e32 v37, 30, v37
	v_lshlrev_b32_e32 v51, v51, v30
	v_lshlrev_b32_e32 v30, 24, v30
	v_cndmask_b32_e32 v37, v48, v37, vcc_lo
	v_and_b32_e32 v51, 3, v51
	v_and_b32_e32 v30, 0x80000000, v30
	v_lshl_add_u32 v37, v37, 23, 0x37800000
	v_cndmask_b32_e32 v34, v34, v51, vcc_lo
	v_lshlrev_b32_e32 v34, 21, v34
	v_or3_b32 v34, v30, v37, v34
.LBB6_8496:                             ;   in Loop: Header=BB6_7970 Depth=3
	s_or_b32 exec_lo, exec_lo, s22
	s_waitcnt vmcnt(5) lgkmcnt(5)
	v_cmp_gt_i16_sdwa s22, v31, v59 src0_sel:BYTE_0 src1_sel:DWORD
	s_mov_b32 s16, 0
	s_and_saveexec_b32 s23, s22
	s_xor_b32 s22, exec_lo, s23
	s_cbranch_execz .LBB6_8714
; %bb.8497:                             ;   in Loop: Header=BB6_7970 Depth=3
	v_cmp_eq_u16_sdwa s72, v31, v60 src0_sel:BYTE_0 src1_sel:DWORD
	s_mov_b32 s16, -1
	s_and_saveexec_b32 s23, s72
; %bb.8498:                             ;   in Loop: Header=BB6_7970 Depth=3
	s_xor_b32 s16, exec_lo, -1
; %bb.8499:                             ;   in Loop: Header=BB6_7970 Depth=3
	s_or_b32 exec_lo, exec_lo, s23
	s_and_b32 s16, s16, exec_lo
	s_or_saveexec_b32 s22, s22
	v_mov_b32_e32 v30, 0x7f800001
	s_xor_b32 exec_lo, exec_lo, s22
	s_cbranch_execnz .LBB6_8715
.LBB6_8500:                             ;   in Loop: Header=BB6_7970 Depth=3
	s_or_b32 exec_lo, exec_lo, s22
	s_and_saveexec_b32 s22, s16
	s_cbranch_execz .LBB6_8502
.LBB6_8501:                             ;   in Loop: Header=BB6_7970 Depth=3
	v_and_b32_e32 v30, 3, v31
	v_lshrrev_b16 v48, 2, v31
	v_ffbh_u32_e32 v37, v30
	v_and_b32_e32 v48, 31, v48
	v_min_u32_e32 v37, 32, v37
	v_cmp_eq_u32_e32 vcc_lo, 0, v48
	v_subrev_nc_u32_e32 v51, 29, v37
	v_sub_nc_u32_e32 v37, 30, v37
	v_lshlrev_b32_e32 v51, v51, v31
	v_lshlrev_b32_e32 v31, 24, v31
	v_cndmask_b32_e32 v37, v48, v37, vcc_lo
	v_and_b32_e32 v51, 3, v51
	v_and_b32_e32 v31, 0x80000000, v31
	v_lshl_add_u32 v37, v37, 23, 0x37800000
	v_cndmask_b32_e32 v30, v30, v51, vcc_lo
	v_lshlrev_b32_e32 v30, 21, v30
	v_or3_b32 v30, v31, v37, v30
.LBB6_8502:                             ;   in Loop: Header=BB6_7970 Depth=3
	s_or_b32 exec_lo, exec_lo, s22
	v_mul_f32_e32 v31, v34, v30
	v_and_b32_e32 v30, 0x7f800000, v31
	v_cmp_ne_u32_e32 vcc_lo, 0x7f800000, v30
	v_mov_b32_e32 v30, 0x80
	s_and_saveexec_b32 s22, vcc_lo
	s_cbranch_execz .LBB6_8510
; %bb.8503:                             ;   in Loop: Header=BB6_7970 Depth=3
	v_mov_b32_e32 v30, 0
	s_mov_b32 s23, exec_lo
	v_cmpx_ne_u32_e32 0, v31
	s_cbranch_execz .LBB6_8509
; %bb.8504:                             ;   in Loop: Header=BB6_7970 Depth=3
	v_bfe_u32 v34, v31, 23, 8
	v_and_b32_e32 v30, 0x7fffff, v31
	v_cmp_gt_u32_e64 s16, 0x71, v34
	v_sub_nc_u32_e32 v37, 0x70, v34
	v_cmp_eq_u32_e32 vcc_lo, 0, v34
	v_or_b32_e32 v48, 0x800000, v30
	v_cndmask_b32_e64 v37, 0, v37, s16
	v_cndmask_b32_e32 v30, v48, v30, vcc_lo
	v_cndmask_b32_e64 v37, v37, 0x6f, vcc_lo
	v_lshl_add_u32 v48, 0x200000, v37, -1
	v_lshlrev_b32_e64 v51, v37, 0x100000
	v_and_b32_e32 v48, v48, v30
	v_cmp_eq_u32_e64 s16, v48, v51
	v_lshrrev_b32_e32 v48, v37, v30
	v_add_nc_u32_e32 v30, 0xffffff91, v34
	v_lshrrev_b32_e32 v34, 23, v48
	v_cndmask_b32_e64 v30, v30, 0xffffff92, vcc_lo
	v_xor_b32_e32 v34, 1, v34
	v_add_nc_u32_e32 v30, v37, v30
	v_bfe_u32 v37, v48, 21, 1
	v_add_nc_u32_e32 v37, -1, v37
	v_cndmask_b32_e64 v37, 0, v37, s16
	s_mov_b32 s16, exec_lo
	v_add_nc_u32_e32 v37, v37, v48
	v_and_b32_e32 v37, 0x1fffff, v37
	v_add_nc_u32_e32 v37, v37, v48
                                        ; implicit-def: $vgpr48
	v_cmpx_ne_u32_e64 v30, v34
	s_xor_b32 s16, exec_lo, s16
; %bb.8505:                             ;   in Loop: Header=BB6_7970 Depth=3
	v_cmp_lt_u32_e32 vcc_lo, 0xffffff, v37
	v_sub_nc_u32_e32 v30, v30, v34
	v_cndmask_b32_e64 v34, 0, 1, vcc_lo
	v_add_co_ci_u32_e64 v48, null, 0, v30, vcc_lo
	v_lshrrev_b32_e32 v37, v34, v37
; %bb.8506:                             ;   in Loop: Header=BB6_7970 Depth=3
	s_andn2_saveexec_b32 s16, s16
; %bb.8507:                             ;   in Loop: Header=BB6_7970 Depth=3
	v_bfe_u32 v48, v37, 23, 1
; %bb.8508:                             ;   in Loop: Header=BB6_7970 Depth=3
	s_or_b32 exec_lo, exec_lo, s16
	v_and_b32_sdwa v30, v31, v60 dst_sel:DWORD dst_unused:UNUSED_PAD src0_sel:BYTE_3 src1_sel:DWORD
	v_lshrrev_b32_e32 v31, 21, v37
	v_cmp_gt_i32_e32 vcc_lo, 32, v48
	v_min_i32_e32 v34, 31, v48
	v_cndmask_b32_e32 v31, 3, v31, vcc_lo
	v_lshlrev_b32_e32 v34, 2, v34
	v_or_b32_e32 v37, v48, v31
	v_and_b32_e32 v31, 3, v31
	v_cmp_ne_u32_e32 vcc_lo, 0, v37
	v_or3_b32 v30, v34, v30, v31
	v_cndmask_b32_e32 v30, 0, v30, vcc_lo
.LBB6_8509:                             ;   in Loop: Header=BB6_7970 Depth=3
	s_or_b32 exec_lo, exec_lo, s23
.LBB6_8510:                             ;   in Loop: Header=BB6_7970 Depth=3
	s_or_b32 exec_lo, exec_lo, s22
	v_cmp_gt_i16_sdwa s22, v27, v59 src0_sel:BYTE_0 src1_sel:DWORD
	s_mov_b32 s16, 0
	s_and_saveexec_b32 s23, s22
	s_xor_b32 s22, exec_lo, s23
	s_cbranch_execz .LBB6_8716
; %bb.8511:                             ;   in Loop: Header=BB6_7970 Depth=3
	v_cmp_eq_u16_sdwa s72, v27, v60 src0_sel:BYTE_0 src1_sel:DWORD
	s_mov_b32 s16, -1
	s_and_saveexec_b32 s23, s72
; %bb.8512:                             ;   in Loop: Header=BB6_7970 Depth=3
	s_xor_b32 s16, exec_lo, -1
; %bb.8513:                             ;   in Loop: Header=BB6_7970 Depth=3
	s_or_b32 exec_lo, exec_lo, s23
	s_and_b32 s16, s16, exec_lo
	s_or_saveexec_b32 s22, s22
	v_mov_b32_e32 v31, 0x7f800001
	s_xor_b32 exec_lo, exec_lo, s22
	s_cbranch_execnz .LBB6_8717
.LBB6_8514:                             ;   in Loop: Header=BB6_7970 Depth=3
	s_or_b32 exec_lo, exec_lo, s22
	s_and_saveexec_b32 s22, s16
	s_cbranch_execz .LBB6_8516
.LBB6_8515:                             ;   in Loop: Header=BB6_7970 Depth=3
	v_and_b32_e32 v31, 3, v27
	v_lshrrev_b16 v37, 2, v27
	v_ffbh_u32_e32 v34, v31
	v_and_b32_e32 v37, 31, v37
	v_min_u32_e32 v34, 32, v34
	v_cmp_eq_u32_e32 vcc_lo, 0, v37
	v_subrev_nc_u32_e32 v48, 29, v34
	v_sub_nc_u32_e32 v34, 30, v34
	v_lshlrev_b32_e32 v48, v48, v27
	v_lshlrev_b32_e32 v27, 24, v27
	v_cndmask_b32_e32 v34, v37, v34, vcc_lo
	v_and_b32_e32 v48, 3, v48
	v_and_b32_e32 v27, 0x80000000, v27
	v_lshl_add_u32 v34, v34, 23, 0x37800000
	v_cndmask_b32_e32 v31, v31, v48, vcc_lo
	v_lshlrev_b32_e32 v31, 21, v31
	v_or3_b32 v31, v27, v34, v31
.LBB6_8516:                             ;   in Loop: Header=BB6_7970 Depth=3
	s_or_b32 exec_lo, exec_lo, s22
	s_waitcnt vmcnt(4) lgkmcnt(4)
	v_cmp_gt_i16_sdwa s22, v28, v59 src0_sel:BYTE_0 src1_sel:DWORD
	s_mov_b32 s16, 0
	s_and_saveexec_b32 s23, s22
	s_xor_b32 s22, exec_lo, s23
	s_cbranch_execz .LBB6_8718
; %bb.8517:                             ;   in Loop: Header=BB6_7970 Depth=3
	v_cmp_eq_u16_sdwa s72, v28, v60 src0_sel:BYTE_0 src1_sel:DWORD
	s_mov_b32 s16, -1
	s_and_saveexec_b32 s23, s72
; %bb.8518:                             ;   in Loop: Header=BB6_7970 Depth=3
	s_xor_b32 s16, exec_lo, -1
; %bb.8519:                             ;   in Loop: Header=BB6_7970 Depth=3
	s_or_b32 exec_lo, exec_lo, s23
	s_and_b32 s16, s16, exec_lo
	s_or_saveexec_b32 s22, s22
	v_mov_b32_e32 v27, 0x7f800001
	s_xor_b32 exec_lo, exec_lo, s22
	s_cbranch_execnz .LBB6_8719
.LBB6_8520:                             ;   in Loop: Header=BB6_7970 Depth=3
	s_or_b32 exec_lo, exec_lo, s22
	s_and_saveexec_b32 s22, s16
	s_cbranch_execz .LBB6_8522
.LBB6_8521:                             ;   in Loop: Header=BB6_7970 Depth=3
	v_and_b32_e32 v27, 3, v28
	v_lshrrev_b16 v37, 2, v28
	v_ffbh_u32_e32 v34, v27
	v_and_b32_e32 v37, 31, v37
	v_min_u32_e32 v34, 32, v34
	v_cmp_eq_u32_e32 vcc_lo, 0, v37
	v_subrev_nc_u32_e32 v48, 29, v34
	v_sub_nc_u32_e32 v34, 30, v34
	v_lshlrev_b32_e32 v48, v48, v28
	v_lshlrev_b32_e32 v28, 24, v28
	v_cndmask_b32_e32 v34, v37, v34, vcc_lo
	v_and_b32_e32 v48, 3, v48
	v_and_b32_e32 v28, 0x80000000, v28
	v_lshl_add_u32 v34, v34, 23, 0x37800000
	v_cndmask_b32_e32 v27, v27, v48, vcc_lo
	v_lshlrev_b32_e32 v27, 21, v27
	v_or3_b32 v27, v28, v34, v27
.LBB6_8522:                             ;   in Loop: Header=BB6_7970 Depth=3
	s_or_b32 exec_lo, exec_lo, s22
	v_mul_f32_e32 v28, v31, v27
	v_and_b32_e32 v27, 0x7f800000, v28
	v_cmp_ne_u32_e32 vcc_lo, 0x7f800000, v27
	v_mov_b32_e32 v27, 0x80
	s_and_saveexec_b32 s22, vcc_lo
	s_cbranch_execz .LBB6_8530
; %bb.8523:                             ;   in Loop: Header=BB6_7970 Depth=3
	v_mov_b32_e32 v27, 0
	s_mov_b32 s23, exec_lo
	v_cmpx_ne_u32_e32 0, v28
	s_cbranch_execz .LBB6_8529
; %bb.8524:                             ;   in Loop: Header=BB6_7970 Depth=3
	v_bfe_u32 v31, v28, 23, 8
	v_and_b32_e32 v27, 0x7fffff, v28
	v_cmp_gt_u32_e64 s16, 0x71, v31
	v_sub_nc_u32_e32 v34, 0x70, v31
	v_cmp_eq_u32_e32 vcc_lo, 0, v31
	v_or_b32_e32 v37, 0x800000, v27
	v_cndmask_b32_e64 v34, 0, v34, s16
	v_cndmask_b32_e32 v27, v37, v27, vcc_lo
	v_cndmask_b32_e64 v34, v34, 0x6f, vcc_lo
	v_lshl_add_u32 v37, 0x200000, v34, -1
	v_lshlrev_b32_e64 v48, v34, 0x100000
	v_and_b32_e32 v37, v37, v27
	v_cmp_eq_u32_e64 s16, v37, v48
	v_lshrrev_b32_e32 v37, v34, v27
	v_add_nc_u32_e32 v27, 0xffffff91, v31
	v_lshrrev_b32_e32 v31, 23, v37
	v_cndmask_b32_e64 v27, v27, 0xffffff92, vcc_lo
	v_xor_b32_e32 v31, 1, v31
	v_add_nc_u32_e32 v27, v34, v27
	v_bfe_u32 v34, v37, 21, 1
	v_add_nc_u32_e32 v34, -1, v34
	v_cndmask_b32_e64 v34, 0, v34, s16
	s_mov_b32 s16, exec_lo
	v_add_nc_u32_e32 v34, v34, v37
	v_and_b32_e32 v34, 0x1fffff, v34
	v_add_nc_u32_e32 v37, v34, v37
                                        ; implicit-def: $vgpr34
	v_cmpx_ne_u32_e64 v27, v31
	s_xor_b32 s16, exec_lo, s16
; %bb.8525:                             ;   in Loop: Header=BB6_7970 Depth=3
	v_cmp_lt_u32_e32 vcc_lo, 0xffffff, v37
	v_sub_nc_u32_e32 v27, v27, v31
	v_cndmask_b32_e64 v31, 0, 1, vcc_lo
	v_add_co_ci_u32_e64 v34, null, 0, v27, vcc_lo
	v_lshrrev_b32_e32 v37, v31, v37
; %bb.8526:                             ;   in Loop: Header=BB6_7970 Depth=3
	s_andn2_saveexec_b32 s16, s16
; %bb.8527:                             ;   in Loop: Header=BB6_7970 Depth=3
	v_bfe_u32 v34, v37, 23, 1
; %bb.8528:                             ;   in Loop: Header=BB6_7970 Depth=3
	s_or_b32 exec_lo, exec_lo, s16
	v_lshrrev_b32_e32 v27, 21, v37
	v_cmp_gt_i32_e32 vcc_lo, 32, v34
	v_min_i32_e32 v31, 31, v34
	v_and_b32_sdwa v28, v28, v60 dst_sel:DWORD dst_unused:UNUSED_PAD src0_sel:BYTE_3 src1_sel:DWORD
	v_cndmask_b32_e32 v27, 3, v27, vcc_lo
	v_lshlrev_b32_e32 v31, 2, v31
	v_and_b32_e32 v37, 3, v27
	v_or_b32_e32 v27, v34, v27
	v_or3_b32 v28, v31, v28, v37
	v_cmp_ne_u32_e32 vcc_lo, 0, v27
	v_cndmask_b32_e32 v27, 0, v28, vcc_lo
.LBB6_8529:                             ;   in Loop: Header=BB6_7970 Depth=3
	s_or_b32 exec_lo, exec_lo, s23
.LBB6_8530:                             ;   in Loop: Header=BB6_7970 Depth=3
	s_or_b32 exec_lo, exec_lo, s22
	v_cmp_gt_i16_sdwa s22, v24, v59 src0_sel:BYTE_0 src1_sel:DWORD
	s_mov_b32 s16, 0
	s_and_saveexec_b32 s23, s22
	s_xor_b32 s22, exec_lo, s23
	s_cbranch_execz .LBB6_8720
; %bb.8531:                             ;   in Loop: Header=BB6_7970 Depth=3
	v_cmp_eq_u16_sdwa s72, v24, v60 src0_sel:BYTE_0 src1_sel:DWORD
	s_mov_b32 s16, -1
	s_and_saveexec_b32 s23, s72
; %bb.8532:                             ;   in Loop: Header=BB6_7970 Depth=3
	s_xor_b32 s16, exec_lo, -1
; %bb.8533:                             ;   in Loop: Header=BB6_7970 Depth=3
	s_or_b32 exec_lo, exec_lo, s23
	s_and_b32 s16, s16, exec_lo
	s_or_saveexec_b32 s22, s22
	v_mov_b32_e32 v28, 0x7f800001
	s_xor_b32 exec_lo, exec_lo, s22
	s_cbranch_execnz .LBB6_8721
.LBB6_8534:                             ;   in Loop: Header=BB6_7970 Depth=3
	s_or_b32 exec_lo, exec_lo, s22
	s_and_saveexec_b32 s22, s16
	s_cbranch_execz .LBB6_8536
.LBB6_8535:                             ;   in Loop: Header=BB6_7970 Depth=3
	v_and_b32_e32 v28, 3, v24
	v_lshrrev_b16 v34, 2, v24
	v_ffbh_u32_e32 v31, v28
	v_and_b32_e32 v34, 31, v34
	v_min_u32_e32 v31, 32, v31
	v_cmp_eq_u32_e32 vcc_lo, 0, v34
	v_subrev_nc_u32_e32 v37, 29, v31
	v_sub_nc_u32_e32 v31, 30, v31
	v_lshlrev_b32_e32 v37, v37, v24
	v_lshlrev_b32_e32 v24, 24, v24
	v_cndmask_b32_e32 v31, v34, v31, vcc_lo
	v_and_b32_e32 v37, 3, v37
	v_and_b32_e32 v24, 0x80000000, v24
	v_lshl_add_u32 v31, v31, 23, 0x37800000
	v_cndmask_b32_e32 v28, v28, v37, vcc_lo
	v_lshlrev_b32_e32 v28, 21, v28
	v_or3_b32 v28, v24, v31, v28
.LBB6_8536:                             ;   in Loop: Header=BB6_7970 Depth=3
	s_or_b32 exec_lo, exec_lo, s22
	s_waitcnt vmcnt(3) lgkmcnt(3)
	v_cmp_gt_i16_sdwa s22, v25, v59 src0_sel:BYTE_0 src1_sel:DWORD
	s_mov_b32 s16, 0
	s_and_saveexec_b32 s23, s22
	s_xor_b32 s22, exec_lo, s23
	s_cbranch_execz .LBB6_8722
; %bb.8537:                             ;   in Loop: Header=BB6_7970 Depth=3
	v_cmp_eq_u16_sdwa s72, v25, v60 src0_sel:BYTE_0 src1_sel:DWORD
	s_mov_b32 s16, -1
	s_and_saveexec_b32 s23, s72
; %bb.8538:                             ;   in Loop: Header=BB6_7970 Depth=3
	s_xor_b32 s16, exec_lo, -1
; %bb.8539:                             ;   in Loop: Header=BB6_7970 Depth=3
	s_or_b32 exec_lo, exec_lo, s23
	s_and_b32 s16, s16, exec_lo
	s_or_saveexec_b32 s22, s22
	v_mov_b32_e32 v24, 0x7f800001
	s_xor_b32 exec_lo, exec_lo, s22
	s_cbranch_execnz .LBB6_8723
.LBB6_8540:                             ;   in Loop: Header=BB6_7970 Depth=3
	s_or_b32 exec_lo, exec_lo, s22
	s_and_saveexec_b32 s22, s16
	s_cbranch_execz .LBB6_8542
.LBB6_8541:                             ;   in Loop: Header=BB6_7970 Depth=3
	v_and_b32_e32 v24, 3, v25
	v_lshrrev_b16 v34, 2, v25
	v_ffbh_u32_e32 v31, v24
	v_and_b32_e32 v34, 31, v34
	v_min_u32_e32 v31, 32, v31
	v_cmp_eq_u32_e32 vcc_lo, 0, v34
	v_subrev_nc_u32_e32 v37, 29, v31
	v_sub_nc_u32_e32 v31, 30, v31
	v_lshlrev_b32_e32 v37, v37, v25
	v_lshlrev_b32_e32 v25, 24, v25
	v_cndmask_b32_e32 v31, v34, v31, vcc_lo
	v_and_b32_e32 v37, 3, v37
	v_and_b32_e32 v25, 0x80000000, v25
	v_lshl_add_u32 v31, v31, 23, 0x37800000
	v_cndmask_b32_e32 v24, v24, v37, vcc_lo
	v_lshlrev_b32_e32 v24, 21, v24
	v_or3_b32 v24, v25, v31, v24
.LBB6_8542:                             ;   in Loop: Header=BB6_7970 Depth=3
	s_or_b32 exec_lo, exec_lo, s22
	v_mul_f32_e32 v25, v28, v24
	v_and_b32_e32 v24, 0x7f800000, v25
	v_cmp_ne_u32_e32 vcc_lo, 0x7f800000, v24
	v_mov_b32_e32 v24, 0x80
	s_and_saveexec_b32 s22, vcc_lo
	s_cbranch_execz .LBB6_8550
; %bb.8543:                             ;   in Loop: Header=BB6_7970 Depth=3
	v_mov_b32_e32 v24, 0
	s_mov_b32 s23, exec_lo
	v_cmpx_ne_u32_e32 0, v25
	s_cbranch_execz .LBB6_8549
; %bb.8544:                             ;   in Loop: Header=BB6_7970 Depth=3
	v_bfe_u32 v28, v25, 23, 8
	v_and_b32_e32 v24, 0x7fffff, v25
	v_cmp_gt_u32_e64 s16, 0x71, v28
	v_sub_nc_u32_e32 v31, 0x70, v28
	v_cmp_eq_u32_e32 vcc_lo, 0, v28
	v_or_b32_e32 v34, 0x800000, v24
	v_cndmask_b32_e64 v31, 0, v31, s16
	v_cndmask_b32_e32 v24, v34, v24, vcc_lo
	v_cndmask_b32_e64 v31, v31, 0x6f, vcc_lo
	v_lshl_add_u32 v34, 0x200000, v31, -1
	v_lshlrev_b32_e64 v37, v31, 0x100000
	v_and_b32_e32 v34, v34, v24
	v_cmp_eq_u32_e64 s16, v34, v37
	v_lshrrev_b32_e32 v34, v31, v24
	v_add_nc_u32_e32 v24, 0xffffff91, v28
	v_lshrrev_b32_e32 v28, 23, v34
	v_cndmask_b32_e64 v24, v24, 0xffffff92, vcc_lo
	v_xor_b32_e32 v28, 1, v28
	v_add_nc_u32_e32 v24, v31, v24
	v_bfe_u32 v31, v34, 21, 1
	v_add_nc_u32_e32 v31, -1, v31
	v_cndmask_b32_e64 v31, 0, v31, s16
	s_mov_b32 s16, exec_lo
	v_add_nc_u32_e32 v31, v31, v34
	v_and_b32_e32 v31, 0x1fffff, v31
	v_add_nc_u32_e32 v34, v31, v34
                                        ; implicit-def: $vgpr31
	v_cmpx_ne_u32_e64 v24, v28
	s_xor_b32 s16, exec_lo, s16
; %bb.8545:                             ;   in Loop: Header=BB6_7970 Depth=3
	v_cmp_lt_u32_e32 vcc_lo, 0xffffff, v34
	v_sub_nc_u32_e32 v24, v24, v28
	v_cndmask_b32_e64 v28, 0, 1, vcc_lo
	v_add_co_ci_u32_e64 v31, null, 0, v24, vcc_lo
	v_lshrrev_b32_e32 v34, v28, v34
; %bb.8546:                             ;   in Loop: Header=BB6_7970 Depth=3
	s_andn2_saveexec_b32 s16, s16
; %bb.8547:                             ;   in Loop: Header=BB6_7970 Depth=3
	v_bfe_u32 v31, v34, 23, 1
; %bb.8548:                             ;   in Loop: Header=BB6_7970 Depth=3
	s_or_b32 exec_lo, exec_lo, s16
	v_lshrrev_b32_e32 v24, 21, v34
	v_cmp_gt_i32_e32 vcc_lo, 32, v31
	v_min_i32_e32 v28, 31, v31
	v_and_b32_sdwa v25, v25, v60 dst_sel:DWORD dst_unused:UNUSED_PAD src0_sel:BYTE_3 src1_sel:DWORD
	v_cndmask_b32_e32 v24, 3, v24, vcc_lo
	v_lshlrev_b32_e32 v28, 2, v28
	v_and_b32_e32 v34, 3, v24
	v_or_b32_e32 v24, v31, v24
	v_or3_b32 v25, v28, v25, v34
	v_cmp_ne_u32_e32 vcc_lo, 0, v24
	v_cndmask_b32_e32 v24, 0, v25, vcc_lo
.LBB6_8549:                             ;   in Loop: Header=BB6_7970 Depth=3
	s_or_b32 exec_lo, exec_lo, s23
.LBB6_8550:                             ;   in Loop: Header=BB6_7970 Depth=3
	s_or_b32 exec_lo, exec_lo, s22
	v_cmp_gt_i16_sdwa s22, v22, v59 src0_sel:BYTE_0 src1_sel:DWORD
	s_mov_b32 s16, 0
	s_and_saveexec_b32 s23, s22
	s_xor_b32 s22, exec_lo, s23
	s_cbranch_execz .LBB6_8724
; %bb.8551:                             ;   in Loop: Header=BB6_7970 Depth=3
	v_cmp_eq_u16_sdwa s72, v22, v60 src0_sel:BYTE_0 src1_sel:DWORD
	s_mov_b32 s16, -1
	s_and_saveexec_b32 s23, s72
; %bb.8552:                             ;   in Loop: Header=BB6_7970 Depth=3
	s_xor_b32 s16, exec_lo, -1
; %bb.8553:                             ;   in Loop: Header=BB6_7970 Depth=3
	s_or_b32 exec_lo, exec_lo, s23
	s_and_b32 s16, s16, exec_lo
	s_or_saveexec_b32 s22, s22
	v_mov_b32_e32 v25, 0x7f800001
	s_xor_b32 exec_lo, exec_lo, s22
	s_cbranch_execnz .LBB6_8725
.LBB6_8554:                             ;   in Loop: Header=BB6_7970 Depth=3
	s_or_b32 exec_lo, exec_lo, s22
	s_and_saveexec_b32 s22, s16
	s_cbranch_execz .LBB6_8556
.LBB6_8555:                             ;   in Loop: Header=BB6_7970 Depth=3
	v_and_b32_e32 v25, 3, v22
	v_lshrrev_b16 v31, 2, v22
	v_ffbh_u32_e32 v28, v25
	v_and_b32_e32 v31, 31, v31
	v_min_u32_e32 v28, 32, v28
	v_cmp_eq_u32_e32 vcc_lo, 0, v31
	v_subrev_nc_u32_e32 v34, 29, v28
	v_sub_nc_u32_e32 v28, 30, v28
	v_lshlrev_b32_e32 v34, v34, v22
	v_lshlrev_b32_e32 v22, 24, v22
	v_cndmask_b32_e32 v28, v31, v28, vcc_lo
	v_and_b32_e32 v34, 3, v34
	v_and_b32_e32 v22, 0x80000000, v22
	v_lshl_add_u32 v28, v28, 23, 0x37800000
	v_cndmask_b32_e32 v25, v25, v34, vcc_lo
	v_lshlrev_b32_e32 v25, 21, v25
	v_or3_b32 v25, v22, v28, v25
.LBB6_8556:                             ;   in Loop: Header=BB6_7970 Depth=3
	s_or_b32 exec_lo, exec_lo, s22
	s_waitcnt vmcnt(2) lgkmcnt(2)
	v_cmp_gt_i16_sdwa s22, v23, v59 src0_sel:BYTE_0 src1_sel:DWORD
	s_mov_b32 s16, 0
	s_and_saveexec_b32 s23, s22
	s_xor_b32 s22, exec_lo, s23
	s_cbranch_execz .LBB6_8726
; %bb.8557:                             ;   in Loop: Header=BB6_7970 Depth=3
	v_cmp_eq_u16_sdwa s72, v23, v60 src0_sel:BYTE_0 src1_sel:DWORD
	s_mov_b32 s16, -1
	s_and_saveexec_b32 s23, s72
; %bb.8558:                             ;   in Loop: Header=BB6_7970 Depth=3
	s_xor_b32 s16, exec_lo, -1
; %bb.8559:                             ;   in Loop: Header=BB6_7970 Depth=3
	s_or_b32 exec_lo, exec_lo, s23
	s_and_b32 s16, s16, exec_lo
	s_or_saveexec_b32 s22, s22
	v_mov_b32_e32 v22, 0x7f800001
	s_xor_b32 exec_lo, exec_lo, s22
	s_cbranch_execnz .LBB6_8727
.LBB6_8560:                             ;   in Loop: Header=BB6_7970 Depth=3
	s_or_b32 exec_lo, exec_lo, s22
	s_and_saveexec_b32 s22, s16
	s_cbranch_execz .LBB6_8562
.LBB6_8561:                             ;   in Loop: Header=BB6_7970 Depth=3
	v_and_b32_e32 v22, 3, v23
	v_lshrrev_b16 v31, 2, v23
	v_ffbh_u32_e32 v28, v22
	v_and_b32_e32 v31, 31, v31
	v_min_u32_e32 v28, 32, v28
	v_cmp_eq_u32_e32 vcc_lo, 0, v31
	v_subrev_nc_u32_e32 v34, 29, v28
	v_sub_nc_u32_e32 v28, 30, v28
	v_lshlrev_b32_e32 v34, v34, v23
	v_lshlrev_b32_e32 v23, 24, v23
	v_cndmask_b32_e32 v28, v31, v28, vcc_lo
	v_and_b32_e32 v34, 3, v34
	v_and_b32_e32 v23, 0x80000000, v23
	v_lshl_add_u32 v28, v28, 23, 0x37800000
	v_cndmask_b32_e32 v22, v22, v34, vcc_lo
	v_lshlrev_b32_e32 v22, 21, v22
	v_or3_b32 v22, v23, v28, v22
.LBB6_8562:                             ;   in Loop: Header=BB6_7970 Depth=3
	s_or_b32 exec_lo, exec_lo, s22
	v_mul_f32_e32 v23, v25, v22
	v_and_b32_e32 v22, 0x7f800000, v23
	v_cmp_ne_u32_e32 vcc_lo, 0x7f800000, v22
	v_mov_b32_e32 v22, 0x80
	s_and_saveexec_b32 s22, vcc_lo
	s_cbranch_execz .LBB6_8570
; %bb.8563:                             ;   in Loop: Header=BB6_7970 Depth=3
	v_mov_b32_e32 v22, 0
	s_mov_b32 s23, exec_lo
	v_cmpx_ne_u32_e32 0, v23
	s_cbranch_execz .LBB6_8569
; %bb.8564:                             ;   in Loop: Header=BB6_7970 Depth=3
	v_bfe_u32 v25, v23, 23, 8
	v_and_b32_e32 v22, 0x7fffff, v23
	v_cmp_gt_u32_e64 s16, 0x71, v25
	v_sub_nc_u32_e32 v28, 0x70, v25
	v_cmp_eq_u32_e32 vcc_lo, 0, v25
	v_or_b32_e32 v31, 0x800000, v22
	v_cndmask_b32_e64 v28, 0, v28, s16
	v_cndmask_b32_e32 v22, v31, v22, vcc_lo
	v_cndmask_b32_e64 v28, v28, 0x6f, vcc_lo
	v_lshl_add_u32 v31, 0x200000, v28, -1
	v_lshlrev_b32_e64 v34, v28, 0x100000
	v_and_b32_e32 v31, v31, v22
	v_cmp_eq_u32_e64 s16, v31, v34
	v_lshrrev_b32_e32 v31, v28, v22
	v_add_nc_u32_e32 v22, 0xffffff91, v25
	v_lshrrev_b32_e32 v25, 23, v31
	v_cndmask_b32_e64 v22, v22, 0xffffff92, vcc_lo
	v_xor_b32_e32 v25, 1, v25
	v_add_nc_u32_e32 v22, v28, v22
	v_bfe_u32 v28, v31, 21, 1
	v_add_nc_u32_e32 v28, -1, v28
	v_cndmask_b32_e64 v28, 0, v28, s16
	s_mov_b32 s16, exec_lo
	v_add_nc_u32_e32 v28, v28, v31
	v_and_b32_e32 v28, 0x1fffff, v28
	v_add_nc_u32_e32 v31, v28, v31
                                        ; implicit-def: $vgpr28
	v_cmpx_ne_u32_e64 v22, v25
	s_xor_b32 s16, exec_lo, s16
; %bb.8565:                             ;   in Loop: Header=BB6_7970 Depth=3
	v_cmp_lt_u32_e32 vcc_lo, 0xffffff, v31
	v_sub_nc_u32_e32 v22, v22, v25
	v_cndmask_b32_e64 v25, 0, 1, vcc_lo
	v_add_co_ci_u32_e64 v28, null, 0, v22, vcc_lo
	v_lshrrev_b32_e32 v31, v25, v31
; %bb.8566:                             ;   in Loop: Header=BB6_7970 Depth=3
	s_andn2_saveexec_b32 s16, s16
; %bb.8567:                             ;   in Loop: Header=BB6_7970 Depth=3
	v_bfe_u32 v28, v31, 23, 1
; %bb.8568:                             ;   in Loop: Header=BB6_7970 Depth=3
	s_or_b32 exec_lo, exec_lo, s16
	v_lshrrev_b32_e32 v22, 21, v31
	v_cmp_gt_i32_e32 vcc_lo, 32, v28
	v_min_i32_e32 v25, 31, v28
	v_and_b32_sdwa v23, v23, v60 dst_sel:DWORD dst_unused:UNUSED_PAD src0_sel:BYTE_3 src1_sel:DWORD
	v_cndmask_b32_e32 v22, 3, v22, vcc_lo
	v_lshlrev_b32_e32 v25, 2, v25
	v_and_b32_e32 v31, 3, v22
	v_or_b32_e32 v22, v28, v22
	v_or3_b32 v23, v25, v23, v31
	v_cmp_ne_u32_e32 vcc_lo, 0, v22
	v_cndmask_b32_e32 v22, 0, v23, vcc_lo
.LBB6_8569:                             ;   in Loop: Header=BB6_7970 Depth=3
	s_or_b32 exec_lo, exec_lo, s23
.LBB6_8570:                             ;   in Loop: Header=BB6_7970 Depth=3
	s_or_b32 exec_lo, exec_lo, s22
	v_cmp_gt_i16_sdwa s22, v19, v59 src0_sel:BYTE_0 src1_sel:DWORD
	s_mov_b32 s16, 0
	s_and_saveexec_b32 s23, s22
	s_xor_b32 s22, exec_lo, s23
	s_cbranch_execz .LBB6_8728
; %bb.8571:                             ;   in Loop: Header=BB6_7970 Depth=3
	v_cmp_eq_u16_sdwa s72, v19, v60 src0_sel:BYTE_0 src1_sel:DWORD
	s_mov_b32 s16, -1
	s_and_saveexec_b32 s23, s72
; %bb.8572:                             ;   in Loop: Header=BB6_7970 Depth=3
	s_xor_b32 s16, exec_lo, -1
; %bb.8573:                             ;   in Loop: Header=BB6_7970 Depth=3
	s_or_b32 exec_lo, exec_lo, s23
	s_and_b32 s16, s16, exec_lo
	s_or_saveexec_b32 s22, s22
	v_mov_b32_e32 v23, 0x7f800001
	s_xor_b32 exec_lo, exec_lo, s22
	s_cbranch_execnz .LBB6_8729
.LBB6_8574:                             ;   in Loop: Header=BB6_7970 Depth=3
	s_or_b32 exec_lo, exec_lo, s22
	s_and_saveexec_b32 s22, s16
	s_cbranch_execz .LBB6_8576
.LBB6_8575:                             ;   in Loop: Header=BB6_7970 Depth=3
	v_and_b32_e32 v23, 3, v19
	v_lshrrev_b16 v28, 2, v19
	v_ffbh_u32_e32 v25, v23
	v_and_b32_e32 v28, 31, v28
	v_min_u32_e32 v25, 32, v25
	v_cmp_eq_u32_e32 vcc_lo, 0, v28
	v_subrev_nc_u32_e32 v31, 29, v25
	v_sub_nc_u32_e32 v25, 30, v25
	v_lshlrev_b32_e32 v31, v31, v19
	v_lshlrev_b32_e32 v19, 24, v19
	v_cndmask_b32_e32 v25, v28, v25, vcc_lo
	v_and_b32_e32 v31, 3, v31
	v_and_b32_e32 v19, 0x80000000, v19
	v_lshl_add_u32 v25, v25, 23, 0x37800000
	v_cndmask_b32_e32 v23, v23, v31, vcc_lo
	v_lshlrev_b32_e32 v23, 21, v23
	v_or3_b32 v23, v19, v25, v23
.LBB6_8576:                             ;   in Loop: Header=BB6_7970 Depth=3
	s_or_b32 exec_lo, exec_lo, s22
	s_waitcnt vmcnt(1) lgkmcnt(1)
	v_cmp_gt_i16_sdwa s22, v20, v59 src0_sel:BYTE_0 src1_sel:DWORD
	s_mov_b32 s16, 0
	s_and_saveexec_b32 s23, s22
	s_xor_b32 s22, exec_lo, s23
	s_cbranch_execz .LBB6_8730
; %bb.8577:                             ;   in Loop: Header=BB6_7970 Depth=3
	v_cmp_eq_u16_sdwa s72, v20, v60 src0_sel:BYTE_0 src1_sel:DWORD
	s_mov_b32 s16, -1
	s_and_saveexec_b32 s23, s72
; %bb.8578:                             ;   in Loop: Header=BB6_7970 Depth=3
	s_xor_b32 s16, exec_lo, -1
; %bb.8579:                             ;   in Loop: Header=BB6_7970 Depth=3
	s_or_b32 exec_lo, exec_lo, s23
	s_and_b32 s16, s16, exec_lo
	s_or_saveexec_b32 s22, s22
	v_mov_b32_e32 v19, 0x7f800001
	s_xor_b32 exec_lo, exec_lo, s22
	s_cbranch_execnz .LBB6_8731
.LBB6_8580:                             ;   in Loop: Header=BB6_7970 Depth=3
	s_or_b32 exec_lo, exec_lo, s22
	s_and_saveexec_b32 s22, s16
	s_cbranch_execz .LBB6_8582
.LBB6_8581:                             ;   in Loop: Header=BB6_7970 Depth=3
	v_and_b32_e32 v19, 3, v20
	v_lshrrev_b16 v28, 2, v20
	v_ffbh_u32_e32 v25, v19
	v_and_b32_e32 v28, 31, v28
	v_min_u32_e32 v25, 32, v25
	v_cmp_eq_u32_e32 vcc_lo, 0, v28
	v_subrev_nc_u32_e32 v31, 29, v25
	v_sub_nc_u32_e32 v25, 30, v25
	v_lshlrev_b32_e32 v31, v31, v20
	v_lshlrev_b32_e32 v20, 24, v20
	v_cndmask_b32_e32 v25, v28, v25, vcc_lo
	v_and_b32_e32 v31, 3, v31
	v_and_b32_e32 v20, 0x80000000, v20
	v_lshl_add_u32 v25, v25, 23, 0x37800000
	v_cndmask_b32_e32 v19, v19, v31, vcc_lo
	v_lshlrev_b32_e32 v19, 21, v19
	v_or3_b32 v19, v20, v25, v19
.LBB6_8582:                             ;   in Loop: Header=BB6_7970 Depth=3
	s_or_b32 exec_lo, exec_lo, s22
	v_mul_f32_e32 v20, v23, v19
	v_and_b32_e32 v19, 0x7f800000, v20
	v_cmp_ne_u32_e32 vcc_lo, 0x7f800000, v19
	v_mov_b32_e32 v19, 0x80
	s_and_saveexec_b32 s22, vcc_lo
	s_cbranch_execz .LBB6_8590
; %bb.8583:                             ;   in Loop: Header=BB6_7970 Depth=3
	v_mov_b32_e32 v19, 0
	s_mov_b32 s23, exec_lo
	v_cmpx_ne_u32_e32 0, v20
	s_cbranch_execz .LBB6_8589
; %bb.8584:                             ;   in Loop: Header=BB6_7970 Depth=3
	v_bfe_u32 v19, v20, 23, 8
	v_and_b32_e32 v23, 0x7fffff, v20
	v_sub_nc_u32_e32 v25, 0x70, v19
	v_cmp_gt_u32_e32 vcc_lo, 0x71, v19
	v_or_b32_e32 v28, 0x800000, v23
	v_cndmask_b32_e32 v25, 0, v25, vcc_lo
	v_cmp_eq_u32_e32 vcc_lo, 0, v19
	v_add_nc_u32_e32 v19, 0xffffff91, v19
	v_cndmask_b32_e64 v25, v25, 0x6f, vcc_lo
	v_cndmask_b32_e32 v23, v28, v23, vcc_lo
	v_cndmask_b32_e64 v19, v19, 0xffffff92, vcc_lo
	v_lshl_add_u32 v28, 0x200000, v25, -1
	v_lshrrev_b32_e32 v31, v25, v23
	v_lshlrev_b32_e64 v37, v25, 0x100000
	v_add_nc_u32_e32 v25, v25, v19
	v_and_b32_e32 v23, v28, v23
	v_bfe_u32 v34, v31, 21, 1
	v_cmp_eq_u32_e64 s16, v23, v37
	v_add_nc_u32_e32 v28, -1, v34
	v_cndmask_b32_e64 v23, 0, v28, s16
	v_lshrrev_b32_e32 v28, 23, v31
	s_mov_b32 s16, exec_lo
	v_add_nc_u32_e32 v23, v23, v31
	v_xor_b32_e32 v28, 1, v28
	v_and_b32_e32 v19, 0x1fffff, v23
	v_add_nc_u32_e32 v23, v19, v31
                                        ; implicit-def: $vgpr19
	v_cmpx_ne_u32_e64 v25, v28
	s_xor_b32 s16, exec_lo, s16
; %bb.8585:                             ;   in Loop: Header=BB6_7970 Depth=3
	v_cmp_lt_u32_e32 vcc_lo, 0xffffff, v23
	v_sub_nc_u32_e32 v19, v25, v28
	v_cndmask_b32_e64 v25, 0, 1, vcc_lo
	v_add_co_ci_u32_e64 v19, null, 0, v19, vcc_lo
	v_lshrrev_b32_e32 v23, v25, v23
; %bb.8586:                             ;   in Loop: Header=BB6_7970 Depth=3
	s_andn2_saveexec_b32 s16, s16
; %bb.8587:                             ;   in Loop: Header=BB6_7970 Depth=3
	v_bfe_u32 v19, v23, 23, 1
; %bb.8588:                             ;   in Loop: Header=BB6_7970 Depth=3
	s_or_b32 exec_lo, exec_lo, s16
	v_lshrrev_b32_e32 v23, 21, v23
	v_cmp_gt_i32_e32 vcc_lo, 32, v19
	v_min_i32_e32 v25, 31, v19
	v_and_b32_sdwa v20, v20, v60 dst_sel:DWORD dst_unused:UNUSED_PAD src0_sel:BYTE_3 src1_sel:DWORD
	v_cndmask_b32_e32 v23, 3, v23, vcc_lo
	v_lshlrev_b32_e32 v25, 2, v25
	v_and_b32_e32 v28, 3, v23
	v_or_b32_e32 v19, v19, v23
	v_or3_b32 v20, v25, v20, v28
	v_cmp_ne_u32_e32 vcc_lo, 0, v19
	v_cndmask_b32_e32 v19, 0, v20, vcc_lo
.LBB6_8589:                             ;   in Loop: Header=BB6_7970 Depth=3
	s_or_b32 exec_lo, exec_lo, s23
.LBB6_8590:                             ;   in Loop: Header=BB6_7970 Depth=3
	s_or_b32 exec_lo, exec_lo, s22
	v_cmp_gt_i16_sdwa s22, v17, v59 src0_sel:BYTE_0 src1_sel:DWORD
	s_mov_b32 s16, 0
	s_and_saveexec_b32 s23, s22
	s_xor_b32 s22, exec_lo, s23
	s_cbranch_execz .LBB6_8732
; %bb.8591:                             ;   in Loop: Header=BB6_7970 Depth=3
	v_cmp_eq_u16_sdwa s72, v17, v60 src0_sel:BYTE_0 src1_sel:DWORD
	s_mov_b32 s16, -1
	s_and_saveexec_b32 s23, s72
; %bb.8592:                             ;   in Loop: Header=BB6_7970 Depth=3
	s_xor_b32 s16, exec_lo, -1
; %bb.8593:                             ;   in Loop: Header=BB6_7970 Depth=3
	s_or_b32 exec_lo, exec_lo, s23
	s_and_b32 s16, s16, exec_lo
	s_or_saveexec_b32 s22, s22
	v_mov_b32_e32 v20, 0x7f800001
	s_xor_b32 exec_lo, exec_lo, s22
	s_cbranch_execnz .LBB6_8733
.LBB6_8594:                             ;   in Loop: Header=BB6_7970 Depth=3
	s_or_b32 exec_lo, exec_lo, s22
	s_and_saveexec_b32 s22, s16
	s_cbranch_execz .LBB6_8596
.LBB6_8595:                             ;   in Loop: Header=BB6_7970 Depth=3
	v_and_b32_e32 v20, 3, v17
	v_lshrrev_b16 v25, 2, v17
	v_ffbh_u32_e32 v23, v20
	v_and_b32_e32 v25, 31, v25
	v_min_u32_e32 v23, 32, v23
	v_cmp_eq_u32_e32 vcc_lo, 0, v25
	v_subrev_nc_u32_e32 v28, 29, v23
	v_sub_nc_u32_e32 v23, 30, v23
	v_lshlrev_b32_e32 v28, v28, v17
	v_lshlrev_b32_e32 v17, 24, v17
	v_cndmask_b32_e32 v23, v25, v23, vcc_lo
	v_and_b32_e32 v28, 3, v28
	v_and_b32_e32 v17, 0x80000000, v17
	v_lshl_add_u32 v23, v23, 23, 0x37800000
	v_cndmask_b32_e32 v20, v20, v28, vcc_lo
	v_lshlrev_b32_e32 v20, 21, v20
	v_or3_b32 v20, v17, v23, v20
.LBB6_8596:                             ;   in Loop: Header=BB6_7970 Depth=3
	s_or_b32 exec_lo, exec_lo, s22
	s_waitcnt vmcnt(0) lgkmcnt(0)
	v_cmp_gt_i16_sdwa s22, v18, v59 src0_sel:BYTE_0 src1_sel:DWORD
	s_mov_b32 s16, 0
	s_and_saveexec_b32 s23, s22
	s_xor_b32 s22, exec_lo, s23
	s_cbranch_execz .LBB6_8734
; %bb.8597:                             ;   in Loop: Header=BB6_7970 Depth=3
	v_cmp_eq_u16_sdwa s72, v18, v60 src0_sel:BYTE_0 src1_sel:DWORD
	s_mov_b32 s16, -1
	s_and_saveexec_b32 s23, s72
; %bb.8598:                             ;   in Loop: Header=BB6_7970 Depth=3
	s_xor_b32 s16, exec_lo, -1
; %bb.8599:                             ;   in Loop: Header=BB6_7970 Depth=3
	s_or_b32 exec_lo, exec_lo, s23
	s_and_b32 s16, s16, exec_lo
	s_or_saveexec_b32 s22, s22
	v_mov_b32_e32 v17, 0x7f800001
	s_xor_b32 exec_lo, exec_lo, s22
	s_cbranch_execnz .LBB6_8735
.LBB6_8600:                             ;   in Loop: Header=BB6_7970 Depth=3
	s_or_b32 exec_lo, exec_lo, s22
	s_and_saveexec_b32 s22, s16
	s_cbranch_execz .LBB6_8602
.LBB6_8601:                             ;   in Loop: Header=BB6_7970 Depth=3
	v_and_b32_e32 v17, 3, v18
	v_lshrrev_b16 v25, 2, v18
	v_ffbh_u32_e32 v23, v17
	v_and_b32_e32 v25, 31, v25
	v_min_u32_e32 v23, 32, v23
	v_cmp_eq_u32_e32 vcc_lo, 0, v25
	v_subrev_nc_u32_e32 v28, 29, v23
	v_sub_nc_u32_e32 v23, 30, v23
	v_lshlrev_b32_e32 v28, v28, v18
	v_lshlrev_b32_e32 v18, 24, v18
	v_cndmask_b32_e32 v23, v25, v23, vcc_lo
	v_and_b32_e32 v28, 3, v28
	v_and_b32_e32 v18, 0x80000000, v18
	v_lshl_add_u32 v23, v23, 23, 0x37800000
	v_cndmask_b32_e32 v17, v17, v28, vcc_lo
	v_lshlrev_b32_e32 v17, 21, v17
	v_or3_b32 v17, v18, v23, v17
.LBB6_8602:                             ;   in Loop: Header=BB6_7970 Depth=3
	s_or_b32 exec_lo, exec_lo, s22
	v_mul_f32_e32 v18, v20, v17
	v_and_b32_e32 v17, 0x7f800000, v18
	v_cmp_ne_u32_e32 vcc_lo, 0x7f800000, v17
	v_mov_b32_e32 v17, 0x80
	s_and_saveexec_b32 s22, vcc_lo
	s_cbranch_execz .LBB6_7969
; %bb.8603:                             ;   in Loop: Header=BB6_7970 Depth=3
	v_mov_b32_e32 v17, 0
	s_mov_b32 s23, exec_lo
	v_cmpx_ne_u32_e32 0, v18
	s_cbranch_execz .LBB6_7968
; %bb.8604:                             ;   in Loop: Header=BB6_7970 Depth=3
	v_bfe_u32 v17, v18, 23, 8
	v_and_b32_e32 v20, 0x7fffff, v18
	v_sub_nc_u32_e32 v23, 0x70, v17
	v_cmp_gt_u32_e32 vcc_lo, 0x71, v17
	v_or_b32_e32 v25, 0x800000, v20
	v_cndmask_b32_e32 v23, 0, v23, vcc_lo
	v_cmp_eq_u32_e32 vcc_lo, 0, v17
	v_add_nc_u32_e32 v17, 0xffffff91, v17
	v_cndmask_b32_e64 v23, v23, 0x6f, vcc_lo
	v_cndmask_b32_e32 v20, v25, v20, vcc_lo
	v_cndmask_b32_e64 v17, v17, 0xffffff92, vcc_lo
	v_lshl_add_u32 v25, 0x200000, v23, -1
	v_lshrrev_b32_e32 v28, v23, v20
	v_lshlrev_b32_e64 v34, v23, 0x100000
	v_add_nc_u32_e32 v23, v23, v17
	v_and_b32_e32 v20, v25, v20
	v_bfe_u32 v31, v28, 21, 1
	v_cmp_eq_u32_e64 s16, v20, v34
	v_add_nc_u32_e32 v25, -1, v31
	v_cndmask_b32_e64 v20, 0, v25, s16
	v_lshrrev_b32_e32 v25, 23, v28
	s_mov_b32 s16, exec_lo
	v_add_nc_u32_e32 v20, v20, v28
	v_xor_b32_e32 v25, 1, v25
	v_and_b32_e32 v17, 0x1fffff, v20
	v_add_nc_u32_e32 v20, v17, v28
                                        ; implicit-def: $vgpr17
	v_cmpx_ne_u32_e64 v23, v25
	s_xor_b32 s16, exec_lo, s16
; %bb.8605:                             ;   in Loop: Header=BB6_7970 Depth=3
	v_cmp_lt_u32_e32 vcc_lo, 0xffffff, v20
	v_sub_nc_u32_e32 v17, v23, v25
	v_cndmask_b32_e64 v23, 0, 1, vcc_lo
	v_add_co_ci_u32_e64 v17, null, 0, v17, vcc_lo
	v_lshrrev_b32_e32 v20, v23, v20
; %bb.8606:                             ;   in Loop: Header=BB6_7970 Depth=3
	s_andn2_saveexec_b32 s16, s16
	s_cbranch_execz .LBB6_7967
; %bb.8607:                             ;   in Loop: Header=BB6_7970 Depth=3
	v_bfe_u32 v17, v20, 23, 1
	s_branch .LBB6_7967
.LBB6_8608:                             ;   in Loop: Header=BB6_7970 Depth=3
	s_or_saveexec_b32 s22, s22
	v_mov_b32_e32 v86, 0x7f800001
	s_xor_b32 exec_lo, exec_lo, s22
	s_cbranch_execz .LBB6_7974
.LBB6_8609:                             ;   in Loop: Header=BB6_7970 Depth=3
	v_cmp_ne_u16_e32 vcc_lo, 0, v109
	v_mov_b32_e32 v86, 0
	s_andn2_b32 s16, s16, exec_lo
	s_and_b32 s23, vcc_lo, exec_lo
	s_or_b32 s16, s16, s23
	s_or_b32 exec_lo, exec_lo, s22
	s_and_saveexec_b32 s22, s16
	s_cbranch_execnz .LBB6_7975
	s_branch .LBB6_7976
.LBB6_8610:                             ;   in Loop: Header=BB6_7970 Depth=3
	s_or_saveexec_b32 s16, s16
	v_mov_b32_e32 v87, 0x7f800001
	s_xor_b32 exec_lo, exec_lo, s16
	s_cbranch_execz .LBB6_7980
.LBB6_8611:                             ;   in Loop: Header=BB6_7970 Depth=3
	v_cmp_ne_u16_sdwa s23, v1, v2 src0_sel:BYTE_0 src1_sel:DWORD
	v_mov_b32_e32 v87, 0
	s_andn2_b32 s22, s22, exec_lo
	s_and_b32 s23, s23, exec_lo
	s_or_b32 s22, s22, s23
	s_or_b32 exec_lo, exec_lo, s16
	s_and_saveexec_b32 s16, s22
	s_cbranch_execnz .LBB6_7981
	s_branch .LBB6_7982
.LBB6_8612:                             ;   in Loop: Header=BB6_7970 Depth=3
	s_or_saveexec_b32 s22, s22
	v_mov_b32_e32 v86, 0x7f800001
	s_xor_b32 exec_lo, exec_lo, s22
	s_cbranch_execz .LBB6_7994
.LBB6_8613:                             ;   in Loop: Header=BB6_7970 Depth=3
	v_cmp_ne_u16_sdwa s23, v108, v2 src0_sel:BYTE_0 src1_sel:DWORD
	v_mov_b32_e32 v86, 0
	s_andn2_b32 s16, s16, exec_lo
	s_and_b32 s23, s23, exec_lo
	s_or_b32 s16, s16, s23
	s_or_b32 exec_lo, exec_lo, s22
	s_and_saveexec_b32 s22, s16
	s_cbranch_execnz .LBB6_7995
	s_branch .LBB6_7996
.LBB6_8614:                             ;   in Loop: Header=BB6_7970 Depth=3
	s_or_saveexec_b32 s22, s22
	v_mov_b32_e32 v87, 0x7f800001
	s_xor_b32 exec_lo, exec_lo, s22
	s_cbranch_execz .LBB6_8000
.LBB6_8615:                             ;   in Loop: Header=BB6_7970 Depth=3
	v_cmp_ne_u16_sdwa s23, v21, v2 src0_sel:BYTE_0 src1_sel:DWORD
	v_mov_b32_e32 v87, 0
	s_andn2_b32 s16, s16, exec_lo
	s_and_b32 s23, s23, exec_lo
	s_or_b32 s16, s16, s23
	s_or_b32 exec_lo, exec_lo, s22
	s_and_saveexec_b32 s22, s16
	s_cbranch_execnz .LBB6_8001
	s_branch .LBB6_8002
.LBB6_8616:                             ;   in Loop: Header=BB6_7970 Depth=3
	s_or_saveexec_b32 s22, s22
	v_mov_b32_e32 v86, 0x7f800001
	s_xor_b32 exec_lo, exec_lo, s22
	s_cbranch_execz .LBB6_8014
.LBB6_8617:                             ;   in Loop: Header=BB6_7970 Depth=3
	v_cmp_ne_u16_sdwa s23, v121, v2 src0_sel:BYTE_0 src1_sel:DWORD
	v_mov_b32_e32 v86, 0
	s_andn2_b32 s16, s16, exec_lo
	s_and_b32 s23, s23, exec_lo
	s_or_b32 s16, s16, s23
	s_or_b32 exec_lo, exec_lo, s22
	s_and_saveexec_b32 s22, s16
	s_cbranch_execnz .LBB6_8015
	s_branch .LBB6_8016
.LBB6_8618:                             ;   in Loop: Header=BB6_7970 Depth=3
	s_or_saveexec_b32 s22, s22
	v_mov_b32_e32 v87, 0x7f800001
	s_xor_b32 exec_lo, exec_lo, s22
	s_cbranch_execz .LBB6_8020
.LBB6_8619:                             ;   in Loop: Header=BB6_7970 Depth=3
	v_cmp_ne_u16_sdwa s23, v26, v2 src0_sel:BYTE_0 src1_sel:DWORD
	v_mov_b32_e32 v87, 0
	s_andn2_b32 s16, s16, exec_lo
	s_and_b32 s23, s23, exec_lo
	s_or_b32 s16, s16, s23
	s_or_b32 exec_lo, exec_lo, s22
	s_and_saveexec_b32 s22, s16
	s_cbranch_execnz .LBB6_8021
	s_branch .LBB6_8022
.LBB6_8620:                             ;   in Loop: Header=BB6_7970 Depth=3
	s_or_saveexec_b32 s22, s22
	v_mov_b32_e32 v86, 0x7f800001
	s_xor_b32 exec_lo, exec_lo, s22
	s_cbranch_execz .LBB6_8034
.LBB6_8621:                             ;   in Loop: Header=BB6_7970 Depth=3
	v_cmp_ne_u16_sdwa s23, v120, v2 src0_sel:BYTE_0 src1_sel:DWORD
	v_mov_b32_e32 v86, 0
	s_andn2_b32 s16, s16, exec_lo
	s_and_b32 s23, s23, exec_lo
	s_or_b32 s16, s16, s23
	s_or_b32 exec_lo, exec_lo, s22
	s_and_saveexec_b32 s22, s16
	s_cbranch_execnz .LBB6_8035
	s_branch .LBB6_8036
.LBB6_8622:                             ;   in Loop: Header=BB6_7970 Depth=3
	s_or_saveexec_b32 s22, s22
	v_mov_b32_e32 v87, 0x7f800001
	s_xor_b32 exec_lo, exec_lo, s22
	s_cbranch_execz .LBB6_8040
.LBB6_8623:                             ;   in Loop: Header=BB6_7970 Depth=3
	v_cmp_ne_u16_sdwa s23, v29, v2 src0_sel:BYTE_0 src1_sel:DWORD
	v_mov_b32_e32 v87, 0
	s_andn2_b32 s16, s16, exec_lo
	s_and_b32 s23, s23, exec_lo
	s_or_b32 s16, s16, s23
	s_or_b32 exec_lo, exec_lo, s22
	s_and_saveexec_b32 s22, s16
	s_cbranch_execnz .LBB6_8041
	s_branch .LBB6_8042
.LBB6_8624:                             ;   in Loop: Header=BB6_7970 Depth=3
	s_or_saveexec_b32 s22, s22
	v_mov_b32_e32 v86, 0x7f800001
	s_xor_b32 exec_lo, exec_lo, s22
	s_cbranch_execz .LBB6_8054
.LBB6_8625:                             ;   in Loop: Header=BB6_7970 Depth=3
	v_cmp_ne_u16_sdwa s23, v58, v2 src0_sel:BYTE_0 src1_sel:DWORD
	v_mov_b32_e32 v86, 0
	s_andn2_b32 s16, s16, exec_lo
	s_and_b32 s23, s23, exec_lo
	s_or_b32 s16, s16, s23
	s_or_b32 exec_lo, exec_lo, s22
	s_and_saveexec_b32 s22, s16
	s_cbranch_execnz .LBB6_8055
	s_branch .LBB6_8056
.LBB6_8626:                             ;   in Loop: Header=BB6_7970 Depth=3
	s_or_saveexec_b32 s22, s22
	v_mov_b32_e32 v87, 0x7f800001
	s_xor_b32 exec_lo, exec_lo, s22
	s_cbranch_execz .LBB6_8060
.LBB6_8627:                             ;   in Loop: Header=BB6_7970 Depth=3
	v_cmp_ne_u16_sdwa s23, v32, v2 src0_sel:BYTE_0 src1_sel:DWORD
	v_mov_b32_e32 v87, 0
	s_andn2_b32 s16, s16, exec_lo
	s_and_b32 s23, s23, exec_lo
	s_or_b32 s16, s16, s23
	s_or_b32 exec_lo, exec_lo, s22
	s_and_saveexec_b32 s22, s16
	s_cbranch_execnz .LBB6_8061
	s_branch .LBB6_8062
.LBB6_8628:                             ;   in Loop: Header=BB6_7970 Depth=3
	s_or_saveexec_b32 s22, s22
	v_mov_b32_e32 v86, 0x7f800001
	s_xor_b32 exec_lo, exec_lo, s22
	s_cbranch_execz .LBB6_8074
.LBB6_8629:                             ;   in Loop: Header=BB6_7970 Depth=3
	v_cmp_ne_u16_sdwa s23, v46, v2 src0_sel:BYTE_0 src1_sel:DWORD
	v_mov_b32_e32 v86, 0
	s_andn2_b32 s16, s16, exec_lo
	s_and_b32 s23, s23, exec_lo
	s_or_b32 s16, s16, s23
	s_or_b32 exec_lo, exec_lo, s22
	s_and_saveexec_b32 s22, s16
	s_cbranch_execnz .LBB6_8075
	s_branch .LBB6_8076
.LBB6_8630:                             ;   in Loop: Header=BB6_7970 Depth=3
	s_or_saveexec_b32 s22, s22
	v_mov_b32_e32 v87, 0x7f800001
	s_xor_b32 exec_lo, exec_lo, s22
	s_cbranch_execz .LBB6_8080
.LBB6_8631:                             ;   in Loop: Header=BB6_7970 Depth=3
	v_cmp_ne_u16_sdwa s23, v35, v2 src0_sel:BYTE_0 src1_sel:DWORD
	v_mov_b32_e32 v87, 0
	s_andn2_b32 s16, s16, exec_lo
	s_and_b32 s23, s23, exec_lo
	s_or_b32 s16, s16, s23
	s_or_b32 exec_lo, exec_lo, s22
	s_and_saveexec_b32 s22, s16
	s_cbranch_execnz .LBB6_8081
	s_branch .LBB6_8082
.LBB6_8632:                             ;   in Loop: Header=BB6_7970 Depth=3
	s_or_saveexec_b32 s22, s22
	v_mov_b32_e32 v86, 0x7f800001
	s_xor_b32 exec_lo, exec_lo, s22
	s_cbranch_execz .LBB6_8094
.LBB6_8633:                             ;   in Loop: Header=BB6_7970 Depth=3
	v_cmp_ne_u16_sdwa s23, v111, v2 src0_sel:BYTE_0 src1_sel:DWORD
	v_mov_b32_e32 v86, 0
	s_andn2_b32 s16, s16, exec_lo
	s_and_b32 s23, s23, exec_lo
	s_or_b32 s16, s16, s23
	s_or_b32 exec_lo, exec_lo, s22
	s_and_saveexec_b32 s22, s16
	s_cbranch_execnz .LBB6_8095
	s_branch .LBB6_8096
.LBB6_8634:                             ;   in Loop: Header=BB6_7970 Depth=3
	s_or_saveexec_b32 s22, s22
	v_mov_b32_e32 v87, 0x7f800001
	s_xor_b32 exec_lo, exec_lo, s22
	s_cbranch_execz .LBB6_8100
.LBB6_8635:                             ;   in Loop: Header=BB6_7970 Depth=3
	v_cmp_ne_u16_sdwa s23, v38, v2 src0_sel:BYTE_0 src1_sel:DWORD
	v_mov_b32_e32 v87, 0
	s_andn2_b32 s16, s16, exec_lo
	s_and_b32 s23, s23, exec_lo
	s_or_b32 s16, s16, s23
	s_or_b32 exec_lo, exec_lo, s22
	s_and_saveexec_b32 s22, s16
	s_cbranch_execnz .LBB6_8101
	s_branch .LBB6_8102
.LBB6_8636:                             ;   in Loop: Header=BB6_7970 Depth=3
	s_or_saveexec_b32 s22, s22
	v_mov_b32_e32 v86, 0x7f800001
	s_xor_b32 exec_lo, exec_lo, s22
	s_cbranch_execz .LBB6_8114
.LBB6_8637:                             ;   in Loop: Header=BB6_7970 Depth=3
	v_cmp_ne_u16_sdwa s23, v110, v2 src0_sel:BYTE_0 src1_sel:DWORD
	v_mov_b32_e32 v86, 0
	s_andn2_b32 s16, s16, exec_lo
	s_and_b32 s23, s23, exec_lo
	s_or_b32 s16, s16, s23
	s_or_b32 exec_lo, exec_lo, s22
	s_and_saveexec_b32 s22, s16
	s_cbranch_execnz .LBB6_8115
	s_branch .LBB6_8116
.LBB6_8638:                             ;   in Loop: Header=BB6_7970 Depth=3
	s_or_saveexec_b32 s22, s22
	v_mov_b32_e32 v87, 0x7f800001
	s_xor_b32 exec_lo, exec_lo, s22
	s_cbranch_execz .LBB6_8120
.LBB6_8639:                             ;   in Loop: Header=BB6_7970 Depth=3
	v_cmp_ne_u16_sdwa s23, v49, v2 src0_sel:BYTE_0 src1_sel:DWORD
	v_mov_b32_e32 v87, 0
	s_andn2_b32 s16, s16, exec_lo
	s_and_b32 s23, s23, exec_lo
	s_or_b32 s16, s16, s23
	s_or_b32 exec_lo, exec_lo, s22
	s_and_saveexec_b32 s22, s16
	s_cbranch_execnz .LBB6_8121
	s_branch .LBB6_8122
.LBB6_8640:                             ;   in Loop: Header=BB6_7970 Depth=3
	s_or_saveexec_b32 s22, s22
	v_mov_b32_e32 v86, 0x7f800001
	s_xor_b32 exec_lo, exec_lo, s22
	s_cbranch_execz .LBB6_8134
.LBB6_8641:                             ;   in Loop: Header=BB6_7970 Depth=3
	v_cmp_ne_u16_sdwa s23, v52, v2 src0_sel:BYTE_0 src1_sel:DWORD
	v_mov_b32_e32 v86, 0
	s_andn2_b32 s16, s16, exec_lo
	s_and_b32 s23, s23, exec_lo
	s_or_b32 s16, s16, s23
	s_or_b32 exec_lo, exec_lo, s22
	s_and_saveexec_b32 s22, s16
	s_cbranch_execnz .LBB6_8135
	s_branch .LBB6_8136
.LBB6_8642:                             ;   in Loop: Header=BB6_7970 Depth=3
	s_or_saveexec_b32 s22, s22
	v_mov_b32_e32 v52, 0x7f800001
	s_xor_b32 exec_lo, exec_lo, s22
	s_cbranch_execz .LBB6_8140
.LBB6_8643:                             ;   in Loop: Header=BB6_7970 Depth=3
	v_cmp_ne_u16_sdwa s23, v107, v2 src0_sel:BYTE_0 src1_sel:DWORD
	v_mov_b32_e32 v52, 0
	s_andn2_b32 s16, s16, exec_lo
	s_and_b32 s23, s23, exec_lo
	s_or_b32 s16, s16, s23
	s_or_b32 exec_lo, exec_lo, s22
	s_and_saveexec_b32 s22, s16
	s_cbranch_execnz .LBB6_8141
	s_branch .LBB6_8142
.LBB6_8644:                             ;   in Loop: Header=BB6_7970 Depth=3
	s_or_saveexec_b32 s22, s22
	v_mov_b32_e32 v86, 0x7f800001
	s_xor_b32 exec_lo, exec_lo, s22
	s_cbranch_execz .LBB6_8154
.LBB6_8645:                             ;   in Loop: Header=BB6_7970 Depth=3
	v_cmp_ne_u16_sdwa s23, v55, v2 src0_sel:BYTE_0 src1_sel:DWORD
	v_mov_b32_e32 v86, 0
	s_andn2_b32 s16, s16, exec_lo
	s_and_b32 s23, s23, exec_lo
	s_or_b32 s16, s16, s23
	s_or_b32 exec_lo, exec_lo, s22
	s_and_saveexec_b32 s22, s16
	s_cbranch_execnz .LBB6_8155
	s_branch .LBB6_8156
.LBB6_8646:                             ;   in Loop: Header=BB6_7970 Depth=3
	s_or_saveexec_b32 s22, s22
	v_mov_b32_e32 v55, 0x7f800001
	s_xor_b32 exec_lo, exec_lo, s22
	s_cbranch_execz .LBB6_8160
.LBB6_8647:                             ;   in Loop: Header=BB6_7970 Depth=3
	v_cmp_ne_u16_sdwa s23, v73, v2 src0_sel:BYTE_0 src1_sel:DWORD
	v_mov_b32_e32 v55, 0
	s_andn2_b32 s16, s16, exec_lo
	s_and_b32 s23, s23, exec_lo
	s_or_b32 s16, s16, s23
	s_or_b32 exec_lo, exec_lo, s22
	s_and_saveexec_b32 s22, s16
	s_cbranch_execnz .LBB6_8161
	s_branch .LBB6_8162
.LBB6_8648:                             ;   in Loop: Header=BB6_7970 Depth=3
	s_or_saveexec_b32 s22, s22
	v_mov_b32_e32 v86, 0x7f800001
	s_xor_b32 exec_lo, exec_lo, s22
	s_cbranch_execz .LBB6_8174
.LBB6_8649:                             ;   in Loop: Header=BB6_7970 Depth=3
	v_cmp_ne_u16_sdwa s23, v84, v2 src0_sel:BYTE_0 src1_sel:DWORD
	v_mov_b32_e32 v86, 0
	s_andn2_b32 s16, s16, exec_lo
	s_and_b32 s23, s23, exec_lo
	s_or_b32 s16, s16, s23
	s_or_b32 exec_lo, exec_lo, s22
	s_and_saveexec_b32 s22, s16
	s_cbranch_execnz .LBB6_8175
	s_branch .LBB6_8176
.LBB6_8650:                             ;   in Loop: Header=BB6_7970 Depth=3
	s_or_saveexec_b32 s22, s22
	v_mov_b32_e32 v84, 0x7f800001
	s_xor_b32 exec_lo, exec_lo, s22
	s_cbranch_execz .LBB6_8180
.LBB6_8651:                             ;   in Loop: Header=BB6_7970 Depth=3
	v_cmp_ne_u16_sdwa s23, v105, v2 src0_sel:BYTE_0 src1_sel:DWORD
	v_mov_b32_e32 v84, 0
	s_andn2_b32 s16, s16, exec_lo
	s_and_b32 s23, s23, exec_lo
	s_or_b32 s16, s16, s23
	s_or_b32 exec_lo, exec_lo, s22
	s_and_saveexec_b32 s22, s16
	s_cbranch_execnz .LBB6_8181
	s_branch .LBB6_8182
.LBB6_8652:                             ;   in Loop: Header=BB6_7970 Depth=3
	s_or_saveexec_b32 s22, s22
	v_mov_b32_e32 v86, 0x7f800001
	s_xor_b32 exec_lo, exec_lo, s22
	s_cbranch_execz .LBB6_8194
.LBB6_8653:                             ;   in Loop: Header=BB6_7970 Depth=3
	v_cmp_ne_u16_sdwa s23, v85, v2 src0_sel:BYTE_0 src1_sel:DWORD
	v_mov_b32_e32 v86, 0
	s_andn2_b32 s16, s16, exec_lo
	s_and_b32 s23, s23, exec_lo
	s_or_b32 s16, s16, s23
	s_or_b32 exec_lo, exec_lo, s22
	s_and_saveexec_b32 s22, s16
	s_cbranch_execnz .LBB6_8195
	s_branch .LBB6_8196
.LBB6_8654:                             ;   in Loop: Header=BB6_7970 Depth=3
	s_or_saveexec_b32 s22, s22
	v_mov_b32_e32 v85, 0x7f800001
	s_xor_b32 exec_lo, exec_lo, s22
	s_cbranch_execz .LBB6_8200
.LBB6_8655:                             ;   in Loop: Header=BB6_7970 Depth=3
	v_cmp_ne_u16_sdwa s23, v91, v2 src0_sel:BYTE_0 src1_sel:DWORD
	v_mov_b32_e32 v85, 0
	s_andn2_b32 s16, s16, exec_lo
	s_and_b32 s23, s23, exec_lo
	s_or_b32 s16, s16, s23
	s_or_b32 exec_lo, exec_lo, s22
	s_and_saveexec_b32 s22, s16
	s_cbranch_execnz .LBB6_8201
	s_branch .LBB6_8202
.LBB6_8656:                             ;   in Loop: Header=BB6_7970 Depth=3
	s_or_saveexec_b32 s22, s22
	v_mov_b32_e32 v86, 0x7f800001
	s_xor_b32 exec_lo, exec_lo, s22
	s_cbranch_execz .LBB6_8214
.LBB6_8657:                             ;   in Loop: Header=BB6_7970 Depth=3
	v_cmp_ne_u16_sdwa s23, v112, v2 src0_sel:BYTE_0 src1_sel:DWORD
	v_mov_b32_e32 v86, 0
	s_andn2_b32 s16, s16, exec_lo
	s_and_b32 s23, s23, exec_lo
	s_or_b32 s16, s16, s23
	s_or_b32 exec_lo, exec_lo, s22
	s_and_saveexec_b32 s22, s16
	s_cbranch_execnz .LBB6_8215
	s_branch .LBB6_8216
.LBB6_8658:                             ;   in Loop: Header=BB6_7970 Depth=3
	s_or_saveexec_b32 s22, s22
	v_mov_b32_e32 v87, 0x7f800001
	s_xor_b32 exec_lo, exec_lo, s22
	s_cbranch_execz .LBB6_8220
.LBB6_8659:                             ;   in Loop: Header=BB6_7970 Depth=3
	v_cmp_ne_u16_sdwa s23, v43, v2 src0_sel:BYTE_0 src1_sel:DWORD
	v_mov_b32_e32 v87, 0
	s_andn2_b32 s16, s16, exec_lo
	s_and_b32 s23, s23, exec_lo
	s_or_b32 s16, s16, s23
	s_or_b32 exec_lo, exec_lo, s22
	s_and_saveexec_b32 s22, s16
	s_cbranch_execnz .LBB6_8221
	s_branch .LBB6_8222
.LBB6_8660:                             ;   in Loop: Header=BB6_7970 Depth=3
	s_or_saveexec_b32 s22, s22
	v_mov_b32_e32 v86, 0x7f800001
	s_xor_b32 exec_lo, exec_lo, s22
	s_cbranch_execz .LBB6_8234
.LBB6_8661:                             ;   in Loop: Header=BB6_7970 Depth=3
	v_cmp_ne_u16_sdwa s23, v115, v2 src0_sel:BYTE_0 src1_sel:DWORD
	v_mov_b32_e32 v86, 0
	s_andn2_b32 s16, s16, exec_lo
	s_and_b32 s23, s23, exec_lo
	s_or_b32 s16, s16, s23
	s_or_b32 exec_lo, exec_lo, s22
	s_and_saveexec_b32 s22, s16
	s_cbranch_execnz .LBB6_8235
	s_branch .LBB6_8236
.LBB6_8662:                             ;   in Loop: Header=BB6_7970 Depth=3
	s_or_saveexec_b32 s22, s22
	v_mov_b32_e32 v87, 0x7f800001
	s_xor_b32 exec_lo, exec_lo, s22
	s_cbranch_execz .LBB6_8240
.LBB6_8663:                             ;   in Loop: Header=BB6_7970 Depth=3
	v_cmp_ne_u16_sdwa s23, v118, v2 src0_sel:BYTE_0 src1_sel:DWORD
	v_mov_b32_e32 v87, 0
	s_andn2_b32 s16, s16, exec_lo
	s_and_b32 s23, s23, exec_lo
	s_or_b32 s16, s16, s23
	s_or_b32 exec_lo, exec_lo, s22
	s_and_saveexec_b32 s22, s16
	s_cbranch_execnz .LBB6_8241
	s_branch .LBB6_8242
.LBB6_8664:                             ;   in Loop: Header=BB6_7970 Depth=3
	s_or_saveexec_b32 s22, s22
	v_mov_b32_e32 v86, 0x7f800001
	s_xor_b32 exec_lo, exec_lo, s22
	s_cbranch_execz .LBB6_8254
.LBB6_8665:                             ;   in Loop: Header=BB6_7970 Depth=3
	v_cmp_ne_u16_sdwa s23, v98, v2 src0_sel:BYTE_0 src1_sel:DWORD
	v_mov_b32_e32 v86, 0
	s_andn2_b32 s16, s16, exec_lo
	s_and_b32 s23, s23, exec_lo
	s_or_b32 s16, s16, s23
	s_or_b32 exec_lo, exec_lo, s22
	s_and_saveexec_b32 s22, s16
	s_cbranch_execnz .LBB6_8255
	s_branch .LBB6_8256
.LBB6_8666:                             ;   in Loop: Header=BB6_7970 Depth=3
	s_or_saveexec_b32 s22, s22
	v_mov_b32_e32 v87, 0x7f800001
	s_xor_b32 exec_lo, exec_lo, s22
	s_cbranch_execz .LBB6_8260
.LBB6_8667:                             ;   in Loop: Header=BB6_7970 Depth=3
	v_cmp_ne_u16_sdwa s23, v99, v2 src0_sel:BYTE_0 src1_sel:DWORD
	v_mov_b32_e32 v87, 0
	s_andn2_b32 s16, s16, exec_lo
	s_and_b32 s23, s23, exec_lo
	s_or_b32 s16, s16, s23
	s_or_b32 exec_lo, exec_lo, s22
	s_and_saveexec_b32 s22, s16
	s_cbranch_execnz .LBB6_8261
	s_branch .LBB6_8262
.LBB6_8668:                             ;   in Loop: Header=BB6_7970 Depth=3
	s_or_saveexec_b32 s22, s22
	v_mov_b32_e32 v86, 0x7f800001
	s_xor_b32 exec_lo, exec_lo, s22
	s_cbranch_execz .LBB6_8274
.LBB6_8669:                             ;   in Loop: Header=BB6_7970 Depth=3
	v_cmp_ne_u16_sdwa s23, v41, v2 src0_sel:BYTE_0 src1_sel:DWORD
	v_mov_b32_e32 v86, 0
	s_andn2_b32 s16, s16, exec_lo
	s_and_b32 s23, s23, exec_lo
	s_or_b32 s16, s16, s23
	s_or_b32 exec_lo, exec_lo, s22
	s_and_saveexec_b32 s22, s16
	s_cbranch_execnz .LBB6_8275
	s_branch .LBB6_8276
.LBB6_8670:                             ;   in Loop: Header=BB6_7970 Depth=3
	s_or_saveexec_b32 s22, s22
	v_mov_b32_e32 v87, 0x7f800001
	s_xor_b32 exec_lo, exec_lo, s22
	s_cbranch_execz .LBB6_8280
.LBB6_8671:                             ;   in Loop: Header=BB6_7970 Depth=3
	v_cmp_ne_u16_sdwa s23, v42, v2 src0_sel:BYTE_0 src1_sel:DWORD
	v_mov_b32_e32 v87, 0
	s_andn2_b32 s16, s16, exec_lo
	s_and_b32 s23, s23, exec_lo
	s_or_b32 s16, s16, s23
	s_or_b32 exec_lo, exec_lo, s22
	s_and_saveexec_b32 s22, s16
	s_cbranch_execnz .LBB6_8281
	s_branch .LBB6_8282
.LBB6_8672:                             ;   in Loop: Header=BB6_7970 Depth=3
	s_or_saveexec_b32 s22, s22
	v_mov_b32_e32 v86, 0x7f800001
	s_xor_b32 exec_lo, exec_lo, s22
	s_cbranch_execz .LBB6_8294
.LBB6_8673:                             ;   in Loop: Header=BB6_7970 Depth=3
	v_cmp_ne_u16_sdwa s23, v119, v2 src0_sel:BYTE_0 src1_sel:DWORD
	v_mov_b32_e32 v86, 0
	s_andn2_b32 s16, s16, exec_lo
	s_and_b32 s23, s23, exec_lo
	s_or_b32 s16, s16, s23
	s_or_b32 exec_lo, exec_lo, s22
	s_and_saveexec_b32 s22, s16
	s_cbranch_execnz .LBB6_8295
	s_branch .LBB6_8296
.LBB6_8674:                             ;   in Loop: Header=BB6_7970 Depth=3
	s_or_saveexec_b32 s22, s22
	v_mov_b32_e32 v87, 0x7f800001
	s_xor_b32 exec_lo, exec_lo, s22
	s_cbranch_execz .LBB6_8300
.LBB6_8675:                             ;   in Loop: Header=BB6_7970 Depth=3
	v_cmp_ne_u16_sdwa s23, v40, v2 src0_sel:BYTE_0 src1_sel:DWORD
	v_mov_b32_e32 v87, 0
	s_andn2_b32 s16, s16, exec_lo
	s_and_b32 s23, s23, exec_lo
	s_or_b32 s16, s16, s23
	s_or_b32 exec_lo, exec_lo, s22
	s_and_saveexec_b32 s22, s16
	s_cbranch_execnz .LBB6_8301
	s_branch .LBB6_8302
.LBB6_8676:                             ;   in Loop: Header=BB6_7970 Depth=3
	s_or_saveexec_b32 s22, s22
	v_mov_b32_e32 v86, 0x7f800001
	s_xor_b32 exec_lo, exec_lo, s22
	s_cbranch_execz .LBB6_8314
.LBB6_8677:                             ;   in Loop: Header=BB6_7970 Depth=3
	v_cmp_ne_u16_sdwa s23, v116, v2 src0_sel:BYTE_0 src1_sel:DWORD
	v_mov_b32_e32 v86, 0
	s_andn2_b32 s16, s16, exec_lo
	s_and_b32 s23, s23, exec_lo
	s_or_b32 s16, s16, s23
	s_or_b32 exec_lo, exec_lo, s22
	s_and_saveexec_b32 s22, s16
	s_cbranch_execnz .LBB6_8315
	s_branch .LBB6_8316
.LBB6_8678:                             ;   in Loop: Header=BB6_7970 Depth=3
	s_or_saveexec_b32 s22, s22
	v_mov_b32_e32 v87, 0x7f800001
	s_xor_b32 exec_lo, exec_lo, s22
	s_cbranch_execz .LBB6_8320
.LBB6_8679:                             ;   in Loop: Header=BB6_7970 Depth=3
	v_cmp_ne_u16_sdwa s23, v117, v2 src0_sel:BYTE_0 src1_sel:DWORD
	v_mov_b32_e32 v87, 0
	s_andn2_b32 s16, s16, exec_lo
	s_and_b32 s23, s23, exec_lo
	s_or_b32 s16, s16, s23
	s_or_b32 exec_lo, exec_lo, s22
	s_and_saveexec_b32 s22, s16
	s_cbranch_execnz .LBB6_8321
	s_branch .LBB6_8322
.LBB6_8680:                             ;   in Loop: Header=BB6_7970 Depth=3
	s_or_saveexec_b32 s22, s22
	v_mov_b32_e32 v86, 0x7f800001
	s_xor_b32 exec_lo, exec_lo, s22
	s_cbranch_execz .LBB6_8334
.LBB6_8681:                             ;   in Loop: Header=BB6_7970 Depth=3
	v_cmp_ne_u16_sdwa s23, v113, v2 src0_sel:BYTE_0 src1_sel:DWORD
	v_mov_b32_e32 v86, 0
	s_andn2_b32 s16, s16, exec_lo
	s_and_b32 s23, s23, exec_lo
	s_or_b32 s16, s16, s23
	s_or_b32 exec_lo, exec_lo, s22
	s_and_saveexec_b32 s22, s16
	s_cbranch_execnz .LBB6_8335
	s_branch .LBB6_8336
.LBB6_8682:                             ;   in Loop: Header=BB6_7970 Depth=3
	s_or_saveexec_b32 s22, s22
	v_mov_b32_e32 v87, 0x7f800001
	s_xor_b32 exec_lo, exec_lo, s22
	s_cbranch_execz .LBB6_8340
.LBB6_8683:                             ;   in Loop: Header=BB6_7970 Depth=3
	v_cmp_ne_u16_sdwa s23, v114, v2 src0_sel:BYTE_0 src1_sel:DWORD
	v_mov_b32_e32 v87, 0
	s_andn2_b32 s16, s16, exec_lo
	s_and_b32 s23, s23, exec_lo
	s_or_b32 s16, s16, s23
	s_or_b32 exec_lo, exec_lo, s22
	s_and_saveexec_b32 s22, s16
	s_cbranch_execnz .LBB6_8341
	s_branch .LBB6_8342
.LBB6_8684:                             ;   in Loop: Header=BB6_7970 Depth=3
	s_or_saveexec_b32 s22, s22
	v_mov_b32_e32 v86, 0x7f800001
	s_xor_b32 exec_lo, exec_lo, s22
	s_cbranch_execz .LBB6_8354
.LBB6_8685:                             ;   in Loop: Header=BB6_7970 Depth=3
	v_cmp_ne_u16_sdwa s23, v101, v2 src0_sel:BYTE_0 src1_sel:DWORD
	v_mov_b32_e32 v86, 0
	s_andn2_b32 s16, s16, exec_lo
	s_and_b32 s23, s23, exec_lo
	s_or_b32 s16, s16, s23
	s_or_b32 exec_lo, exec_lo, s22
	s_and_saveexec_b32 s22, s16
	s_cbranch_execnz .LBB6_8355
	s_branch .LBB6_8356
.LBB6_8686:                             ;   in Loop: Header=BB6_7970 Depth=3
	s_or_saveexec_b32 s22, s22
	v_mov_b32_e32 v87, 0x7f800001
	s_xor_b32 exec_lo, exec_lo, s22
	s_cbranch_execz .LBB6_8360
.LBB6_8687:                             ;   in Loop: Header=BB6_7970 Depth=3
	v_cmp_ne_u16_sdwa s23, v102, v2 src0_sel:BYTE_0 src1_sel:DWORD
	v_mov_b32_e32 v87, 0
	s_andn2_b32 s16, s16, exec_lo
	s_and_b32 s23, s23, exec_lo
	s_or_b32 s16, s16, s23
	s_or_b32 exec_lo, exec_lo, s22
	s_and_saveexec_b32 s22, s16
	s_cbranch_execnz .LBB6_8361
	s_branch .LBB6_8362
.LBB6_8688:                             ;   in Loop: Header=BB6_7970 Depth=3
	s_or_saveexec_b32 s22, s22
	v_mov_b32_e32 v86, 0x7f800001
	s_xor_b32 exec_lo, exec_lo, s22
	s_cbranch_execz .LBB6_8374
.LBB6_8689:                             ;   in Loop: Header=BB6_7970 Depth=3
	v_cmp_ne_u16_sdwa s23, v82, v2 src0_sel:BYTE_0 src1_sel:DWORD
	v_mov_b32_e32 v86, 0
	s_andn2_b32 s16, s16, exec_lo
	s_and_b32 s23, s23, exec_lo
	s_or_b32 s16, s16, s23
	s_or_b32 exec_lo, exec_lo, s22
	s_and_saveexec_b32 s22, s16
	s_cbranch_execnz .LBB6_8375
	s_branch .LBB6_8376
.LBB6_8690:                             ;   in Loop: Header=BB6_7970 Depth=3
	s_or_saveexec_b32 s22, s22
	v_mov_b32_e32 v82, 0x7f800001
	s_xor_b32 exec_lo, exec_lo, s22
	s_cbranch_execz .LBB6_8380
.LBB6_8691:                             ;   in Loop: Header=BB6_7970 Depth=3
	v_cmp_ne_u16_sdwa s23, v83, v2 src0_sel:BYTE_0 src1_sel:DWORD
	v_mov_b32_e32 v82, 0
	s_andn2_b32 s16, s16, exec_lo
	s_and_b32 s23, s23, exec_lo
	s_or_b32 s16, s16, s23
	s_or_b32 exec_lo, exec_lo, s22
	s_and_saveexec_b32 s22, s16
	s_cbranch_execnz .LBB6_8381
	s_branch .LBB6_8382
.LBB6_8692:                             ;   in Loop: Header=BB6_7970 Depth=3
	s_or_saveexec_b32 s22, s22
	v_mov_b32_e32 v83, 0x7f800001
	s_xor_b32 exec_lo, exec_lo, s22
	s_cbranch_execz .LBB6_8394
.LBB6_8693:                             ;   in Loop: Header=BB6_7970 Depth=3
	v_cmp_ne_u16_sdwa s23, v53, v2 src0_sel:BYTE_0 src1_sel:DWORD
	v_mov_b32_e32 v83, 0
	s_andn2_b32 s16, s16, exec_lo
	s_and_b32 s23, s23, exec_lo
	s_or_b32 s16, s16, s23
	s_or_b32 exec_lo, exec_lo, s22
	s_and_saveexec_b32 s22, s16
	s_cbranch_execnz .LBB6_8395
	s_branch .LBB6_8396
.LBB6_8694:                             ;   in Loop: Header=BB6_7970 Depth=3
	s_or_saveexec_b32 s22, s22
	v_mov_b32_e32 v53, 0x7f800001
	s_xor_b32 exec_lo, exec_lo, s22
	s_cbranch_execz .LBB6_8400
.LBB6_8695:                             ;   in Loop: Header=BB6_7970 Depth=3
	v_cmp_ne_u16_sdwa s23, v54, v2 src0_sel:BYTE_0 src1_sel:DWORD
	v_mov_b32_e32 v53, 0
	s_andn2_b32 s16, s16, exec_lo
	s_and_b32 s23, s23, exec_lo
	s_or_b32 s16, s16, s23
	s_or_b32 exec_lo, exec_lo, s22
	s_and_saveexec_b32 s22, s16
	s_cbranch_execnz .LBB6_8401
	s_branch .LBB6_8402
.LBB6_8696:                             ;   in Loop: Header=BB6_7970 Depth=3
	s_or_saveexec_b32 s22, s22
	v_mov_b32_e32 v54, 0x7f800001
	s_xor_b32 exec_lo, exec_lo, s22
	s_cbranch_execz .LBB6_8414
.LBB6_8697:                             ;   in Loop: Header=BB6_7970 Depth=3
	v_cmp_ne_u16_sdwa s23, v50, v2 src0_sel:BYTE_0 src1_sel:DWORD
	v_mov_b32_e32 v54, 0
	s_andn2_b32 s16, s16, exec_lo
	s_and_b32 s23, s23, exec_lo
	s_or_b32 s16, s16, s23
	s_or_b32 exec_lo, exec_lo, s22
	s_and_saveexec_b32 s22, s16
	s_cbranch_execnz .LBB6_8415
	s_branch .LBB6_8416
.LBB6_8698:                             ;   in Loop: Header=BB6_7970 Depth=3
	s_or_saveexec_b32 s22, s22
	v_mov_b32_e32 v50, 0x7f800001
	s_xor_b32 exec_lo, exec_lo, s22
	s_cbranch_execz .LBB6_8420
.LBB6_8699:                             ;   in Loop: Header=BB6_7970 Depth=3
	v_cmp_ne_u16_sdwa s23, v51, v2 src0_sel:BYTE_0 src1_sel:DWORD
	v_mov_b32_e32 v50, 0
	s_andn2_b32 s16, s16, exec_lo
	s_and_b32 s23, s23, exec_lo
	s_or_b32 s16, s16, s23
	s_or_b32 exec_lo, exec_lo, s22
	s_and_saveexec_b32 s22, s16
	s_cbranch_execnz .LBB6_8421
	s_branch .LBB6_8422
.LBB6_8700:                             ;   in Loop: Header=BB6_7970 Depth=3
	s_or_saveexec_b32 s22, s22
	v_mov_b32_e32 v51, 0x7f800001
	s_xor_b32 exec_lo, exec_lo, s22
	s_cbranch_execz .LBB6_8434
.LBB6_8701:                             ;   in Loop: Header=BB6_7970 Depth=3
	v_cmp_ne_u16_sdwa s23, v39, v2 src0_sel:BYTE_0 src1_sel:DWORD
	v_mov_b32_e32 v51, 0
	s_andn2_b32 s16, s16, exec_lo
	s_and_b32 s23, s23, exec_lo
	s_or_b32 s16, s16, s23
	s_or_b32 exec_lo, exec_lo, s22
	s_and_saveexec_b32 s22, s16
	s_cbranch_execnz .LBB6_8435
	s_branch .LBB6_8436
.LBB6_8702:                             ;   in Loop: Header=BB6_7970 Depth=3
	s_or_saveexec_b32 s22, s22
	v_mov_b32_e32 v39, 0x7f800001
	s_xor_b32 exec_lo, exec_lo, s22
	s_cbranch_execz .LBB6_8440
.LBB6_8703:                             ;   in Loop: Header=BB6_7970 Depth=3
	v_cmp_ne_u16_sdwa s23, v48, v2 src0_sel:BYTE_0 src1_sel:DWORD
	v_mov_b32_e32 v39, 0
	s_andn2_b32 s16, s16, exec_lo
	s_and_b32 s23, s23, exec_lo
	s_or_b32 s16, s16, s23
	s_or_b32 exec_lo, exec_lo, s22
	s_and_saveexec_b32 s22, s16
	s_cbranch_execnz .LBB6_8441
	s_branch .LBB6_8442
.LBB6_8704:                             ;   in Loop: Header=BB6_7970 Depth=3
	s_or_saveexec_b32 s22, s22
	v_mov_b32_e32 v48, 0x7f800001
	s_xor_b32 exec_lo, exec_lo, s22
	s_cbranch_execz .LBB6_8454
.LBB6_8705:                             ;   in Loop: Header=BB6_7970 Depth=3
	v_cmp_ne_u16_sdwa s23, v36, v2 src0_sel:BYTE_0 src1_sel:DWORD
	v_mov_b32_e32 v48, 0
	s_andn2_b32 s16, s16, exec_lo
	s_and_b32 s23, s23, exec_lo
	s_or_b32 s16, s16, s23
	s_or_b32 exec_lo, exec_lo, s22
	s_and_saveexec_b32 s22, s16
	s_cbranch_execnz .LBB6_8455
	s_branch .LBB6_8456
.LBB6_8706:                             ;   in Loop: Header=BB6_7970 Depth=3
	s_or_saveexec_b32 s22, s22
	v_mov_b32_e32 v36, 0x7f800001
	s_xor_b32 exec_lo, exec_lo, s22
	s_cbranch_execz .LBB6_8460
.LBB6_8707:                             ;   in Loop: Header=BB6_7970 Depth=3
	v_cmp_ne_u16_sdwa s23, v37, v2 src0_sel:BYTE_0 src1_sel:DWORD
	v_mov_b32_e32 v36, 0
	s_andn2_b32 s16, s16, exec_lo
	s_and_b32 s23, s23, exec_lo
	s_or_b32 s16, s16, s23
	s_or_b32 exec_lo, exec_lo, s22
	s_and_saveexec_b32 s22, s16
	s_cbranch_execnz .LBB6_8461
	s_branch .LBB6_8462
.LBB6_8708:                             ;   in Loop: Header=BB6_7970 Depth=3
	s_or_saveexec_b32 s22, s22
	v_mov_b32_e32 v37, 0x7f800001
	s_xor_b32 exec_lo, exec_lo, s22
	s_cbranch_execz .LBB6_8474
.LBB6_8709:                             ;   in Loop: Header=BB6_7970 Depth=3
	v_cmp_ne_u16_sdwa s23, v33, v2 src0_sel:BYTE_0 src1_sel:DWORD
	v_mov_b32_e32 v37, 0
	s_andn2_b32 s16, s16, exec_lo
	s_and_b32 s23, s23, exec_lo
	s_or_b32 s16, s16, s23
	s_or_b32 exec_lo, exec_lo, s22
	s_and_saveexec_b32 s22, s16
	s_cbranch_execnz .LBB6_8475
	s_branch .LBB6_8476
.LBB6_8710:                             ;   in Loop: Header=BB6_7970 Depth=3
	s_or_saveexec_b32 s22, s22
	v_mov_b32_e32 v33, 0x7f800001
	s_xor_b32 exec_lo, exec_lo, s22
	s_cbranch_execz .LBB6_8480
.LBB6_8711:                             ;   in Loop: Header=BB6_7970 Depth=3
	v_cmp_ne_u16_sdwa s23, v34, v2 src0_sel:BYTE_0 src1_sel:DWORD
	v_mov_b32_e32 v33, 0
	s_andn2_b32 s16, s16, exec_lo
	s_and_b32 s23, s23, exec_lo
	s_or_b32 s16, s16, s23
	s_or_b32 exec_lo, exec_lo, s22
	s_and_saveexec_b32 s22, s16
	s_cbranch_execnz .LBB6_8481
	s_branch .LBB6_8482
.LBB6_8712:                             ;   in Loop: Header=BB6_7970 Depth=3
	s_or_saveexec_b32 s22, s22
	v_mov_b32_e32 v34, 0x7f800001
	s_xor_b32 exec_lo, exec_lo, s22
	s_cbranch_execz .LBB6_8494
.LBB6_8713:                             ;   in Loop: Header=BB6_7970 Depth=3
	v_cmp_ne_u16_sdwa s23, v30, v2 src0_sel:BYTE_0 src1_sel:DWORD
	v_mov_b32_e32 v34, 0
	s_andn2_b32 s16, s16, exec_lo
	s_and_b32 s23, s23, exec_lo
	s_or_b32 s16, s16, s23
	s_or_b32 exec_lo, exec_lo, s22
	s_and_saveexec_b32 s22, s16
	s_cbranch_execnz .LBB6_8495
	s_branch .LBB6_8496
.LBB6_8714:                             ;   in Loop: Header=BB6_7970 Depth=3
	s_or_saveexec_b32 s22, s22
	v_mov_b32_e32 v30, 0x7f800001
	s_xor_b32 exec_lo, exec_lo, s22
	s_cbranch_execz .LBB6_8500
.LBB6_8715:                             ;   in Loop: Header=BB6_7970 Depth=3
	v_cmp_ne_u16_sdwa s23, v31, v2 src0_sel:BYTE_0 src1_sel:DWORD
	v_mov_b32_e32 v30, 0
	s_andn2_b32 s16, s16, exec_lo
	s_and_b32 s23, s23, exec_lo
	s_or_b32 s16, s16, s23
	s_or_b32 exec_lo, exec_lo, s22
	s_and_saveexec_b32 s22, s16
	s_cbranch_execnz .LBB6_8501
	s_branch .LBB6_8502
.LBB6_8716:                             ;   in Loop: Header=BB6_7970 Depth=3
	s_or_saveexec_b32 s22, s22
	v_mov_b32_e32 v31, 0x7f800001
	s_xor_b32 exec_lo, exec_lo, s22
	s_cbranch_execz .LBB6_8514
.LBB6_8717:                             ;   in Loop: Header=BB6_7970 Depth=3
	v_cmp_ne_u16_sdwa s23, v27, v2 src0_sel:BYTE_0 src1_sel:DWORD
	v_mov_b32_e32 v31, 0
	s_andn2_b32 s16, s16, exec_lo
	s_and_b32 s23, s23, exec_lo
	s_or_b32 s16, s16, s23
	s_or_b32 exec_lo, exec_lo, s22
	s_and_saveexec_b32 s22, s16
	s_cbranch_execnz .LBB6_8515
	s_branch .LBB6_8516
.LBB6_8718:                             ;   in Loop: Header=BB6_7970 Depth=3
	s_or_saveexec_b32 s22, s22
	v_mov_b32_e32 v27, 0x7f800001
	s_xor_b32 exec_lo, exec_lo, s22
	s_cbranch_execz .LBB6_8520
.LBB6_8719:                             ;   in Loop: Header=BB6_7970 Depth=3
	v_cmp_ne_u16_sdwa s23, v28, v2 src0_sel:BYTE_0 src1_sel:DWORD
	v_mov_b32_e32 v27, 0
	s_andn2_b32 s16, s16, exec_lo
	s_and_b32 s23, s23, exec_lo
	s_or_b32 s16, s16, s23
	s_or_b32 exec_lo, exec_lo, s22
	s_and_saveexec_b32 s22, s16
	s_cbranch_execnz .LBB6_8521
	s_branch .LBB6_8522
.LBB6_8720:                             ;   in Loop: Header=BB6_7970 Depth=3
	s_or_saveexec_b32 s22, s22
	v_mov_b32_e32 v28, 0x7f800001
	s_xor_b32 exec_lo, exec_lo, s22
	s_cbranch_execz .LBB6_8534
.LBB6_8721:                             ;   in Loop: Header=BB6_7970 Depth=3
	v_cmp_ne_u16_sdwa s23, v24, v2 src0_sel:BYTE_0 src1_sel:DWORD
	v_mov_b32_e32 v28, 0
	s_andn2_b32 s16, s16, exec_lo
	s_and_b32 s23, s23, exec_lo
	s_or_b32 s16, s16, s23
	s_or_b32 exec_lo, exec_lo, s22
	s_and_saveexec_b32 s22, s16
	s_cbranch_execnz .LBB6_8535
	s_branch .LBB6_8536
.LBB6_8722:                             ;   in Loop: Header=BB6_7970 Depth=3
	s_or_saveexec_b32 s22, s22
	v_mov_b32_e32 v24, 0x7f800001
	s_xor_b32 exec_lo, exec_lo, s22
	s_cbranch_execz .LBB6_8540
.LBB6_8723:                             ;   in Loop: Header=BB6_7970 Depth=3
	v_cmp_ne_u16_sdwa s23, v25, v2 src0_sel:BYTE_0 src1_sel:DWORD
	v_mov_b32_e32 v24, 0
	s_andn2_b32 s16, s16, exec_lo
	s_and_b32 s23, s23, exec_lo
	s_or_b32 s16, s16, s23
	s_or_b32 exec_lo, exec_lo, s22
	s_and_saveexec_b32 s22, s16
	s_cbranch_execnz .LBB6_8541
	s_branch .LBB6_8542
.LBB6_8724:                             ;   in Loop: Header=BB6_7970 Depth=3
	s_or_saveexec_b32 s22, s22
	v_mov_b32_e32 v25, 0x7f800001
	s_xor_b32 exec_lo, exec_lo, s22
	s_cbranch_execz .LBB6_8554
.LBB6_8725:                             ;   in Loop: Header=BB6_7970 Depth=3
	v_cmp_ne_u16_sdwa s23, v22, v2 src0_sel:BYTE_0 src1_sel:DWORD
	v_mov_b32_e32 v25, 0
	s_andn2_b32 s16, s16, exec_lo
	s_and_b32 s23, s23, exec_lo
	s_or_b32 s16, s16, s23
	s_or_b32 exec_lo, exec_lo, s22
	s_and_saveexec_b32 s22, s16
	s_cbranch_execnz .LBB6_8555
	s_branch .LBB6_8556
.LBB6_8726:                             ;   in Loop: Header=BB6_7970 Depth=3
	s_or_saveexec_b32 s22, s22
	v_mov_b32_e32 v22, 0x7f800001
	s_xor_b32 exec_lo, exec_lo, s22
	s_cbranch_execz .LBB6_8560
.LBB6_8727:                             ;   in Loop: Header=BB6_7970 Depth=3
	v_cmp_ne_u16_sdwa s23, v23, v2 src0_sel:BYTE_0 src1_sel:DWORD
	v_mov_b32_e32 v22, 0
	s_andn2_b32 s16, s16, exec_lo
	s_and_b32 s23, s23, exec_lo
	s_or_b32 s16, s16, s23
	s_or_b32 exec_lo, exec_lo, s22
	s_and_saveexec_b32 s22, s16
	s_cbranch_execnz .LBB6_8561
	s_branch .LBB6_8562
.LBB6_8728:                             ;   in Loop: Header=BB6_7970 Depth=3
	s_or_saveexec_b32 s22, s22
	v_mov_b32_e32 v23, 0x7f800001
	s_xor_b32 exec_lo, exec_lo, s22
	s_cbranch_execz .LBB6_8574
.LBB6_8729:                             ;   in Loop: Header=BB6_7970 Depth=3
	v_cmp_ne_u16_sdwa s23, v19, v2 src0_sel:BYTE_0 src1_sel:DWORD
	v_mov_b32_e32 v23, 0
	s_andn2_b32 s16, s16, exec_lo
	s_and_b32 s23, s23, exec_lo
	s_or_b32 s16, s16, s23
	s_or_b32 exec_lo, exec_lo, s22
	s_and_saveexec_b32 s22, s16
	s_cbranch_execnz .LBB6_8575
	s_branch .LBB6_8576
.LBB6_8730:                             ;   in Loop: Header=BB6_7970 Depth=3
	s_or_saveexec_b32 s22, s22
	v_mov_b32_e32 v19, 0x7f800001
	s_xor_b32 exec_lo, exec_lo, s22
	s_cbranch_execz .LBB6_8580
.LBB6_8731:                             ;   in Loop: Header=BB6_7970 Depth=3
	v_cmp_ne_u16_sdwa s23, v20, v2 src0_sel:BYTE_0 src1_sel:DWORD
	v_mov_b32_e32 v19, 0
	s_andn2_b32 s16, s16, exec_lo
	s_and_b32 s23, s23, exec_lo
	s_or_b32 s16, s16, s23
	s_or_b32 exec_lo, exec_lo, s22
	s_and_saveexec_b32 s22, s16
	s_cbranch_execnz .LBB6_8581
	s_branch .LBB6_8582
.LBB6_8732:                             ;   in Loop: Header=BB6_7970 Depth=3
	s_or_saveexec_b32 s22, s22
	v_mov_b32_e32 v20, 0x7f800001
	s_xor_b32 exec_lo, exec_lo, s22
	s_cbranch_execz .LBB6_8594
.LBB6_8733:                             ;   in Loop: Header=BB6_7970 Depth=3
	v_cmp_ne_u16_sdwa s23, v17, v2 src0_sel:BYTE_0 src1_sel:DWORD
	v_mov_b32_e32 v20, 0
	s_andn2_b32 s16, s16, exec_lo
	s_and_b32 s23, s23, exec_lo
	s_or_b32 s16, s16, s23
	s_or_b32 exec_lo, exec_lo, s22
	s_and_saveexec_b32 s22, s16
	s_cbranch_execnz .LBB6_8595
	s_branch .LBB6_8596
.LBB6_8734:                             ;   in Loop: Header=BB6_7970 Depth=3
	s_or_saveexec_b32 s22, s22
	v_mov_b32_e32 v17, 0x7f800001
	s_xor_b32 exec_lo, exec_lo, s22
	s_cbranch_execz .LBB6_8600
.LBB6_8735:                             ;   in Loop: Header=BB6_7970 Depth=3
	v_cmp_ne_u16_sdwa s23, v18, v2 src0_sel:BYTE_0 src1_sel:DWORD
	v_mov_b32_e32 v17, 0
	s_andn2_b32 s16, s16, exec_lo
	s_and_b32 s23, s23, exec_lo
	s_or_b32 s16, s16, s23
	s_or_b32 exec_lo, exec_lo, s22
	s_and_saveexec_b32 s22, s16
	s_cbranch_execnz .LBB6_8601
	s_branch .LBB6_8602
.LBB6_8736:                             ;   in Loop: Header=BB6_3207 Depth=2
	s_or_b32 exec_lo, exec_lo, s19
.LBB6_8737:                             ;   in Loop: Header=BB6_3207 Depth=2
	s_or_b32 exec_lo, exec_lo, s18
	v_lshlrev_b32_e32 v1, 10, v16
	v_cmp_ne_u32_e32 vcc_lo, v5, v1
	s_and_b32 exec_lo, exec_lo, vcc_lo
	s_cbranch_execz .LBB6_8765
; %bb.8738:                             ;   in Loop: Header=BB6_3207 Depth=2
	v_ashrrev_i32_e32 v8, 31, v14
	s_waitcnt vmcnt(0)
	v_lshlrev_b32_e32 v9, 5, v15
	v_lshrrev_b32_e32 v8, 27, v8
	v_add_nc_u32_e32 v8, v14, v8
	v_and_b32_e32 v8, 0xffffffe0, v8
	v_sub_nc_u32_e32 v8, v14, v8
	v_sub_nc_u32_e32 v8, v8, v9
	v_add_nc_u32_e32 v8, v1, v8
	v_sub_nc_u32_e32 v1, v5, v8
	v_cmp_lt_i32_e32 vcc_lo, 0, v1
	s_and_b32 exec_lo, exec_lo, vcc_lo
	s_cbranch_execz .LBB6_8765
; %bb.8739:                             ;   in Loop: Header=BB6_3207 Depth=2
	s_trap 2
	ds_read_b128 v[9:12], v0
	ds_read_b64 v[13:14], v0
	v_add_nc_u32_e32 v4, v8, v4
	s_mov_b32 s18, 0
	v_ashrrev_i32_e32 v5, 31, v4
	s_waitcnt lgkmcnt(1)
	v_add_co_u32 v8, vcc_lo, v9, v4
	v_add_co_ci_u32_e64 v9, null, v10, v5, vcc_lo
	v_add_co_u32 v10, vcc_lo, v11, v4
	v_add_co_ci_u32_e64 v11, null, v12, v5, vcc_lo
	s_waitcnt lgkmcnt(0)
	v_add_co_u32 v12, vcc_lo, v13, v4
	v_add_co_ci_u32_e64 v13, null, v14, v5, vcc_lo
	s_branch .LBB6_8743
.LBB6_8740:                             ;   in Loop: Header=BB6_8743 Depth=3
	s_or_b32 exec_lo, exec_lo, s16
	v_lshrrev_b32_e32 v14, 21, v14
	v_cmp_gt_i32_e32 vcc_lo, 32, v5
	v_min_i32_e32 v15, 31, v5
	v_and_b32_sdwa v4, v4, v60 dst_sel:DWORD dst_unused:UNUSED_PAD src0_sel:BYTE_3 src1_sel:DWORD
	v_cndmask_b32_e32 v14, 3, v14, vcc_lo
	v_lshlrev_b32_e32 v15, 2, v15
	v_and_b32_e32 v16, 3, v14
	v_or_b32_e32 v5, v5, v14
	v_or3_b32 v4, v15, v4, v16
	v_cmp_ne_u32_e32 vcc_lo, 0, v5
	v_cndmask_b32_e32 v5, 0, v4, vcc_lo
.LBB6_8741:                             ;   in Loop: Header=BB6_8743 Depth=3
	s_or_b32 exec_lo, exec_lo, s22
.LBB6_8742:                             ;   in Loop: Header=BB6_8743 Depth=3
	s_or_b32 exec_lo, exec_lo, s19
	v_sub_nc_u32_e32 v1, v1, v56
	v_add_co_u32 v8, vcc_lo, v8, v56
	v_add_co_ci_u32_e64 v9, null, 0, v9, vcc_lo
	v_add_co_u32 v10, vcc_lo, v10, v56
	flat_store_byte v[12:13], v5 glc slc
	v_add_co_ci_u32_e64 v11, null, 0, v11, vcc_lo
	v_cmp_gt_i32_e32 vcc_lo, 1, v1
	v_add_co_u32 v12, s16, v12, v56
	v_add_co_ci_u32_e64 v13, null, 0, v13, s16
	s_or_b32 s18, vcc_lo, s18
	s_andn2_b32 exec_lo, exec_lo, s18
	s_cbranch_execz .LBB6_8765
.LBB6_8743:                             ;   Parent Loop BB6_47 Depth=1
                                        ;     Parent Loop BB6_3207 Depth=2
                                        ; =>    This Inner Loop Header: Depth=3
	flat_load_ubyte v14, v[8:9] slc
	flat_load_ubyte v4, v[10:11] slc
	s_mov_b32 s16, 0
	s_mov_b32 s19, exec_lo
	s_waitcnt vmcnt(1) lgkmcnt(1)
	v_cmpx_lt_i16_e32 0x7f, v14
	s_xor_b32 s19, exec_lo, s19
	s_cbranch_execz .LBB6_8761
; %bb.8744:                             ;   in Loop: Header=BB6_8743 Depth=3
	s_mov_b32 s16, -1
	s_mov_b32 s22, exec_lo
	v_cmpx_eq_u16_e32 0x80, v14
; %bb.8745:                             ;   in Loop: Header=BB6_8743 Depth=3
	s_xor_b32 s16, exec_lo, -1
; %bb.8746:                             ;   in Loop: Header=BB6_8743 Depth=3
	s_or_b32 exec_lo, exec_lo, s22
	s_and_b32 s16, s16, exec_lo
	s_or_saveexec_b32 s19, s19
	v_mov_b32_e32 v5, 0x7f800001
	s_xor_b32 exec_lo, exec_lo, s19
	s_cbranch_execnz .LBB6_8762
.LBB6_8747:                             ;   in Loop: Header=BB6_8743 Depth=3
	s_or_b32 exec_lo, exec_lo, s19
	s_and_saveexec_b32 s19, s16
	s_cbranch_execz .LBB6_8749
.LBB6_8748:                             ;   in Loop: Header=BB6_8743 Depth=3
	v_and_b32_e32 v5, 0xffff, v14
	v_lshlrev_b32_e32 v14, 24, v14
	v_and_b32_e32 v15, 3, v5
	v_bfe_u32 v18, v5, 2, 5
	v_and_b32_e32 v14, 0x80000000, v14
	v_ffbh_u32_e32 v16, v15
	v_cmp_eq_u32_e32 vcc_lo, 0, v18
	v_min_u32_e32 v16, 32, v16
	v_subrev_nc_u32_e32 v17, 29, v16
	v_sub_nc_u32_e32 v16, 30, v16
	v_lshlrev_b32_e32 v5, v17, v5
	v_cndmask_b32_e32 v16, v18, v16, vcc_lo
	v_and_b32_e32 v5, 3, v5
	v_cndmask_b32_e32 v5, v15, v5, vcc_lo
	v_lshl_add_u32 v15, v16, 23, 0x37800000
	v_lshlrev_b32_e32 v5, 21, v5
	v_or3_b32 v5, v14, v15, v5
.LBB6_8749:                             ;   in Loop: Header=BB6_8743 Depth=3
	s_or_b32 exec_lo, exec_lo, s19
	s_waitcnt vmcnt(0) lgkmcnt(0)
	v_cmp_gt_i16_sdwa s19, v4, v59 src0_sel:BYTE_0 src1_sel:DWORD
	s_mov_b32 s16, 0
	s_and_saveexec_b32 s22, s19
	s_xor_b32 s19, exec_lo, s22
	s_cbranch_execz .LBB6_8763
; %bb.8750:                             ;   in Loop: Header=BB6_8743 Depth=3
	v_cmp_eq_u16_sdwa s23, v4, v60 src0_sel:BYTE_0 src1_sel:DWORD
	s_mov_b32 s16, -1
	s_and_saveexec_b32 s22, s23
; %bb.8751:                             ;   in Loop: Header=BB6_8743 Depth=3
	s_xor_b32 s16, exec_lo, -1
; %bb.8752:                             ;   in Loop: Header=BB6_8743 Depth=3
	s_or_b32 exec_lo, exec_lo, s22
	s_and_b32 s16, s16, exec_lo
	s_or_saveexec_b32 s19, s19
	v_mov_b32_e32 v14, 0x7f800001
	s_xor_b32 exec_lo, exec_lo, s19
	s_cbranch_execnz .LBB6_8764
.LBB6_8753:                             ;   in Loop: Header=BB6_8743 Depth=3
	s_or_b32 exec_lo, exec_lo, s19
	s_and_saveexec_b32 s19, s16
	s_cbranch_execz .LBB6_8755
.LBB6_8754:                             ;   in Loop: Header=BB6_8743 Depth=3
	v_and_b32_e32 v14, 3, v4
	v_lshrrev_b16 v16, 2, v4
	v_ffbh_u32_e32 v15, v14
	v_and_b32_e32 v16, 31, v16
	v_min_u32_e32 v15, 32, v15
	v_cmp_eq_u32_e32 vcc_lo, 0, v16
	v_subrev_nc_u32_e32 v17, 29, v15
	v_sub_nc_u32_e32 v15, 30, v15
	v_lshlrev_b32_e32 v17, v17, v4
	v_lshlrev_b32_e32 v4, 24, v4
	v_cndmask_b32_e32 v15, v16, v15, vcc_lo
	v_and_b32_e32 v17, 3, v17
	v_and_b32_e32 v4, 0x80000000, v4
	v_lshl_add_u32 v15, v15, 23, 0x37800000
	v_cndmask_b32_e32 v14, v14, v17, vcc_lo
	v_lshlrev_b32_e32 v14, 21, v14
	v_or3_b32 v14, v4, v15, v14
.LBB6_8755:                             ;   in Loop: Header=BB6_8743 Depth=3
	s_or_b32 exec_lo, exec_lo, s19
	v_mul_f32_e32 v4, v5, v14
	v_and_b32_e32 v5, 0x7f800000, v4
	v_cmp_ne_u32_e32 vcc_lo, 0x7f800000, v5
	v_mov_b32_e32 v5, 0x80
	s_and_saveexec_b32 s19, vcc_lo
	s_cbranch_execz .LBB6_8742
; %bb.8756:                             ;   in Loop: Header=BB6_8743 Depth=3
	v_mov_b32_e32 v5, 0
	s_mov_b32 s22, exec_lo
	v_cmpx_ne_u32_e32 0, v4
	s_cbranch_execz .LBB6_8741
; %bb.8757:                             ;   in Loop: Header=BB6_8743 Depth=3
	v_bfe_u32 v5, v4, 23, 8
	v_and_b32_e32 v14, 0x7fffff, v4
	v_sub_nc_u32_e32 v15, 0x70, v5
	v_cmp_gt_u32_e32 vcc_lo, 0x71, v5
	v_or_b32_e32 v16, 0x800000, v14
	v_cndmask_b32_e32 v15, 0, v15, vcc_lo
	v_cmp_eq_u32_e32 vcc_lo, 0, v5
	v_add_nc_u32_e32 v5, 0xffffff91, v5
	v_cndmask_b32_e64 v15, v15, 0x6f, vcc_lo
	v_cndmask_b32_e32 v14, v16, v14, vcc_lo
	v_cndmask_b32_e64 v5, v5, 0xffffff92, vcc_lo
	v_lshl_add_u32 v16, 0x200000, v15, -1
	v_lshrrev_b32_e32 v17, v15, v14
	v_lshlrev_b32_e64 v19, v15, 0x100000
	v_add_nc_u32_e32 v15, v15, v5
	v_and_b32_e32 v14, v16, v14
	v_bfe_u32 v18, v17, 21, 1
	v_cmp_eq_u32_e64 s16, v14, v19
	v_add_nc_u32_e32 v16, -1, v18
	v_cndmask_b32_e64 v14, 0, v16, s16
	v_lshrrev_b32_e32 v16, 23, v17
	s_mov_b32 s16, exec_lo
	v_add_nc_u32_e32 v14, v14, v17
	v_xor_b32_e32 v16, 1, v16
	v_and_b32_e32 v5, 0x1fffff, v14
	v_add_nc_u32_e32 v14, v5, v17
                                        ; implicit-def: $vgpr5
	v_cmpx_ne_u32_e64 v15, v16
	s_xor_b32 s16, exec_lo, s16
; %bb.8758:                             ;   in Loop: Header=BB6_8743 Depth=3
	v_cmp_lt_u32_e32 vcc_lo, 0xffffff, v14
	v_sub_nc_u32_e32 v5, v15, v16
	v_cndmask_b32_e64 v15, 0, 1, vcc_lo
	v_add_co_ci_u32_e64 v5, null, 0, v5, vcc_lo
	v_lshrrev_b32_e32 v14, v15, v14
; %bb.8759:                             ;   in Loop: Header=BB6_8743 Depth=3
	s_andn2_saveexec_b32 s16, s16
	s_cbranch_execz .LBB6_8740
; %bb.8760:                             ;   in Loop: Header=BB6_8743 Depth=3
	v_bfe_u32 v5, v14, 23, 1
	s_branch .LBB6_8740
.LBB6_8761:                             ;   in Loop: Header=BB6_8743 Depth=3
	s_or_saveexec_b32 s19, s19
	v_mov_b32_e32 v5, 0x7f800001
	s_xor_b32 exec_lo, exec_lo, s19
	s_cbranch_execz .LBB6_8747
.LBB6_8762:                             ;   in Loop: Header=BB6_8743 Depth=3
	v_cmp_ne_u16_e32 vcc_lo, 0, v14
	v_mov_b32_e32 v5, 0
	s_andn2_b32 s16, s16, exec_lo
	s_and_b32 s22, vcc_lo, exec_lo
	s_or_b32 s16, s16, s22
	s_or_b32 exec_lo, exec_lo, s19
	s_and_saveexec_b32 s19, s16
	s_cbranch_execnz .LBB6_8748
	s_branch .LBB6_8749
.LBB6_8763:                             ;   in Loop: Header=BB6_8743 Depth=3
	s_or_saveexec_b32 s19, s19
	v_mov_b32_e32 v14, 0x7f800001
	s_xor_b32 exec_lo, exec_lo, s19
	s_cbranch_execz .LBB6_8753
.LBB6_8764:                             ;   in Loop: Header=BB6_8743 Depth=3
	v_cmp_ne_u16_sdwa s22, v4, v2 src0_sel:BYTE_0 src1_sel:DWORD
	v_mov_b32_e32 v14, 0
	s_andn2_b32 s16, s16, exec_lo
	s_and_b32 s22, s22, exec_lo
	s_or_b32 s16, s16, s22
	s_or_b32 exec_lo, exec_lo, s19
	s_and_saveexec_b32 s19, s16
	s_cbranch_execnz .LBB6_8754
	s_branch .LBB6_8755
.LBB6_8765:                             ;   in Loop: Header=BB6_3207 Depth=2
	s_or_b32 exec_lo, exec_lo, s17
.LBB6_8766:                             ;   in Loop: Header=BB6_3207 Depth=2
	v_cmp_lt_i32_e64 s16, 0, v95
	s_and_saveexec_b32 s17, s6
	s_cbranch_execnz .LBB6_8767
; %bb.9413:                             ;   in Loop: Header=BB6_3207 Depth=2
	s_getpc_b64 s[34:35]
.Lpost_getpc20:
	s_add_u32 s34, s34, (.LBB6_3283-.Lpost_getpc20)&4294967295
	s_addc_u32 s35, s35, (.LBB6_3283-.Lpost_getpc20)>>32
	s_setpc_b64 s[34:35]
.LBB6_8767:                             ;   in Loop: Header=BB6_3207 Depth=2
	s_and_saveexec_b32 s18, s29
	s_xor_b32 s18, exec_lo, s18
	s_cbranch_execz .LBB6_8782
; %bb.8768:                             ;   in Loop: Header=BB6_3207 Depth=2
	s_and_saveexec_b32 s19, s11
	s_cbranch_execz .LBB6_8781
; %bb.8769:                             ;   in Loop: Header=BB6_3207 Depth=2
	s_mov_b32 s23, exec_lo
	s_mov_b32 s22, exec_lo
	v_mbcnt_lo_u32_b32 v1, s23, 0
	s_waitcnt vmcnt(0) lgkmcnt(0)
	s_waitcnt_vscnt null, 0x0
	buffer_gl1_inv
	buffer_gl0_inv
	v_cmpx_eq_u32_e32 0, v1
	s_cbranch_execz .LBB6_8771
; %bb.8770:                             ;   in Loop: Header=BB6_3207 Depth=2
	s_bcnt1_i32_b32 s23, s23
	v_mov_b32_e32 v5, v2
	v_mov_b32_e32 v4, s23
	ds_add_u64 v0, v[4:5]
	s_trap 2
.LBB6_8771:                             ;   in Loop: Header=BB6_3207 Depth=2
	s_or_b32 exec_lo, exec_lo, s22
	s_trap 2
	ds_read_b64 v[4:5], v0
	s_waitcnt lgkmcnt(0)
	buffer_gl0_inv
	v_add_co_u32 v70, vcc_lo, v70, v47
	v_add_co_ci_u32_e64 v71, null, 0, v71, vcc_lo
	s_mov_b32 s22, exec_lo
	v_cmpx_lt_u64_e64 v[4:5], v[70:71]
	s_cbranch_execz .LBB6_8780
; %bb.8772:                             ;   in Loop: Header=BB6_3207 Depth=2
	s_mov_b32 s23, 0
	s_mov_b32 s74, 0
                                        ; implicit-def: $sgpr72
                                        ; implicit-def: $sgpr73
	s_inst_prefetch 0x1
	s_branch .LBB6_8774
	.p2align	6
.LBB6_8773:                             ;   in Loop: Header=BB6_8774 Depth=3
	s_or_b32 exec_lo, exec_lo, s76
	s_and_b32 s75, exec_lo, s77
	s_or_b32 s23, s75, s23
	s_andn2_b32 s72, s72, exec_lo
	s_and_b32 s75, s73, exec_lo
	s_or_b32 s72, s72, s75
	s_andn2_b32 exec_lo, exec_lo, s23
	s_cbranch_execz .LBB6_8778
.LBB6_8774:                             ;   Parent Loop BB6_47 Depth=1
                                        ;     Parent Loop BB6_3207 Depth=2
                                        ; =>    This Inner Loop Header: Depth=3
	s_add_i32 s74, s74, 1
	s_cmpk_lg_i32 s74, 0x2710
	s_cselect_b32 s75, -1, 0
	s_and_b32 vcc_lo, exec_lo, s75
	s_cbranch_vccz .LBB6_8776
; %bb.8775:                             ;   in Loop: Header=BB6_8774 Depth=3
	s_mov_b32 s77, -1
	s_or_b32 s73, s73, exec_lo
	s_and_saveexec_b32 s76, s75
	s_cbranch_execz .LBB6_8773
	s_branch .LBB6_8777
	.p2align	6
.LBB6_8776:                             ;   in Loop: Header=BB6_8774 Depth=3
	s_trap 2
	ds_read_b64 v[4:5], v0
	s_andn2_b32 s75, s75, exec_lo
	s_mov_b32 s74, 0
	s_waitcnt lgkmcnt(0)
	flat_load_dword v1, v[4:5] glc dlc
	s_waitcnt vmcnt(0) lgkmcnt(0)
	buffer_gl1_inv
	buffer_gl0_inv
	v_cmp_eq_u32_e32 vcc_lo, 0, v1
	s_and_b32 s76, vcc_lo, exec_lo
	s_or_b32 s75, s75, s76
	s_mov_b32 s77, -1
	s_or_b32 s73, s73, exec_lo
	s_and_saveexec_b32 s76, s75
	s_cbranch_execz .LBB6_8773
.LBB6_8777:                             ;   in Loop: Header=BB6_8774 Depth=3
	s_sleep 1
	s_trap 2
	ds_read_b64 v[4:5], v0
	s_waitcnt lgkmcnt(0)
	buffer_gl0_inv
	s_andn2_b32 s73, s73, exec_lo
	v_cmp_ge_u64_e32 vcc_lo, v[4:5], v[70:71]
	s_orn2_b32 s77, vcc_lo, exec_lo
	s_branch .LBB6_8773
.LBB6_8778:                             ;   in Loop: Header=BB6_3207 Depth=2
	s_inst_prefetch 0x2
	s_or_b32 exec_lo, exec_lo, s23
	s_and_saveexec_b32 s23, s72
	s_xor_b32 s23, exec_lo, s23
	s_cbranch_execz .LBB6_8780
; %bb.8779:                             ;   in Loop: Header=BB6_3207 Depth=2
	ds_write_b32 v0, v57
	s_trap 2
.LBB6_8780:                             ;   in Loop: Header=BB6_3207 Depth=2
	s_or_b32 exec_lo, exec_lo, s22
	;;#ASMSTART
	s_wakeup
	;;#ASMEND
.LBB6_8781:                             ;   in Loop: Header=BB6_3207 Depth=2
	s_or_b32 exec_lo, exec_lo, s19
.LBB6_8782:                             ;   in Loop: Header=BB6_3207 Depth=2
	s_andn2_saveexec_b32 s18, s18
	s_cbranch_execz .LBB6_8784
; %bb.8783:                             ;   in Loop: Header=BB6_3207 Depth=2
	s_waitcnt vmcnt(0) lgkmcnt(0)
	s_waitcnt_vscnt null, 0x0
	buffer_gl1_inv
	buffer_gl0_inv
	s_barrier
.LBB6_8784:                             ;   in Loop: Header=BB6_3207 Depth=2
	s_or_b32 exec_lo, exec_lo, s18
	s_or_b32 exec_lo, exec_lo, s17
                                        ; implicit-def: $vgpr1
	s_and_saveexec_b32 s17, s13
	s_xor_b32 s17, exec_lo, s17
	s_cbranch_execz .LBB6_8785
; %bb.9415:                             ;   in Loop: Header=BB6_3207 Depth=2
	s_getpc_b64 s[34:35]
.Lpost_getpc21:
	s_add_u32 s34, s34, (.LBB6_3284-.Lpost_getpc21)&4294967295
	s_addc_u32 s35, s35, (.LBB6_3284-.Lpost_getpc21)>>32
	s_setpc_b64 s[34:35]
.LBB6_8785:                             ;   in Loop: Header=BB6_3207 Depth=2
	s_andn2_saveexec_b32 s16, s17
	s_cbranch_execz .LBB6_8804
.LBB6_8786:                             ;   in Loop: Header=BB6_3207 Depth=2
	s_and_saveexec_b32 s17, s29
	s_xor_b32 s17, exec_lo, s17
	s_cbranch_execz .LBB6_8801
; %bb.8787:                             ;   in Loop: Header=BB6_3207 Depth=2
	s_and_saveexec_b32 s18, s11
	s_cbranch_execz .LBB6_8800
; %bb.8788:                             ;   in Loop: Header=BB6_3207 Depth=2
	s_mov_b32 s22, exec_lo
	s_mov_b32 s19, exec_lo
	v_mbcnt_lo_u32_b32 v1, s22, 0
	;;#ASMSTART
	s_waitcnt lgkmcnt(0) vmcnt(0)
	;;#ASMEND
	v_cmpx_eq_u32_e32 0, v1
	s_cbranch_execz .LBB6_8790
; %bb.8789:                             ;   in Loop: Header=BB6_3207 Depth=2
	s_bcnt1_i32_b32 s22, s22
	v_mov_b32_e32 v5, v2
	v_mov_b32_e32 v4, s22
	s_waitcnt vmcnt(0) lgkmcnt(0)
	s_waitcnt_vscnt null, 0x0
	ds_add_u64 v0, v[4:5]
	s_trap 2
.LBB6_8790:                             ;   in Loop: Header=BB6_3207 Depth=2
	s_or_b32 exec_lo, exec_lo, s19
	s_trap 2
	ds_read_b64 v[4:5], v0
	s_waitcnt vmcnt(0) lgkmcnt(0)
	buffer_gl0_inv
	v_add_co_u32 v70, vcc_lo, v70, v47
	v_add_co_ci_u32_e64 v71, null, 0, v71, vcc_lo
	s_mov_b32 s19, exec_lo
	v_cmpx_lt_u64_e64 v[4:5], v[70:71]
	s_cbranch_execz .LBB6_8799
; %bb.8791:                             ;   in Loop: Header=BB6_3207 Depth=2
	s_mov_b32 s22, 0
	s_mov_b32 s73, 0
                                        ; implicit-def: $sgpr23
                                        ; implicit-def: $sgpr72
	s_inst_prefetch 0x1
	s_branch .LBB6_8793
	.p2align	6
.LBB6_8792:                             ;   in Loop: Header=BB6_8793 Depth=3
	s_or_b32 exec_lo, exec_lo, s75
	s_and_b32 s74, exec_lo, s76
	s_or_b32 s22, s74, s22
	s_andn2_b32 s23, s23, exec_lo
	s_and_b32 s74, s72, exec_lo
	s_or_b32 s23, s23, s74
	s_andn2_b32 exec_lo, exec_lo, s22
	s_cbranch_execz .LBB6_8797
.LBB6_8793:                             ;   Parent Loop BB6_47 Depth=1
                                        ;     Parent Loop BB6_3207 Depth=2
                                        ; =>    This Inner Loop Header: Depth=3
	s_add_i32 s73, s73, 1
	s_cmpk_lg_i32 s73, 0x2710
	s_cselect_b32 s74, -1, 0
	s_and_b32 vcc_lo, exec_lo, s74
	s_cbranch_vccz .LBB6_8795
; %bb.8794:                             ;   in Loop: Header=BB6_8793 Depth=3
	s_mov_b32 s76, -1
	s_or_b32 s72, s72, exec_lo
	s_and_saveexec_b32 s75, s74
	s_cbranch_execz .LBB6_8792
	s_branch .LBB6_8796
	.p2align	6
.LBB6_8795:                             ;   in Loop: Header=BB6_8793 Depth=3
	s_trap 2
	ds_read_b64 v[4:5], v0
	s_andn2_b32 s74, s74, exec_lo
	s_mov_b32 s73, 0
	s_waitcnt lgkmcnt(0)
	s_waitcnt_vscnt null, 0x0
	flat_load_dword v1, v[4:5] glc dlc
	s_waitcnt vmcnt(0) lgkmcnt(0)
	buffer_gl1_inv
	buffer_gl0_inv
	v_cmp_eq_u32_e32 vcc_lo, 0, v1
	s_and_b32 s75, vcc_lo, exec_lo
	s_or_b32 s74, s74, s75
	s_mov_b32 s76, -1
	s_or_b32 s72, s72, exec_lo
	s_and_saveexec_b32 s75, s74
	s_cbranch_execz .LBB6_8792
.LBB6_8796:                             ;   in Loop: Header=BB6_8793 Depth=3
	s_sleep 1
	s_trap 2
	ds_read_b64 v[4:5], v0
	s_waitcnt lgkmcnt(0)
	buffer_gl0_inv
	s_andn2_b32 s72, s72, exec_lo
	v_cmp_ge_u64_e32 vcc_lo, v[4:5], v[70:71]
	s_orn2_b32 s76, vcc_lo, exec_lo
	s_branch .LBB6_8792
.LBB6_8797:                             ;   in Loop: Header=BB6_3207 Depth=2
	s_inst_prefetch 0x2
	s_or_b32 exec_lo, exec_lo, s22
	s_and_saveexec_b32 s22, s23
	s_xor_b32 s22, exec_lo, s22
	s_cbranch_execz .LBB6_8799
; %bb.8798:                             ;   in Loop: Header=BB6_3207 Depth=2
	ds_write_b32 v0, v57
	s_trap 2
.LBB6_8799:                             ;   in Loop: Header=BB6_3207 Depth=2
	s_or_b32 exec_lo, exec_lo, s19
	;;#ASMSTART
	s_wakeup
	;;#ASMEND
.LBB6_8800:                             ;   in Loop: Header=BB6_3207 Depth=2
	s_or_b32 exec_lo, exec_lo, s18
.LBB6_8801:                             ;   in Loop: Header=BB6_3207 Depth=2
	s_andn2_saveexec_b32 s17, s17
	s_cbranch_execz .LBB6_8803
; %bb.8802:                             ;   in Loop: Header=BB6_3207 Depth=2
	;;#ASMSTART
	s_waitcnt lgkmcnt(0) vmcnt(0)
	;;#ASMEND
	s_barrier
.LBB6_8803:                             ;   in Loop: Header=BB6_3207 Depth=2
	s_or_b32 exec_lo, exec_lo, s17
	v_and_b32_e32 v1, 16, v44
.LBB6_8804:                             ;   in Loop: Header=BB6_3207 Depth=2
	s_or_b32 exec_lo, exec_lo, s16
	v_cmp_ne_u32_e32 vcc_lo, 0, v1
	s_xor_b32 s16, s7, -1
	s_and_b32 s17, vcc_lo, s16
	s_and_saveexec_b32 s16, s17
	s_cbranch_execz .LBB6_8806
; %bb.8805:                             ;   in Loop: Header=BB6_3207 Depth=2
	s_waitcnt vmcnt(0) lgkmcnt(0)
	s_waitcnt_vscnt null, 0x0
	flat_store_dword v[68:69], v57
.LBB6_8806:                             ;   in Loop: Header=BB6_3207 Depth=2
	s_or_b32 exec_lo, exec_lo, s16
	v_and_b32_e32 v1, 48, v44
	s_mov_b32 s16, exec_lo
	v_cmpx_ne_u32_e32 0, v1
	s_cbranch_execnz .LBB6_8807
; %bb.9417:                             ;   in Loop: Header=BB6_3207 Depth=2
	s_getpc_b64 s[34:35]
.Lpost_getpc22:
	s_add_u32 s34, s34, (.LBB6_3206-.Lpost_getpc22)&4294967295
	s_addc_u32 s35, s35, (.LBB6_3206-.Lpost_getpc22)>>32
	s_setpc_b64 s[34:35]
.LBB6_8807:                             ;   in Loop: Header=BB6_3207 Depth=2
	v_add_co_u32 v96, vcc_lo, v96, 2
	v_add_co_ci_u32_e64 v97, null, 0, v97, vcc_lo
	s_waitcnt vmcnt(0) lgkmcnt(0)
	s_waitcnt_vscnt null, 0x0
	flat_store_dwordx2 v[64:65], v[96:97]
; %bb.9395:                             ;   in Loop: Header=BB6_3207 Depth=2
	s_getpc_b64 s[34:35]
.Lpost_getpc11:
	s_add_u32 s34, s34, (.LBB6_3206-.Lpost_getpc11)&4294967295
	s_addc_u32 s35, s35, (.LBB6_3206-.Lpost_getpc11)>>32
	s_setpc_b64 s[34:35]
.LBB6_8808:                             ;   in Loop: Header=BB6_47 Depth=1
	s_or_b32 exec_lo, exec_lo, s61
.LBB6_8809:                             ;   in Loop: Header=BB6_47 Depth=1
	s_or_b32 exec_lo, exec_lo, s21
	s_mov_b32 s17, exec_lo
	v_cmpx_gt_i32_e32 2, v1
	s_cbranch_execz .LBB6_8885
; %bb.8810:                             ;   in Loop: Header=BB6_47 Depth=1
	v_cmp_eq_u32_e64 s19, 0, v1
	s_mov_b32 s18, 0
	s_branch .LBB6_8812
.LBB6_8811:                             ;   in Loop: Header=BB6_8812 Depth=2
	s_or_b32 exec_lo, exec_lo, s16
	v_add_nc_u32_e32 v103, v100, v103
	s_mov_b32 s19, 0
	s_andn2_b32 exec_lo, exec_lo, s18
	s_cbranch_execz .LBB6_8884
.LBB6_8812:                             ;   Parent Loop BB6_47 Depth=1
                                        ; =>  This Loop Header: Depth=2
                                        ;       Child Loop BB6_8818 Depth 3
                                        ;       Child Loop BB6_8846 Depth 3
	;; [unrolled: 1-line block ×3, first 2 shown]
	v_sub_nc_u32_e32 v1, v3, v103
	v_and_b32_e32 v4, 12, v44
	s_mov_b32 s21, exec_lo
	v_min_i32_e32 v100, v100, v1
	v_cmpx_ne_u32_e32 0, v4
	s_cbranch_execz .LBB6_8838
; %bb.8813:                             ;   in Loop: Header=BB6_8812 Depth=2
	v_and_b32_e32 v1, 8, v44
	s_mov_b32 s22, exec_lo
	s_waitcnt vmcnt(0) lgkmcnt(1)
	v_add_co_u32 v4, vcc_lo, v80, v1
	v_add_co_ci_u32_e64 v5, null, 0, v81, vcc_lo
	v_add_co_u32 v8, vcc_lo, v96, 2
	v_add_co_ci_u32_e64 v9, null, 0, v97, vcc_lo
	v_cmpx_lt_u64_e64 v[4:5], v[8:9]
	s_cbranch_execz .LBB6_8825
; %bb.8814:                             ;   in Loop: Header=BB6_8812 Depth=2
	v_and_b32_e32 v4, 64, v44
	s_mov_b32 s23, 0
	s_mov_b32 s72, 0
                                        ; implicit-def: $sgpr61
                                        ; implicit-def: $sgpr62
                                        ; implicit-def: $sgpr63
	v_cmp_eq_u32_e32 vcc_lo, 0, v4
	s_branch .LBB6_8818
.LBB6_8815:                             ;   in Loop: Header=BB6_8818 Depth=3
	s_waitcnt vmcnt(0) lgkmcnt(0)
	v_add_co_u32 v10, s16, v80, v1
	v_add_co_ci_u32_e64 v11, null, 0, v81, s16
	s_or_b32 s75, s75, exec_lo
	v_cmp_ge_u64_e64 s16, v[10:11], v[8:9]
	s_orn2_b32 s74, s16, exec_lo
.LBB6_8816:                             ;   in Loop: Header=BB6_8818 Depth=3
	s_or_b32 exec_lo, exec_lo, s77
	s_andn2_b32 s16, s63, exec_lo
	s_and_b32 s63, s75, exec_lo
	s_andn2_b32 s62, s62, exec_lo
	s_and_b32 s74, s74, exec_lo
	s_or_b32 s63, s16, s63
	s_or_b32 s62, s62, s74
.LBB6_8817:                             ;   in Loop: Header=BB6_8818 Depth=3
	s_or_b32 exec_lo, exec_lo, s73
	s_and_b32 s16, exec_lo, s62
	s_or_b32 s23, s16, s23
	s_andn2_b32 s16, s61, exec_lo
	s_and_b32 s61, s63, exec_lo
	s_or_b32 s61, s16, s61
	s_andn2_b32 exec_lo, exec_lo, s23
	s_cbranch_execz .LBB6_8822
.LBB6_8818:                             ;   Parent Loop BB6_47 Depth=1
                                        ;     Parent Loop BB6_8812 Depth=2
                                        ; =>    This Inner Loop Header: Depth=3
	s_sleep 1
	s_waitcnt vmcnt(0) lgkmcnt(0)
	flat_load_dwordx2 v[80:81], v[64:65] glc dlc
	s_or_b32 s63, s63, exec_lo
	s_or_b32 s62, s62, exec_lo
                                        ; implicit-def: $vgpr4
	s_and_saveexec_b32 s73, vcc_lo
	s_cbranch_execz .LBB6_8817
; %bb.8819:                             ;   in Loop: Header=BB6_8818 Depth=3
	s_cmpk_lt_i32 s72, 0x270f
	s_mov_b32 s74, -1
	s_cselect_b32 s76, -1, 0
	s_cmpk_gt_i32 s72, 0x270e
	s_cbranch_scc0 .LBB6_8821
; %bb.8820:                             ;   in Loop: Header=BB6_8818 Depth=3
	s_trap 2
	ds_read_b64 v[4:5], v0
	s_andn2_b32 s72, s76, exec_lo
	s_mov_b32 s75, 0
	s_waitcnt vmcnt(0) lgkmcnt(0)
	s_waitcnt_vscnt null, 0x0
	flat_load_dword v4, v[4:5] glc dlc
	s_waitcnt vmcnt(0) lgkmcnt(0)
	buffer_gl1_inv
	buffer_gl0_inv
	v_cmp_eq_u32_e64 s16, 0, v4
	s_and_b32 s16, s16, exec_lo
	s_or_b32 s76, s72, s16
	s_mov_b32 s72, 0
	s_and_saveexec_b32 s77, s76
	s_cbranch_execz .LBB6_8816
	s_branch .LBB6_8815
.LBB6_8821:                             ;   in Loop: Header=BB6_8818 Depth=3
	s_add_i32 s72, s72, 1
	s_mov_b32 s75, -1
                                        ; implicit-def: $vgpr4
	s_and_saveexec_b32 s77, s76
	s_cbranch_execz .LBB6_8816
	s_branch .LBB6_8815
.LBB6_8822:                             ;   in Loop: Header=BB6_8812 Depth=2
	s_or_b32 exec_lo, exec_lo, s23
	s_xor_b32 s16, s61, -1
	s_and_saveexec_b32 s23, s16
	s_xor_b32 s16, exec_lo, s23
	s_cbranch_execz .LBB6_8824
; %bb.8823:                             ;   in Loop: Header=BB6_8812 Depth=2
	v_or_b32_e32 v44, 64, v44
	s_waitcnt vmcnt(0) lgkmcnt(0)
	s_waitcnt_vscnt null, 0x0
	ds_write_b32 v0, v4
	s_trap 2
.LBB6_8824:                             ;   in Loop: Header=BB6_8812 Depth=2
	s_or_b32 exec_lo, exec_lo, s16
.LBB6_8825:                             ;   in Loop: Header=BB6_8812 Depth=2
	s_or_b32 exec_lo, exec_lo, s22
	v_and_b32_e32 v4, 0x108, v44
	s_mov_b32 s16, exec_lo
	;;#ASMSTART
	s_wakeup
	;;#ASMEND
                                        ; implicit-def: $vgpr10_vgpr11
	v_cmpx_ne_u32_e32 0x108, v4
	s_xor_b32 s16, exec_lo, s16
; %bb.8826:                             ;   in Loop: Header=BB6_8812 Depth=2
	v_and_b32_e32 v10, 7, v96
	v_mov_b32_e32 v11, v2
                                        ; implicit-def: $vgpr96_vgpr97
; %bb.8827:                             ;   in Loop: Header=BB6_8812 Depth=2
	s_andn2_saveexec_b32 s16, s16
	s_cbranch_execz .LBB6_8829
; %bb.8828:                             ;   in Loop: Header=BB6_8812 Depth=2
	v_and_b32_e32 v10, 7, v96
	v_ashrrev_i32_e32 v101, 31, v100
	v_mov_b32_e32 v11, v2
	v_mad_u64_u32 v[4:5], null, v10, 24, v[6:7]
	flat_store_dwordx2 v[4:5], v[100:101] offset:8
.LBB6_8829:                             ;   in Loop: Header=BB6_8812 Depth=2
	s_or_b32 exec_lo, exec_lo, s16
	v_and_b32_e32 v4, 0x100, v44
	s_mov_b32 s16, -1
	s_mov_b32 s22, exec_lo
                                        ; implicit-def: $vgpr12_vgpr13
	v_cmpx_ne_u32_e32 0, v4
	s_cbranch_execz .LBB6_8833
; %bb.8830:                             ;   in Loop: Header=BB6_8812 Depth=2
	v_mad_u64_u32 v[14:15], null, v10, 24, v[6:7]
	s_mov_b32 s23, exec_lo
                                        ; implicit-def: $vgpr12_vgpr13
	v_mov_b32_e32 v4, v15
	v_mad_u64_u32 v[4:5], null, v11, 24, v[4:5]
	v_mov_b32_e32 v15, v4
	flat_load_dword v4, v[14:15]
	s_waitcnt vmcnt(0) lgkmcnt(0)
	v_cmp_ne_u32_e32 vcc_lo, 1, v4
	v_cmpx_eq_u32_e32 1, v4
	s_cbranch_execz .LBB6_8832
; %bb.8831:                             ;   in Loop: Header=BB6_8812 Depth=2
	flat_load_dword v12, v[14:15] offset:4 glc dlc
	s_waitcnt vmcnt(0) lgkmcnt(0)
	v_ashrrev_i32_e32 v13, 31, v12
.LBB6_8832:                             ;   in Loop: Header=BB6_8812 Depth=2
	s_or_b32 exec_lo, exec_lo, s23
	s_orn2_b32 s16, vcc_lo, exec_lo
.LBB6_8833:                             ;   in Loop: Header=BB6_8812 Depth=2
	s_or_b32 exec_lo, exec_lo, s22
	s_and_saveexec_b32 s22, s16
	s_cbranch_execz .LBB6_8835
; %bb.8834:                             ;   in Loop: Header=BB6_8812 Depth=2
	v_ashrrev_i32_e32 v5, 31, v45
	v_mul_lo_u32 v4, v11, v45
	v_mad_u64_u32 v[12:13], null, v10, v45, 0
	v_mul_lo_u32 v5, v10, v5
	v_add3_u32 v13, v13, v5, v4
.LBB6_8835:                             ;   in Loop: Header=BB6_8812 Depth=2
	s_or_b32 exec_lo, exec_lo, s22
	v_cmp_eq_u32_e32 vcc_lo, 0, v1
	v_mov_b32_e32 v1, 0x90
	v_and_b32_e32 v10, 0x2000, v44
	s_mov_b32 s16, exec_lo
	v_cndmask_b32_e32 v1, 0xd0, v1, vcc_lo
	v_add_co_u32 v4, vcc_lo, v66, v12
	v_add_co_ci_u32_e64 v5, null, v67, v13, vcc_lo
	v_add_nc_u32_e32 v1, v0, v1
	ds_write_b64 v1, v[4:5] offset:584
	v_cmpx_ne_u32_e32 0, v10
	s_cbranch_execz .LBB6_8837
; %bb.8836:                             ;   in Loop: Header=BB6_8812 Depth=2
	ds_read_b64 v[4:5], v0 offset:872
	s_waitcnt lgkmcnt(0)
	v_add_co_u32 v4, vcc_lo, v4, 1
	v_add_co_ci_u32_e64 v5, null, 0, v5, vcc_lo
	ds_write_b64 v0, v[4:5] offset:872
.LBB6_8837:                             ;   in Loop: Header=BB6_8812 Depth=2
	s_or_b32 exec_lo, exec_lo, s16
	v_mov_b32_e32 v97, v9
	v_mov_b32_e32 v96, v8
.LBB6_8838:                             ;   in Loop: Header=BB6_8812 Depth=2
	s_or_b32 exec_lo, exec_lo, s21
	s_xor_b32 s16, s19, -1
	s_and_b32 s16, exec_lo, s16
	s_or_b32 s18, s16, s18
	s_and_saveexec_b32 s16, s6
	s_cbranch_execz .LBB6_8857
; %bb.8839:                             ;   in Loop: Header=BB6_8812 Depth=2
	s_and_saveexec_b32 s19, s29
	s_xor_b32 s19, exec_lo, s19
	s_cbranch_execz .LBB6_8854
; %bb.8840:                             ;   in Loop: Header=BB6_8812 Depth=2
	s_and_saveexec_b32 s21, s11
	s_cbranch_execz .LBB6_8853
; %bb.8841:                             ;   in Loop: Header=BB6_8812 Depth=2
	s_mov_b32 s23, exec_lo
	s_mov_b32 s22, exec_lo
	v_mbcnt_lo_u32_b32 v1, s23, 0
	s_waitcnt vmcnt(0) lgkmcnt(0)
	s_waitcnt_vscnt null, 0x0
	buffer_gl1_inv
	buffer_gl0_inv
	v_cmpx_eq_u32_e32 0, v1
	s_cbranch_execz .LBB6_8843
; %bb.8842:                             ;   in Loop: Header=BB6_8812 Depth=2
	s_bcnt1_i32_b32 s23, s23
	v_mov_b32_e32 v5, v2
	v_mov_b32_e32 v4, s23
	ds_add_u64 v0, v[4:5]
	s_trap 2
.LBB6_8843:                             ;   in Loop: Header=BB6_8812 Depth=2
	s_or_b32 exec_lo, exec_lo, s22
	s_trap 2
	ds_read_b64 v[4:5], v0
	s_waitcnt lgkmcnt(0)
	buffer_gl0_inv
	v_add_co_u32 v70, vcc_lo, v70, v47
	v_add_co_ci_u32_e64 v71, null, 0, v71, vcc_lo
	s_mov_b32 s22, exec_lo
	v_cmpx_lt_u64_e64 v[4:5], v[70:71]
	s_cbranch_execz .LBB6_8852
; %bb.8844:                             ;   in Loop: Header=BB6_8812 Depth=2
	s_mov_b32 s23, 0
	s_mov_b32 s63, 0
                                        ; implicit-def: $sgpr61
                                        ; implicit-def: $sgpr62
	s_inst_prefetch 0x1
	s_branch .LBB6_8846
	.p2align	6
.LBB6_8845:                             ;   in Loop: Header=BB6_8846 Depth=3
	s_or_b32 exec_lo, exec_lo, s73
	s_and_b32 s72, exec_lo, s74
	s_or_b32 s23, s72, s23
	s_andn2_b32 s61, s61, exec_lo
	s_and_b32 s72, s62, exec_lo
	s_or_b32 s61, s61, s72
	s_andn2_b32 exec_lo, exec_lo, s23
	s_cbranch_execz .LBB6_8850
.LBB6_8846:                             ;   Parent Loop BB6_47 Depth=1
                                        ;     Parent Loop BB6_8812 Depth=2
                                        ; =>    This Inner Loop Header: Depth=3
	s_add_i32 s63, s63, 1
	s_cmpk_lg_i32 s63, 0x2710
	s_cselect_b32 s72, -1, 0
	s_and_b32 vcc_lo, exec_lo, s72
	s_cbranch_vccz .LBB6_8848
; %bb.8847:                             ;   in Loop: Header=BB6_8846 Depth=3
	s_mov_b32 s74, -1
	s_or_b32 s62, s62, exec_lo
	s_and_saveexec_b32 s73, s72
	s_cbranch_execz .LBB6_8845
	s_branch .LBB6_8849
	.p2align	6
.LBB6_8848:                             ;   in Loop: Header=BB6_8846 Depth=3
	s_trap 2
	ds_read_b64 v[4:5], v0
	s_andn2_b32 s72, s72, exec_lo
	s_mov_b32 s63, 0
	s_waitcnt lgkmcnt(0)
	flat_load_dword v1, v[4:5] glc dlc
	s_waitcnt vmcnt(0) lgkmcnt(0)
	buffer_gl1_inv
	buffer_gl0_inv
	v_cmp_eq_u32_e32 vcc_lo, 0, v1
	s_and_b32 s73, vcc_lo, exec_lo
	s_or_b32 s72, s72, s73
	s_mov_b32 s74, -1
	s_or_b32 s62, s62, exec_lo
	s_and_saveexec_b32 s73, s72
	s_cbranch_execz .LBB6_8845
.LBB6_8849:                             ;   in Loop: Header=BB6_8846 Depth=3
	s_sleep 1
	s_trap 2
	ds_read_b64 v[4:5], v0
	s_waitcnt lgkmcnt(0)
	buffer_gl0_inv
	s_andn2_b32 s62, s62, exec_lo
	v_cmp_ge_u64_e32 vcc_lo, v[4:5], v[70:71]
	s_orn2_b32 s74, vcc_lo, exec_lo
	s_branch .LBB6_8845
.LBB6_8850:                             ;   in Loop: Header=BB6_8812 Depth=2
	s_inst_prefetch 0x2
	s_or_b32 exec_lo, exec_lo, s23
	s_and_saveexec_b32 s23, s61
	s_xor_b32 s23, exec_lo, s23
	s_cbranch_execz .LBB6_8852
; %bb.8851:                             ;   in Loop: Header=BB6_8812 Depth=2
	ds_write_b32 v0, v57
	s_trap 2
.LBB6_8852:                             ;   in Loop: Header=BB6_8812 Depth=2
	s_or_b32 exec_lo, exec_lo, s22
	;;#ASMSTART
	s_wakeup
	;;#ASMEND
.LBB6_8853:                             ;   in Loop: Header=BB6_8812 Depth=2
	s_or_b32 exec_lo, exec_lo, s21
.LBB6_8854:                             ;   in Loop: Header=BB6_8812 Depth=2
	s_andn2_saveexec_b32 s19, s19
	s_cbranch_execz .LBB6_8856
; %bb.8855:                             ;   in Loop: Header=BB6_8812 Depth=2
	s_waitcnt vmcnt(0) lgkmcnt(0)
	s_waitcnt_vscnt null, 0x0
	buffer_gl1_inv
	buffer_gl0_inv
	s_barrier
.LBB6_8856:                             ;   in Loop: Header=BB6_8812 Depth=2
	s_or_b32 exec_lo, exec_lo, s19
.LBB6_8857:                             ;   in Loop: Header=BB6_8812 Depth=2
	s_or_b32 exec_lo, exec_lo, s16
                                        ; implicit-def: $vgpr1
	s_and_saveexec_b32 s16, s13
	s_xor_b32 s19, exec_lo, s16
	s_cbranch_execz .LBB6_8861
; %bb.8858:                             ;   in Loop: Header=BB6_8812 Depth=2
	s_trap 2
	ds_read_b32 v1, v0
	v_cmp_lt_i32_e32 vcc_lo, 0, v100
	s_waitcnt lgkmcnt(0)
	v_readfirstlane_b32 s16, v1
	v_and_b32_e32 v1, 16, v44
	s_cmp_eq_u32 s16, 0
	v_cmp_ne_u32_e64 s16, 0, v1
	s_cselect_b32 s21, -1, 0
	v_and_b32_e32 v1, 16, v44
	s_and_b32 s21, vcc_lo, s21
	s_and_b32 s21, s16, s21
	s_and_saveexec_b32 s16, s21
	s_cbranch_execz .LBB6_8860
; %bb.8859:                             ;   in Loop: Header=BB6_8812 Depth=2
	v_mov_b32_e32 v1, 1
	s_waitcnt vmcnt(0)
	s_waitcnt_vscnt null, 0x0
	buffer_gl1_inv
	buffer_gl0_inv
.LBB6_8860:                             ;   in Loop: Header=BB6_8812 Depth=2
	s_or_b32 exec_lo, exec_lo, s16
	s_andn2_saveexec_b32 s16, s19
	s_cbranch_execz .LBB6_8880
	s_branch .LBB6_8862
.LBB6_8861:                             ;   in Loop: Header=BB6_8812 Depth=2
	s_andn2_saveexec_b32 s16, s19
	s_cbranch_execz .LBB6_8880
.LBB6_8862:                             ;   in Loop: Header=BB6_8812 Depth=2
	s_and_saveexec_b32 s19, s29
	s_xor_b32 s19, exec_lo, s19
	s_cbranch_execz .LBB6_8877
; %bb.8863:                             ;   in Loop: Header=BB6_8812 Depth=2
	s_and_saveexec_b32 s21, s11
	s_cbranch_execz .LBB6_8876
; %bb.8864:                             ;   in Loop: Header=BB6_8812 Depth=2
	s_mov_b32 s23, exec_lo
	s_mov_b32 s22, exec_lo
	v_mbcnt_lo_u32_b32 v1, s23, 0
	;;#ASMSTART
	s_waitcnt lgkmcnt(0) vmcnt(0)
	;;#ASMEND
	v_cmpx_eq_u32_e32 0, v1
	s_cbranch_execz .LBB6_8866
; %bb.8865:                             ;   in Loop: Header=BB6_8812 Depth=2
	s_bcnt1_i32_b32 s23, s23
	v_mov_b32_e32 v5, v2
	v_mov_b32_e32 v4, s23
	s_waitcnt vmcnt(0) lgkmcnt(0)
	s_waitcnt_vscnt null, 0x0
	ds_add_u64 v0, v[4:5]
	s_trap 2
.LBB6_8866:                             ;   in Loop: Header=BB6_8812 Depth=2
	s_or_b32 exec_lo, exec_lo, s22
	s_trap 2
	ds_read_b64 v[4:5], v0
	s_waitcnt vmcnt(0) lgkmcnt(0)
	buffer_gl0_inv
	v_add_co_u32 v70, vcc_lo, v70, v47
	v_add_co_ci_u32_e64 v71, null, 0, v71, vcc_lo
	s_mov_b32 s22, exec_lo
	v_cmpx_lt_u64_e64 v[4:5], v[70:71]
	s_cbranch_execz .LBB6_8875
; %bb.8867:                             ;   in Loop: Header=BB6_8812 Depth=2
	s_mov_b32 s23, 0
	s_mov_b32 s63, 0
                                        ; implicit-def: $sgpr61
                                        ; implicit-def: $sgpr62
	s_inst_prefetch 0x1
	s_branch .LBB6_8869
	.p2align	6
.LBB6_8868:                             ;   in Loop: Header=BB6_8869 Depth=3
	s_or_b32 exec_lo, exec_lo, s73
	s_and_b32 s72, exec_lo, s74
	s_or_b32 s23, s72, s23
	s_andn2_b32 s61, s61, exec_lo
	s_and_b32 s72, s62, exec_lo
	s_or_b32 s61, s61, s72
	s_andn2_b32 exec_lo, exec_lo, s23
	s_cbranch_execz .LBB6_8873
.LBB6_8869:                             ;   Parent Loop BB6_47 Depth=1
                                        ;     Parent Loop BB6_8812 Depth=2
                                        ; =>    This Inner Loop Header: Depth=3
	s_add_i32 s63, s63, 1
	s_cmpk_lg_i32 s63, 0x2710
	s_cselect_b32 s72, -1, 0
	s_and_b32 vcc_lo, exec_lo, s72
	s_cbranch_vccz .LBB6_8871
; %bb.8870:                             ;   in Loop: Header=BB6_8869 Depth=3
	s_mov_b32 s74, -1
	s_or_b32 s62, s62, exec_lo
	s_and_saveexec_b32 s73, s72
	s_cbranch_execz .LBB6_8868
	s_branch .LBB6_8872
	.p2align	6
.LBB6_8871:                             ;   in Loop: Header=BB6_8869 Depth=3
	s_trap 2
	ds_read_b64 v[4:5], v0
	s_andn2_b32 s72, s72, exec_lo
	s_mov_b32 s63, 0
	s_waitcnt lgkmcnt(0)
	s_waitcnt_vscnt null, 0x0
	flat_load_dword v1, v[4:5] glc dlc
	s_waitcnt vmcnt(0) lgkmcnt(0)
	buffer_gl1_inv
	buffer_gl0_inv
	v_cmp_eq_u32_e32 vcc_lo, 0, v1
	s_and_b32 s73, vcc_lo, exec_lo
	s_or_b32 s72, s72, s73
	s_mov_b32 s74, -1
	s_or_b32 s62, s62, exec_lo
	s_and_saveexec_b32 s73, s72
	s_cbranch_execz .LBB6_8868
.LBB6_8872:                             ;   in Loop: Header=BB6_8869 Depth=3
	s_sleep 1
	s_trap 2
	ds_read_b64 v[4:5], v0
	s_waitcnt lgkmcnt(0)
	buffer_gl0_inv
	s_andn2_b32 s62, s62, exec_lo
	v_cmp_ge_u64_e32 vcc_lo, v[4:5], v[70:71]
	s_orn2_b32 s74, vcc_lo, exec_lo
	s_branch .LBB6_8868
.LBB6_8873:                             ;   in Loop: Header=BB6_8812 Depth=2
	s_inst_prefetch 0x2
	s_or_b32 exec_lo, exec_lo, s23
	s_and_saveexec_b32 s23, s61
	s_xor_b32 s23, exec_lo, s23
	s_cbranch_execz .LBB6_8875
; %bb.8874:                             ;   in Loop: Header=BB6_8812 Depth=2
	ds_write_b32 v0, v57
	s_trap 2
.LBB6_8875:                             ;   in Loop: Header=BB6_8812 Depth=2
	s_or_b32 exec_lo, exec_lo, s22
	;;#ASMSTART
	s_wakeup
	;;#ASMEND
.LBB6_8876:                             ;   in Loop: Header=BB6_8812 Depth=2
	s_or_b32 exec_lo, exec_lo, s21
.LBB6_8877:                             ;   in Loop: Header=BB6_8812 Depth=2
	s_andn2_saveexec_b32 s19, s19
	s_cbranch_execz .LBB6_8879
; %bb.8878:                             ;   in Loop: Header=BB6_8812 Depth=2
	;;#ASMSTART
	s_waitcnt lgkmcnt(0) vmcnt(0)
	;;#ASMEND
	s_barrier
.LBB6_8879:                             ;   in Loop: Header=BB6_8812 Depth=2
	s_or_b32 exec_lo, exec_lo, s19
	v_and_b32_e32 v1, 16, v44
.LBB6_8880:                             ;   in Loop: Header=BB6_8812 Depth=2
	s_or_b32 exec_lo, exec_lo, s16
	v_cmp_ne_u32_e32 vcc_lo, 0, v1
	s_xor_b32 s16, s7, -1
	s_and_b32 s19, vcc_lo, s16
	s_and_saveexec_b32 s16, s19
	s_cbranch_execz .LBB6_8882
; %bb.8881:                             ;   in Loop: Header=BB6_8812 Depth=2
	s_waitcnt vmcnt(0) lgkmcnt(0)
	s_waitcnt_vscnt null, 0x0
	flat_store_dword v[68:69], v57
.LBB6_8882:                             ;   in Loop: Header=BB6_8812 Depth=2
	s_or_b32 exec_lo, exec_lo, s16
	v_and_b32_e32 v1, 48, v44
	s_mov_b32 s16, exec_lo
	v_cmpx_ne_u32_e32 0, v1
	s_cbranch_execz .LBB6_8811
; %bb.8883:                             ;   in Loop: Header=BB6_8812 Depth=2
	v_add_co_u32 v96, vcc_lo, v96, 2
	v_add_co_ci_u32_e64 v97, null, 0, v97, vcc_lo
	s_waitcnt vmcnt(0) lgkmcnt(0)
	s_waitcnt_vscnt null, 0x0
	flat_store_dwordx2 v[64:65], v[96:97]
	s_branch .LBB6_8811
.LBB6_8884:                             ;   in Loop: Header=BB6_47 Depth=1
	s_or_b32 exec_lo, exec_lo, s18
.LBB6_8885:                             ;   in Loop: Header=BB6_47 Depth=1
	s_or_b32 exec_lo, exec_lo, s17
	buffer_load_dword v100, off, s[0:3], s33 offset:204 ; 4-byte Folded Reload
	v_ashrrev_i32_e32 v102, 31, v45
	v_mov_b32_e32 v103, 0x88
	v_add_nc_u32_e32 v99, 0xfffffe00, v75
	s_andn2_b32 vcc_lo, exec_lo, s46
	s_cbranch_vccnz .LBB6_9146
; %bb.8886:                             ;   in Loop: Header=BB6_47 Depth=1
	s_mov_b32 s21, 1
.LBB6_8887:                             ;   Parent Loop BB6_47 Depth=1
                                        ; =>  This Loop Header: Depth=2
                                        ;       Child Loop BB6_8890 Depth 3
                                        ;         Child Loop BB6_8898 Depth 4
                                        ;         Child Loop BB6_8926 Depth 4
	;; [unrolled: 1-line block ×5, first 2 shown]
                                        ;           Child Loop BB6_8978 Depth 5
                                        ;         Child Loop BB6_8987 Depth 4
                                        ;         Child Loop BB6_8992 Depth 4
                                        ;           Child Loop BB6_8993 Depth 5
                                        ;         Child Loop BB6_9005 Depth 4
                                        ;         Child Loop BB6_9010 Depth 4
	;; [unrolled: 1-line block ×6, first 2 shown]
                                        ;       Child Loop BB6_9071 Depth 3
                                        ;         Child Loop BB6_9077 Depth 4
                                        ;         Child Loop BB6_9105 Depth 4
	;; [unrolled: 1-line block ×3, first 2 shown]
	s_clause 0x1
	buffer_load_dword v10, off, s[0:3], s33 offset:216
	buffer_load_dword v11, off, s[0:3], s33 offset:220
	s_sub_i32 s16, s42, s21
	s_mov_b32 s62, 0
	s_cmp_ge_i32 s16, s25
	s_cselect_b32 s17, s25, 0
	s_sub_i32 s16, s16, s17
	s_ashr_i32 s17, s16, 31
	s_waitcnt vmcnt(1)
	v_mad_u64_u32 v[8:9], null, v10, s16, 0
	s_waitcnt vmcnt(0)
	v_mul_lo_u32 v1, v11, s16
	v_mul_lo_u32 v3, v10, s17
	v_add3_u32 v9, v9, v3, v1
	s_clause 0x1
	buffer_load_dword v3, off, s[0:3], s33 offset:208
	buffer_load_dword v4, off, s[0:3], s33 offset:212
	s_waitcnt vmcnt(1)
	v_sub_co_u32 v3, vcc_lo, v3, v8
	s_waitcnt vmcnt(0)
	v_sub_co_ci_u32_e64 v4, null, v4, v9, vcc_lo
	v_cmp_lt_i64_e32 vcc_lo, v[10:11], v[3:4]
	v_cndmask_b32_e32 v3, v3, v10, vcc_lo
	v_mov_b32_e32 v10, 0
	v_max_i32_e32 v1, 0, v3
	v_cmp_lt_i32_e32 vcc_lo, 0, v3
	v_mov_b32_e32 v3, 0
	v_add_nc_u32_e32 v4, 31, v1
	s_and_b32 s16, s57, vcc_lo
	v_lshrrev_b32_e32 v4, 1, v4
	v_and_b32_e32 v4, 0x3ffffff0, v4
	v_max_i32_e32 v12, s45, v4
	s_and_saveexec_b32 s61, s16
	s_cbranch_execz .LBB6_9068
; %bb.8888:                             ;   in Loop: Header=BB6_8887 Depth=2
	buffer_load_dword v3, off, s[0:3], s33 offset:192 ; 4-byte Folded Reload
	s_mov_b32 s72, 1
	s_mov_b32 s63, -1
	s_waitcnt vmcnt(0)
	v_add_co_u32 v4, vcc_lo, v8, v3
	buffer_load_dword v3, off, s[0:3], s33 offset:196 ; 4-byte Folded Reload
	s_waitcnt vmcnt(0)
	v_add_co_ci_u32_e64 v5, null, v9, v3, vcc_lo
	v_mov_b32_e32 v3, 0
	s_branch .LBB6_8890
.LBB6_8889:                             ;   in Loop: Header=BB6_8890 Depth=3
	s_or_b32 exec_lo, exec_lo, s16
	v_add_nc_u32_e32 v3, v12, v3
	s_xor_b32 s16, s63, -1
	v_mov_b32_e32 v10, s72
	s_mov_b32 s63, 0
	s_mov_b32 s72, 2
	v_cmp_ge_i32_e32 vcc_lo, v3, v1
	s_or_b32 s16, s16, vcc_lo
	s_and_b32 s16, exec_lo, s16
	s_or_b32 s62, s16, s62
	s_andn2_b32 exec_lo, exec_lo, s62
	s_cbranch_execz .LBB6_9067
.LBB6_8890:                             ;   Parent Loop BB6_47 Depth=1
                                        ;     Parent Loop BB6_8887 Depth=2
                                        ; =>    This Loop Header: Depth=3
                                        ;         Child Loop BB6_8898 Depth 4
                                        ;         Child Loop BB6_8926 Depth 4
	;; [unrolled: 1-line block ×5, first 2 shown]
                                        ;           Child Loop BB6_8978 Depth 5
                                        ;         Child Loop BB6_8987 Depth 4
                                        ;         Child Loop BB6_8992 Depth 4
                                        ;           Child Loop BB6_8993 Depth 5
                                        ;         Child Loop BB6_9005 Depth 4
                                        ;         Child Loop BB6_9010 Depth 4
	;; [unrolled: 1-line block ×6, first 2 shown]
	s_and_saveexec_b32 s17, s4
	s_cbranch_execz .LBB6_8892
; %bb.8891:                             ;   in Loop: Header=BB6_8890 Depth=3
	s_trap 2
	ds_read_b128 v[8:11], v0
	v_ashrrev_i32_e32 v13, 31, v3
	s_waitcnt lgkmcnt(0)
	v_add_co_u32 v14, vcc_lo, v10, v4
	v_add_co_ci_u32_e64 v15, null, v11, v5, vcc_lo
	v_add_co_u32 v8, vcc_lo, v8, v4
	v_add_co_ci_u32_e64 v9, null, v9, v5, vcc_lo
	;; [unrolled: 2-line block ×3, first 2 shown]
	v_cmp_ne_u64_e32 vcc_lo, 0, v[10:11]
	v_add_co_u32 v8, s16, v8, v3
	v_add_co_ci_u32_e64 v9, null, v9, v13, s16
	v_cndmask_b32_e32 v11, 0, v15, vcc_lo
	v_cndmask_b32_e32 v10, 0, v14, vcc_lo
	ds_write_b64 v0, v[8:9]
	ds_write_b64 v0, v[10:11]
.LBB6_8892:                             ;   in Loop: Header=BB6_8890 Depth=3
	s_or_b32 exec_lo, exec_lo, s17
	v_sub_nc_u32_e32 v8, v1, v3
	v_and_b32_e32 v9, 12, v44
	s_mov_b32 s17, exec_lo
	v_min_i32_e32 v12, v12, v8
	v_cmpx_ne_u32_e32 0, v9
	s_cbranch_execz .LBB6_8918
; %bb.8893:                             ;   in Loop: Header=BB6_8890 Depth=3
	v_and_b32_e32 v17, 8, v44
	s_mov_b32 s18, exec_lo
	s_waitcnt vmcnt(0) lgkmcnt(1)
	v_add_co_u32 v10, vcc_lo, v80, v17
	v_add_co_ci_u32_e64 v11, null, 0, v81, vcc_lo
	v_add_co_u32 v8, vcc_lo, v96, 2
	v_add_co_ci_u32_e64 v9, null, 0, v97, vcc_lo
	v_cmpx_lt_u64_e64 v[10:11], v[8:9]
	s_cbranch_execz .LBB6_8905
; %bb.8894:                             ;   in Loop: Header=BB6_8890 Depth=3
	v_and_b32_e32 v10, 64, v44
	s_mov_b32 s19, 0
	s_mov_b32 s74, 0
                                        ; implicit-def: $sgpr22
                                        ; implicit-def: $sgpr23
                                        ; implicit-def: $sgpr73
	v_cmp_eq_u32_e32 vcc_lo, 0, v10
	s_branch .LBB6_8898
.LBB6_8895:                             ;   in Loop: Header=BB6_8898 Depth=4
	s_waitcnt vmcnt(0) lgkmcnt(0)
	v_add_co_u32 v13, s16, v80, v17
	v_add_co_ci_u32_e64 v14, null, 0, v81, s16
	s_or_b32 s77, s77, exec_lo
	v_cmp_ge_u64_e64 s16, v[13:14], v[8:9]
	s_orn2_b32 s76, s16, exec_lo
.LBB6_8896:                             ;   in Loop: Header=BB6_8898 Depth=4
	s_or_b32 exec_lo, exec_lo, s79
	s_andn2_b32 s16, s73, exec_lo
	s_and_b32 s73, s77, exec_lo
	s_andn2_b32 s23, s23, exec_lo
	s_and_b32 s76, s76, exec_lo
	s_or_b32 s73, s16, s73
	s_or_b32 s23, s23, s76
.LBB6_8897:                             ;   in Loop: Header=BB6_8898 Depth=4
	s_or_b32 exec_lo, exec_lo, s75
	s_and_b32 s16, exec_lo, s23
	s_or_b32 s19, s16, s19
	s_andn2_b32 s16, s22, exec_lo
	s_and_b32 s22, s73, exec_lo
	s_or_b32 s22, s16, s22
	s_andn2_b32 exec_lo, exec_lo, s19
	s_cbranch_execz .LBB6_8902
.LBB6_8898:                             ;   Parent Loop BB6_47 Depth=1
                                        ;     Parent Loop BB6_8887 Depth=2
                                        ;       Parent Loop BB6_8890 Depth=3
                                        ; =>      This Inner Loop Header: Depth=4
	s_sleep 1
	s_waitcnt vmcnt(0) lgkmcnt(0)
	flat_load_dwordx2 v[80:81], v[64:65] glc dlc
	s_or_b32 s73, s73, exec_lo
	s_or_b32 s23, s23, exec_lo
                                        ; implicit-def: $vgpr10
	s_and_saveexec_b32 s75, vcc_lo
	s_cbranch_execz .LBB6_8897
; %bb.8899:                             ;   in Loop: Header=BB6_8898 Depth=4
	s_cmpk_lt_i32 s74, 0x270f
	s_mov_b32 s76, -1
	s_cselect_b32 s78, -1, 0
	s_cmpk_gt_i32 s74, 0x270e
	s_cbranch_scc0 .LBB6_8901
; %bb.8900:                             ;   in Loop: Header=BB6_8898 Depth=4
	s_trap 2
	ds_read_b64 v[10:11], v0
	s_andn2_b32 s74, s78, exec_lo
	s_mov_b32 s77, 0
	s_waitcnt vmcnt(0) lgkmcnt(0)
	s_waitcnt_vscnt null, 0x0
	flat_load_dword v10, v[10:11] glc dlc
	s_waitcnt vmcnt(0) lgkmcnt(0)
	buffer_gl1_inv
	buffer_gl0_inv
	v_cmp_eq_u32_e64 s16, 0, v10
	s_and_b32 s16, s16, exec_lo
	s_or_b32 s78, s74, s16
	s_mov_b32 s74, 0
	s_and_saveexec_b32 s79, s78
	s_cbranch_execz .LBB6_8896
	s_branch .LBB6_8895
.LBB6_8901:                             ;   in Loop: Header=BB6_8898 Depth=4
	s_add_i32 s74, s74, 1
	s_mov_b32 s77, -1
                                        ; implicit-def: $vgpr10
	s_and_saveexec_b32 s79, s78
	s_cbranch_execz .LBB6_8896
	s_branch .LBB6_8895
.LBB6_8902:                             ;   in Loop: Header=BB6_8890 Depth=3
	s_or_b32 exec_lo, exec_lo, s19
	s_xor_b32 s16, s22, -1
	s_and_saveexec_b32 s19, s16
	s_xor_b32 s16, exec_lo, s19
	s_cbranch_execz .LBB6_8904
; %bb.8903:                             ;   in Loop: Header=BB6_8890 Depth=3
	v_or_b32_e32 v44, 64, v44
	s_waitcnt vmcnt(0) lgkmcnt(0)
	s_waitcnt_vscnt null, 0x0
	ds_write_b32 v0, v10
	s_trap 2
.LBB6_8904:                             ;   in Loop: Header=BB6_8890 Depth=3
	s_or_b32 exec_lo, exec_lo, s16
.LBB6_8905:                             ;   in Loop: Header=BB6_8890 Depth=3
	s_or_b32 exec_lo, exec_lo, s18
	v_and_b32_e32 v10, 0x108, v44
	;;#ASMSTART
	s_wakeup
	;;#ASMEND
	v_cmp_ne_u32_e32 vcc_lo, 0x108, v10
                                        ; implicit-def: $vgpr10_vgpr11
	s_and_saveexec_b32 s16, vcc_lo
	s_xor_b32 s16, exec_lo, s16
; %bb.8906:                             ;   in Loop: Header=BB6_8890 Depth=3
	v_and_b32_e32 v10, 7, v96
	v_mov_b32_e32 v11, v2
                                        ; implicit-def: $vgpr96_vgpr97
; %bb.8907:                             ;   in Loop: Header=BB6_8890 Depth=3
	s_andn2_saveexec_b32 s16, s16
	s_cbranch_execz .LBB6_8909
; %bb.8908:                             ;   in Loop: Header=BB6_8890 Depth=3
	v_and_b32_e32 v10, 7, v96
	v_ashrrev_i32_e32 v13, 31, v12
	v_mov_b32_e32 v11, v2
	v_mad_u64_u32 v[14:15], null, v10, 24, v[6:7]
	flat_store_dwordx2 v[14:15], v[12:13] offset:8
.LBB6_8909:                             ;   in Loop: Header=BB6_8890 Depth=3
	s_or_b32 exec_lo, exec_lo, s16
	v_and_b32_e32 v13, 0x100, v44
	s_mov_b32 s16, -1
	v_cmp_ne_u32_e32 vcc_lo, 0, v13
                                        ; implicit-def: $vgpr13_vgpr14
	s_and_saveexec_b32 s18, vcc_lo
	s_cbranch_execz .LBB6_8913
; %bb.8910:                             ;   in Loop: Header=BB6_8890 Depth=3
	v_mad_u64_u32 v[15:16], null, v10, 24, v[6:7]
	v_mov_b32_e32 v13, v16
	v_mad_u64_u32 v[13:14], null, v11, 24, v[13:14]
	v_mov_b32_e32 v16, v13
	flat_load_dword v13, v[15:16]
	s_waitcnt vmcnt(0) lgkmcnt(0)
	v_cmp_eq_u32_e64 s16, 1, v13
	v_cmp_ne_u32_e32 vcc_lo, 1, v13
                                        ; implicit-def: $vgpr13_vgpr14
	s_and_saveexec_b32 s19, s16
	s_cbranch_execz .LBB6_8912
; %bb.8911:                             ;   in Loop: Header=BB6_8890 Depth=3
	flat_load_dword v13, v[15:16] offset:4 glc dlc
	s_waitcnt vmcnt(0) lgkmcnt(0)
	v_ashrrev_i32_e32 v14, 31, v13
.LBB6_8912:                             ;   in Loop: Header=BB6_8890 Depth=3
	s_or_b32 exec_lo, exec_lo, s19
	s_orn2_b32 s16, vcc_lo, exec_lo
.LBB6_8913:                             ;   in Loop: Header=BB6_8890 Depth=3
	s_or_b32 exec_lo, exec_lo, s18
	s_and_saveexec_b32 s18, s16
; %bb.8914:                             ;   in Loop: Header=BB6_8890 Depth=3
	v_mul_lo_u32 v11, v11, v45
	v_mul_lo_u32 v15, v10, v102
	v_mad_u64_u32 v[13:14], null, v10, v45, 0
	v_add3_u32 v14, v14, v15, v11
; %bb.8915:                             ;   in Loop: Header=BB6_8890 Depth=3
	s_or_b32 exec_lo, exec_lo, s18
	v_cmp_eq_u32_e32 vcc_lo, 0, v17
	v_and_b32_e32 v16, 0x2000, v44
	s_mov_b32 s16, exec_lo
	v_cndmask_b32_e32 v15, 0xd0, v103, vcc_lo
	v_add_co_u32 v10, vcc_lo, v66, v13
	v_add_co_ci_u32_e64 v11, null, v67, v14, vcc_lo
	v_add_nc_u32_e32 v13, v0, v15
	ds_write_b64 v13, v[10:11] offset:584
	v_cmpx_ne_u32_e32 0, v16
	s_cbranch_execz .LBB6_8917
; %bb.8916:                             ;   in Loop: Header=BB6_8890 Depth=3
	ds_read_b64 v[10:11], v0 offset:872
	s_waitcnt lgkmcnt(0)
	v_add_co_u32 v10, vcc_lo, v10, 1
	v_add_co_ci_u32_e64 v11, null, 0, v11, vcc_lo
	ds_write_b64 v0, v[10:11] offset:872
.LBB6_8917:                             ;   in Loop: Header=BB6_8890 Depth=3
	s_or_b32 exec_lo, exec_lo, s16
	v_mov_b32_e32 v97, v9
	v_mov_b32_e32 v96, v8
.LBB6_8918:                             ;   in Loop: Header=BB6_8890 Depth=3
	s_or_b32 exec_lo, exec_lo, s17
	s_and_saveexec_b32 s16, s6
	s_cbranch_execz .LBB6_8937
; %bb.8919:                             ;   in Loop: Header=BB6_8890 Depth=3
	s_and_saveexec_b32 s17, s29
	s_xor_b32 s17, exec_lo, s17
	s_cbranch_execz .LBB6_8934
; %bb.8920:                             ;   in Loop: Header=BB6_8890 Depth=3
	s_and_saveexec_b32 s18, s11
	s_cbranch_execz .LBB6_8933
; %bb.8921:                             ;   in Loop: Header=BB6_8890 Depth=3
	s_mov_b32 s22, exec_lo
	s_mov_b32 s19, exec_lo
	v_mbcnt_lo_u32_b32 v8, s22, 0
	s_waitcnt vmcnt(0) lgkmcnt(0)
	s_waitcnt_vscnt null, 0x0
	buffer_gl1_inv
	buffer_gl0_inv
	v_cmpx_eq_u32_e32 0, v8
	s_cbranch_execz .LBB6_8923
; %bb.8922:                             ;   in Loop: Header=BB6_8890 Depth=3
	s_bcnt1_i32_b32 s22, s22
	v_mov_b32_e32 v9, v2
	v_mov_b32_e32 v8, s22
	ds_add_u64 v0, v[8:9]
	s_trap 2
.LBB6_8923:                             ;   in Loop: Header=BB6_8890 Depth=3
	s_or_b32 exec_lo, exec_lo, s19
	s_trap 2
	ds_read_b64 v[8:9], v0
	s_waitcnt lgkmcnt(0)
	buffer_gl0_inv
	v_add_co_u32 v70, vcc_lo, v70, v47
	v_add_co_ci_u32_e64 v71, null, 0, v71, vcc_lo
	s_mov_b32 s19, exec_lo
	v_cmpx_lt_u64_e64 v[8:9], v[70:71]
	s_cbranch_execz .LBB6_8932
; %bb.8924:                             ;   in Loop: Header=BB6_8890 Depth=3
	s_mov_b32 s22, 0
	s_mov_b32 s74, 0
                                        ; implicit-def: $sgpr23
                                        ; implicit-def: $sgpr73
	s_inst_prefetch 0x1
	s_branch .LBB6_8926
	.p2align	6
.LBB6_8925:                             ;   in Loop: Header=BB6_8926 Depth=4
	s_or_b32 exec_lo, exec_lo, s76
	s_and_b32 s75, exec_lo, s77
	s_or_b32 s22, s75, s22
	s_andn2_b32 s23, s23, exec_lo
	s_and_b32 s75, s73, exec_lo
	s_or_b32 s23, s23, s75
	s_andn2_b32 exec_lo, exec_lo, s22
	s_cbranch_execz .LBB6_8930
.LBB6_8926:                             ;   Parent Loop BB6_47 Depth=1
                                        ;     Parent Loop BB6_8887 Depth=2
                                        ;       Parent Loop BB6_8890 Depth=3
                                        ; =>      This Inner Loop Header: Depth=4
	s_add_i32 s74, s74, 1
	s_cmpk_lg_i32 s74, 0x2710
	s_cselect_b32 s75, -1, 0
	s_and_b32 vcc_lo, exec_lo, s75
	s_cbranch_vccz .LBB6_8928
; %bb.8927:                             ;   in Loop: Header=BB6_8926 Depth=4
	s_mov_b32 s77, -1
	s_or_b32 s73, s73, exec_lo
	s_and_saveexec_b32 s76, s75
	s_cbranch_execz .LBB6_8925
	s_branch .LBB6_8929
	.p2align	6
.LBB6_8928:                             ;   in Loop: Header=BB6_8926 Depth=4
	s_trap 2
	ds_read_b64 v[8:9], v0
	s_andn2_b32 s75, s75, exec_lo
	s_mov_b32 s74, 0
	s_waitcnt lgkmcnt(0)
	flat_load_dword v8, v[8:9] glc dlc
	s_waitcnt vmcnt(0) lgkmcnt(0)
	buffer_gl1_inv
	buffer_gl0_inv
	v_cmp_eq_u32_e32 vcc_lo, 0, v8
	s_and_b32 s76, vcc_lo, exec_lo
	s_or_b32 s75, s75, s76
	s_mov_b32 s77, -1
	s_or_b32 s73, s73, exec_lo
	s_and_saveexec_b32 s76, s75
	s_cbranch_execz .LBB6_8925
.LBB6_8929:                             ;   in Loop: Header=BB6_8926 Depth=4
	s_sleep 1
	s_trap 2
	ds_read_b64 v[8:9], v0
	s_waitcnt lgkmcnt(0)
	buffer_gl0_inv
	s_andn2_b32 s73, s73, exec_lo
	v_cmp_ge_u64_e32 vcc_lo, v[8:9], v[70:71]
	s_orn2_b32 s77, vcc_lo, exec_lo
	s_branch .LBB6_8925
.LBB6_8930:                             ;   in Loop: Header=BB6_8890 Depth=3
	s_inst_prefetch 0x2
	s_or_b32 exec_lo, exec_lo, s22
	s_and_saveexec_b32 s22, s23
	s_xor_b32 s22, exec_lo, s22
	s_cbranch_execz .LBB6_8932
; %bb.8931:                             ;   in Loop: Header=BB6_8890 Depth=3
	ds_write_b32 v0, v57
	s_trap 2
.LBB6_8932:                             ;   in Loop: Header=BB6_8890 Depth=3
	s_or_b32 exec_lo, exec_lo, s19
	;;#ASMSTART
	s_wakeup
	;;#ASMEND
.LBB6_8933:                             ;   in Loop: Header=BB6_8890 Depth=3
	s_or_b32 exec_lo, exec_lo, s18
.LBB6_8934:                             ;   in Loop: Header=BB6_8890 Depth=3
	s_andn2_saveexec_b32 s17, s17
	s_cbranch_execz .LBB6_8936
; %bb.8935:                             ;   in Loop: Header=BB6_8890 Depth=3
	s_waitcnt vmcnt(0) lgkmcnt(0)
	s_waitcnt_vscnt null, 0x0
	buffer_gl1_inv
	buffer_gl0_inv
	s_barrier
.LBB6_8936:                             ;   in Loop: Header=BB6_8890 Depth=3
	s_or_b32 exec_lo, exec_lo, s17
.LBB6_8937:                             ;   in Loop: Header=BB6_8890 Depth=3
	s_or_b32 exec_lo, exec_lo, s16
	s_trap 2
	ds_read_b32 v8, v0
	v_and_b32_e32 v9, 0x4000, v44
	s_xor_b32 s16, s5, -1
	v_cmp_ne_u32_e32 vcc_lo, 0, v9
	s_and_b32 s17, s16, vcc_lo
	s_and_saveexec_b32 s16, s17
	s_cbranch_execz .LBB6_8956
; %bb.8938:                             ;   in Loop: Header=BB6_8890 Depth=3
	s_and_saveexec_b32 s17, s29
	s_xor_b32 s17, exec_lo, s17
	s_cbranch_execz .LBB6_8953
; %bb.8939:                             ;   in Loop: Header=BB6_8890 Depth=3
	s_and_saveexec_b32 s18, s11
	s_cbranch_execz .LBB6_8952
; %bb.8940:                             ;   in Loop: Header=BB6_8890 Depth=3
	s_mov_b32 s22, exec_lo
	s_mov_b32 s19, exec_lo
	v_mbcnt_lo_u32_b32 v9, s22, 0
	s_waitcnt vmcnt(0) lgkmcnt(0)
	s_waitcnt_vscnt null, 0x0
	buffer_gl1_inv
	buffer_gl0_inv
	v_cmpx_eq_u32_e32 0, v9
	s_cbranch_execz .LBB6_8942
; %bb.8941:                             ;   in Loop: Header=BB6_8890 Depth=3
	s_bcnt1_i32_b32 s22, s22
	v_mov_b32_e32 v10, v2
	v_mov_b32_e32 v9, s22
	ds_add_u64 v0, v[9:10]
	s_trap 2
.LBB6_8942:                             ;   in Loop: Header=BB6_8890 Depth=3
	s_or_b32 exec_lo, exec_lo, s19
	s_trap 2
	ds_read_b64 v[9:10], v0
	s_waitcnt lgkmcnt(0)
	buffer_gl0_inv
	v_add_co_u32 v70, vcc_lo, v70, v47
	v_add_co_ci_u32_e64 v71, null, 0, v71, vcc_lo
	s_mov_b32 s19, exec_lo
	v_cmpx_lt_u64_e64 v[9:10], v[70:71]
	s_cbranch_execz .LBB6_8951
; %bb.8943:                             ;   in Loop: Header=BB6_8890 Depth=3
	s_mov_b32 s22, 0
	s_mov_b32 s74, 0
                                        ; implicit-def: $sgpr23
                                        ; implicit-def: $sgpr73
	s_inst_prefetch 0x1
	s_branch .LBB6_8945
	.p2align	6
.LBB6_8944:                             ;   in Loop: Header=BB6_8945 Depth=4
	s_or_b32 exec_lo, exec_lo, s76
	s_and_b32 s75, exec_lo, s77
	s_or_b32 s22, s75, s22
	s_andn2_b32 s23, s23, exec_lo
	s_and_b32 s75, s73, exec_lo
	s_or_b32 s23, s23, s75
	s_andn2_b32 exec_lo, exec_lo, s22
	s_cbranch_execz .LBB6_8949
.LBB6_8945:                             ;   Parent Loop BB6_47 Depth=1
                                        ;     Parent Loop BB6_8887 Depth=2
                                        ;       Parent Loop BB6_8890 Depth=3
                                        ; =>      This Inner Loop Header: Depth=4
	s_add_i32 s74, s74, 1
	s_cmpk_lg_i32 s74, 0x2710
	s_cselect_b32 s75, -1, 0
	s_and_b32 vcc_lo, exec_lo, s75
	s_cbranch_vccz .LBB6_8947
; %bb.8946:                             ;   in Loop: Header=BB6_8945 Depth=4
	s_mov_b32 s77, -1
	s_or_b32 s73, s73, exec_lo
	s_and_saveexec_b32 s76, s75
	s_cbranch_execz .LBB6_8944
	s_branch .LBB6_8948
	.p2align	6
.LBB6_8947:                             ;   in Loop: Header=BB6_8945 Depth=4
	s_trap 2
	ds_read_b64 v[9:10], v0
	s_andn2_b32 s75, s75, exec_lo
	s_mov_b32 s74, 0
	s_waitcnt lgkmcnt(0)
	flat_load_dword v9, v[9:10] glc dlc
	s_waitcnt vmcnt(0) lgkmcnt(0)
	buffer_gl1_inv
	buffer_gl0_inv
	v_cmp_eq_u32_e32 vcc_lo, 0, v9
	s_and_b32 s76, vcc_lo, exec_lo
	s_or_b32 s75, s75, s76
	s_mov_b32 s77, -1
	s_or_b32 s73, s73, exec_lo
	s_and_saveexec_b32 s76, s75
	s_cbranch_execz .LBB6_8944
.LBB6_8948:                             ;   in Loop: Header=BB6_8945 Depth=4
	s_sleep 1
	s_trap 2
	ds_read_b64 v[9:10], v0
	s_waitcnt lgkmcnt(0)
	buffer_gl0_inv
	s_andn2_b32 s73, s73, exec_lo
	v_cmp_ge_u64_e32 vcc_lo, v[9:10], v[70:71]
	s_orn2_b32 s77, vcc_lo, exec_lo
	s_branch .LBB6_8944
.LBB6_8949:                             ;   in Loop: Header=BB6_8890 Depth=3
	s_inst_prefetch 0x2
	s_or_b32 exec_lo, exec_lo, s22
	s_and_saveexec_b32 s22, s23
	s_xor_b32 s22, exec_lo, s22
	s_cbranch_execz .LBB6_8951
; %bb.8950:                             ;   in Loop: Header=BB6_8890 Depth=3
	ds_write_b32 v0, v57
	s_trap 2
.LBB6_8951:                             ;   in Loop: Header=BB6_8890 Depth=3
	s_or_b32 exec_lo, exec_lo, s19
	;;#ASMSTART
	s_wakeup
	;;#ASMEND
.LBB6_8952:                             ;   in Loop: Header=BB6_8890 Depth=3
	s_or_b32 exec_lo, exec_lo, s18
.LBB6_8953:                             ;   in Loop: Header=BB6_8890 Depth=3
	s_andn2_saveexec_b32 s17, s17
	s_cbranch_execz .LBB6_8955
; %bb.8954:                             ;   in Loop: Header=BB6_8890 Depth=3
	s_waitcnt vmcnt(0) lgkmcnt(0)
	s_waitcnt_vscnt null, 0x0
	buffer_gl1_inv
	buffer_gl0_inv
	s_barrier
.LBB6_8955:                             ;   in Loop: Header=BB6_8890 Depth=3
	s_or_b32 exec_lo, exec_lo, s17
.LBB6_8956:                             ;   in Loop: Header=BB6_8890 Depth=3
	s_or_b32 exec_lo, exec_lo, s16
	s_trap 2
	ds_read_b64 v[13:14], v0
	s_waitcnt lgkmcnt(0)
	v_cmp_eq_u64_e32 vcc_lo, 0, v[13:14]
	s_cbranch_vccnz .LBB6_8965
; %bb.8957:                             ;   in Loop: Header=BB6_8890 Depth=3
	s_trap 2
	ds_read_b64 v[15:16], v0
	s_waitcnt lgkmcnt(0)
	v_cmp_eq_u64_e32 vcc_lo, 0, v[15:16]
	s_cbranch_vccnz .LBB6_8965
; %bb.8958:                             ;   in Loop: Header=BB6_8890 Depth=3
	s_trap 2
	ds_read_b64 v[17:18], v0
	v_cmp_eq_u32_e64 s16, 0, v8
	v_cndmask_b32_e64 v21, 0, v12, s16
	s_mov_b32 s16, -1
	s_waitcnt lgkmcnt(0)
	v_cmp_ne_u64_e32 vcc_lo, 0, v[17:18]
	s_cbranch_vccz .LBB6_8996
; %bb.8959:                             ;   in Loop: Header=BB6_8890 Depth=3
	s_and_saveexec_b32 s17, s14
	s_cbranch_execz .LBB6_8961
; %bb.8960:                             ;   in Loop: Header=BB6_8890 Depth=3
	ds_read_b32 v8, v0 offset:720
	s_waitcnt lgkmcnt(0)
	v_and_b32_e32 v8, 15, v8
	v_cmp_eq_u32_e32 vcc_lo, 0, v8
	s_orn2_b32 s16, vcc_lo, exec_lo
.LBB6_8961:                             ;   in Loop: Header=BB6_8890 Depth=3
	s_or_b32 exec_lo, exec_lo, s17
	s_and_saveexec_b32 s17, s15
	s_cbranch_execz .LBB6_8963
; %bb.8962:                             ;   in Loop: Header=BB6_8890 Depth=3
	ds_read_b32 v8, v0 offset:784
	s_waitcnt lgkmcnt(0)
	v_and_b32_e32 v8, 15, v8
	v_cmp_eq_u32_e32 vcc_lo, 0, v8
	s_and_b32 s18, s16, vcc_lo
	s_andn2_b32 s16, s16, exec_lo
	s_and_b32 s18, s18, exec_lo
	s_or_b32 s16, s16, s18
.LBB6_8963:                             ;   in Loop: Header=BB6_8890 Depth=3
	s_or_b32 exec_lo, exec_lo, s17
	s_xor_b32 s16, s16, -1
	v_mov_b32_e32 v19, 0
	v_cndmask_b32_e64 v8, 0, 1, s16
	v_mov_b32_e32 v20, v21
	v_mov_b32_e32 v22, v0
	s_mov_b32 s16, -1
	v_cmp_ne_u32_e32 vcc_lo, 0, v8
	v_mov_b32_e32 v8, v89
	s_cbranch_vccz .LBB6_8970
; %bb.8964:                             ;   in Loop: Header=BB6_8890 Depth=3
	s_and_saveexec_b32 s22, s16
	s_cbranch_execnz .LBB6_8985
	s_branch .LBB6_8995
.LBB6_8965:                             ;   in Loop: Header=BB6_8890 Depth=3
	s_mov_b32 s16, 0
	s_and_saveexec_b32 s17, s6
	s_cbranch_execnz .LBB6_9026
.LBB6_8966:                             ;   in Loop: Header=BB6_8890 Depth=3
	s_or_b32 exec_lo, exec_lo, s17
                                        ; implicit-def: $vgpr8
	s_and_saveexec_b32 s17, s13
	s_xor_b32 s17, exec_lo, s17
	s_cbranch_execz .LBB6_9044
.LBB6_8967:                             ;   in Loop: Header=BB6_8890 Depth=3
	v_and_b32_e32 v8, 16, v44
	v_cmp_ne_u32_e32 vcc_lo, 0, v8
	v_and_b32_e32 v8, 16, v44
	s_and_b32 s18, vcc_lo, s16
	s_and_saveexec_b32 s16, s18
	s_cbranch_execz .LBB6_8969
; %bb.8968:                             ;   in Loop: Header=BB6_8890 Depth=3
	v_mov_b32_e32 v8, 1
	s_waitcnt vmcnt(0) lgkmcnt(0)
	s_waitcnt_vscnt null, 0x0
	buffer_gl1_inv
	buffer_gl0_inv
.LBB6_8969:                             ;   in Loop: Header=BB6_8890 Depth=3
	s_or_b32 exec_lo, exec_lo, s16
	s_andn2_saveexec_b32 s16, s17
	s_cbranch_execz .LBB6_9063
	s_branch .LBB6_9045
.LBB6_8970:                             ;   in Loop: Header=BB6_8890 Depth=3
	v_ashrrev_i32_e32 v8, 31, v21
	s_mov_b32 s17, exec_lo
	v_lshrrev_b32_e32 v8, 21, v8
	v_add_nc_u32_e32 v8, v21, v8
	v_ashrrev_i32_e32 v22, 11, v8
	v_sub_nc_u32_e32 v24, v22, v89
	v_cmpx_lt_i32_e32 0, v24
	s_cbranch_execz .LBB6_8974
; %bb.8971:                             ;   in Loop: Header=BB6_8890 Depth=3
	s_clause 0x1
	buffer_load_dword v19, off, s[0:3], s33 offset:224
	buffer_load_dword v20, off, s[0:3], s33 offset:228
	s_mov_b32 s18, 0
	s_waitcnt vmcnt(1)
	v_add_co_u32 v8, vcc_lo, v13, v19
	s_waitcnt vmcnt(0)
	v_add_co_ci_u32_e64 v9, null, v14, v20, vcc_lo
	v_add_co_u32 v10, vcc_lo, v15, v19
	v_add_co_ci_u32_e64 v11, null, v16, v20, vcc_lo
	v_add_co_u32 v19, vcc_lo, v17, v19
	v_add_co_ci_u32_e64 v20, null, v18, v20, vcc_lo
	s_inst_prefetch 0x1
	.p2align	6
.LBB6_8972:                             ;   Parent Loop BB6_47 Depth=1
                                        ;     Parent Loop BB6_8887 Depth=2
                                        ;       Parent Loop BB6_8890 Depth=3
                                        ; =>      This Inner Loop Header: Depth=4
	s_clause 0x3
	global_load_dwordx4 v[25:28], v[8:9], off slc
	global_load_dwordx4 v[29:32], v[8:9], off offset:512 slc
	global_load_dwordx4 v[33:36], v[8:9], off offset:1024 slc
	;; [unrolled: 1-line block ×3, first 2 shown]
	v_sub_nc_u32_e32 v24, v24, v47
	v_add_co_u32 v8, vcc_lo, v8, v77
	v_add_co_ci_u32_e64 v9, null, 0, v9, vcc_lo
	v_cmp_gt_i32_e32 vcc_lo, 1, v24
	s_waitcnt vmcnt(3)
	global_store_dwordx4 v[10:11], v[25:28], off glc slc
	s_waitcnt vmcnt(2)
	global_store_dwordx4 v[10:11], v[29:32], off offset:512 glc slc
	s_waitcnt vmcnt(1)
	global_store_dwordx4 v[10:11], v[33:36], off offset:1024 glc slc
	;; [unrolled: 2-line block ×3, first 2 shown]
	global_store_dwordx4 v[19:20], v[25:28], off glc slc
	global_store_dwordx4 v[19:20], v[29:32], off offset:512 glc slc
	global_store_dwordx4 v[19:20], v[33:36], off offset:1024 glc slc
	global_store_dwordx4 v[19:20], v[48:51], off offset:1536 glc slc
	v_add_co_u32 v10, s16, v10, v77
	v_add_co_ci_u32_e64 v11, null, 0, v11, s16
	v_add_co_u32 v19, s16, v19, v77
	v_add_co_ci_u32_e64 v20, null, 0, v20, s16
	s_or_b32 s18, vcc_lo, s18
	s_andn2_b32 exec_lo, exec_lo, s18
	s_cbranch_execnz .LBB6_8972
; %bb.8973:                             ;   in Loop: Header=BB6_8890 Depth=3
	s_inst_prefetch 0x2
	s_or_b32 exec_lo, exec_lo, s18
.LBB6_8974:                             ;   in Loop: Header=BB6_8890 Depth=3
	s_or_b32 exec_lo, exec_lo, s17
	v_lshlrev_b32_e32 v23, 11, v22
	v_mov_b32_e32 v19, 0
	s_mov_b32 s16, 0
	s_mov_b32 s19, exec_lo
                                        ; implicit-def: $vgpr20
                                        ; implicit-def: $vgpr22
                                        ; implicit-def: $vgpr8
	v_cmpx_ne_u32_e64 v21, v23
	s_cbranch_execz .LBB6_8984
; %bb.8975:                             ;   in Loop: Header=BB6_8890 Depth=3
	buffer_load_dword v9, off, s[0:3], s33 offset:200 ; 4-byte Folded Reload
	v_lshlrev_b32_e32 v8, 5, v24
	v_sub_nc_u32_e32 v10, v21, v23
	s_mov_b32 s73, exec_lo
	v_ashrrev_i32_e32 v11, 31, v10
	v_lshrrev_b32_e32 v11, 23, v11
	v_add_nc_u32_e32 v11, v10, v11
	v_and_b32_e32 v24, 0xfffffe00, v11
	v_ashrrev_i32_e32 v11, 9, v11
	v_sub_nc_u32_e32 v26, v10, v24
	v_cmp_lt_i32_e64 s16, 15, v26
	v_add_co_ci_u32_e64 v11, null, 0, v11, s16
	s_waitcnt vmcnt(0)
	v_sub_nc_u32_e32 v8, v9, v8
	v_ashrrev_i32_e32 v9, 31, v8
	v_lshrrev_b32_e32 v9, 27, v9
	v_add_nc_u32_e32 v9, v8, v9
	v_and_b32_e32 v19, 0xffffffe0, v9
	v_ashrrev_i32_e32 v9, 5, v9
	v_sub_nc_u32_e32 v25, v8, v19
	v_sub_nc_u32_e32 v27, v11, v9
	v_lshlrev_b32_e32 v8, 4, v25
	v_lshl_add_u32 v8, v9, 9, v8
	v_sub_nc_u32_e32 v22, v10, v8
	v_cmpx_lt_i32_e32 15, v22
	s_cbranch_execz .LBB6_8981
; %bb.8976:                             ;   in Loop: Header=BB6_8890 Depth=3
	v_add_nc_u32_e32 v8, v8, v23
	s_mov_b32 s74, 0
	v_ashrrev_i32_e32 v9, 31, v8
	v_add_co_u32 v19, vcc_lo, v8, v13
	v_add_co_ci_u32_e64 v20, null, v9, v14, vcc_lo
	v_add_co_u32 v28, vcc_lo, v8, v15
	v_add_co_ci_u32_e64 v29, null, v9, v16, vcc_lo
	;; [unrolled: 2-line block ×3, first 2 shown]
	s_inst_prefetch 0x1
	.p2align	6
.LBB6_8977:                             ;   Parent Loop BB6_47 Depth=1
                                        ;     Parent Loop BB6_8887 Depth=2
                                        ;       Parent Loop BB6_8890 Depth=3
                                        ; =>      This Loop Header: Depth=4
                                        ;           Child Loop BB6_8978 Depth 5
	global_load_dwordx4 v[8:11], v[19:20], off slc
	s_mov_b64 s[22:23], 0
	s_mov_b32 s75, -1
	.p2align	6
.LBB6_8978:                             ;   Parent Loop BB6_47 Depth=1
                                        ;     Parent Loop BB6_8887 Depth=2
                                        ;       Parent Loop BB6_8890 Depth=3
                                        ;         Parent Loop BB6_8977 Depth=4
                                        ; =>        This Inner Loop Header: Depth=5
	s_cmp_eq_u32 s22, 1
	s_cselect_b32 vcc_lo, -1, 0
	s_cmp_eq_u32 s22, 0
	v_cndmask_b32_e32 v32, v28, v30, vcc_lo
	v_cndmask_b32_e32 v33, v29, v31, vcc_lo
	s_mov_b64 s[22:23], 1
	v_add_co_u32 v34, s17, 0x200, v32
	v_add_co_ci_u32_e64 v35, null, 0, v33, s17
	s_cselect_b32 s17, -1, 0
	v_cndmask_b32_e32 v30, v30, v34, vcc_lo
	v_cndmask_b32_e64 v28, v28, v34, s17
	v_cndmask_b32_e32 v31, v31, v35, vcc_lo
	v_cndmask_b32_e64 v29, v29, v35, s17
	s_and_b32 s18, exec_lo, s75
	s_mov_b32 s75, 0
	s_mov_b32 vcc_lo, s18
	s_waitcnt vmcnt(0)
	global_store_dwordx4 v[32:33], v[8:11], off glc slc
	s_cbranch_vccnz .LBB6_8978
; %bb.8979:                             ;   in Loop: Header=BB6_8977 Depth=4
	buffer_load_dword v8, off, s[0:3], s33 offset:188 ; 4-byte Folded Reload
	v_sub_nc_u32_e32 v22, v22, v75
	v_add_co_u32 v28, vcc_lo, v28, v99
	v_add_co_ci_u32_e64 v29, null, v29, v100, vcc_lo
	v_add_co_u32 v30, vcc_lo, v30, v99
	v_add_co_ci_u32_e64 v31, null, v31, v100, vcc_lo
	v_cmp_gt_i32_e32 vcc_lo, 16, v22
	v_sub_nc_u32_e32 v27, v27, v47
	s_or_b32 s74, vcc_lo, s74
	s_waitcnt vmcnt(0)
	v_add_co_u32 v19, s17, v8, v19
	v_add_co_ci_u32_e64 v20, null, v104, v20, s17
	s_andn2_b32 exec_lo, exec_lo, s74
	s_cbranch_execnz .LBB6_8977
; %bb.8980:                             ;   in Loop: Header=BB6_8890 Depth=3
	s_inst_prefetch 0x2
	s_or_b32 exec_lo, exec_lo, s74
.LBB6_8981:                             ;   in Loop: Header=BB6_8890 Depth=3
	s_or_b32 exec_lo, exec_lo, s73
	v_and_b32_e32 v9, 15, v21
	v_mov_b32_e32 v19, 0
	s_mov_b32 s17, 0
	s_mov_b32 s18, exec_lo
                                        ; implicit-def: $vgpr22
                                        ; implicit-def: $vgpr8
	v_cndmask_b32_e64 v20, v26, v9, s16
	v_cmpx_ne_u32_e32 0, v20
	s_cbranch_execz .LBB6_8983
; %bb.8982:                             ;   in Loop: Header=BB6_8890 Depth=3
	v_cmp_lt_i32_e32 vcc_lo, 0, v27
	v_sub_nc_u32_e32 v9, v26, v9
	s_mov_b32 s17, exec_lo
	v_cndmask_b32_e32 v8, 0, v47, vcc_lo
	v_cndmask_b32_e64 v9, 0, v9, s16
	v_sub_nc_u32_e32 v8, v8, v27
	v_add3_u32 v19, v24, v23, v9
	v_lshl_add_u32 v22, v8, 5, v25
	v_ashrrev_i32_e32 v8, 31, v22
	v_lshrrev_b32_e32 v8, 27, v8
	v_add_nc_u32_e32 v8, v22, v8
	v_ashrrev_i32_e32 v8, 5, v8
.LBB6_8983:                             ;   in Loop: Header=BB6_8890 Depth=3
	s_or_b32 exec_lo, exec_lo, s18
	s_and_b32 s16, s17, exec_lo
.LBB6_8984:                             ;   in Loop: Header=BB6_8890 Depth=3
	s_or_b32 exec_lo, exec_lo, s19
	s_and_saveexec_b32 s22, s16
	s_cbranch_execz .LBB6_8995
.LBB6_8985:                             ;   in Loop: Header=BB6_8890 Depth=3
	v_ashrrev_i32_e32 v9, 31, v20
	s_mov_b32 s16, exec_lo
	v_lshrrev_b32_e32 v9, 22, v9
	v_add_nc_u32_e32 v9, v20, v9
	v_ashrrev_i32_e32 v25, 10, v9
	v_ashrrev_i32_e32 v9, 31, v22
	v_sub_nc_u32_e32 v23, v25, v8
	v_lshrrev_b32_e32 v24, 27, v9
	v_cmpx_lt_i32_e32 0, v23
	s_cbranch_execz .LBB6_8989
; %bb.8986:                             ;   in Loop: Header=BB6_8890 Depth=3
	v_add_nc_u32_e32 v9, v22, v24
	v_lshlrev_b32_e32 v8, 10, v8
	v_add_co_u32 v28, vcc_lo, 0x3e0, v13
	v_add_co_ci_u32_e64 v29, null, 0, v14, vcc_lo
	v_and_b32_e32 v9, 0xffffffe0, v9
	s_mov_b32 s17, 0
	v_sub_nc_u32_e32 v9, v22, v9
	v_add3_u32 v26, v19, v9, v8
	v_ashrrev_i32_e32 v27, 31, v26
	v_add_co_u32 v8, vcc_lo, v26, v15
	v_add_co_ci_u32_e64 v9, null, v27, v16, vcc_lo
	v_add_co_u32 v10, vcc_lo, v26, v17
	v_add_co_ci_u32_e64 v11, null, v27, v18, vcc_lo
	;; [unrolled: 2-line block ×3, first 2 shown]
.LBB6_8987:                             ;   Parent Loop BB6_47 Depth=1
                                        ;     Parent Loop BB6_8887 Depth=2
                                        ;       Parent Loop BB6_8890 Depth=3
                                        ; =>      This Inner Loop Header: Depth=4
	v_add_co_u32 v26, vcc_lo, 0xfffffc20, v17
	v_add_co_ci_u32_e64 v27, null, -1, v18, vcc_lo
	v_sub_nc_u32_e32 v23, v23, v47
	flat_load_ubyte v26, v[26:27] slc
	v_add_co_u32 v27, vcc_lo, 0xfffffc40, v17
	v_add_co_ci_u32_e64 v28, null, -1, v18, vcc_lo
	flat_load_ubyte v27, v[27:28] slc
	v_add_co_u32 v28, vcc_lo, 0xfffffc60, v17
	v_add_co_ci_u32_e64 v29, null, -1, v18, vcc_lo
	flat_load_ubyte v28, v[28:29] slc
	v_add_co_u32 v29, vcc_lo, 0xfffffc80, v17
	v_add_co_ci_u32_e64 v30, null, -1, v18, vcc_lo
	flat_load_ubyte v29, v[29:30] slc
	v_add_co_u32 v30, vcc_lo, 0xfffffca0, v17
	v_add_co_ci_u32_e64 v31, null, -1, v18, vcc_lo
	flat_load_ubyte v30, v[30:31] slc
	v_add_co_u32 v31, vcc_lo, 0xfffffcc0, v17
	v_add_co_ci_u32_e64 v32, null, -1, v18, vcc_lo
	flat_load_ubyte v31, v[31:32] slc
	v_add_co_u32 v32, vcc_lo, 0xfffffce0, v17
	v_add_co_ci_u32_e64 v33, null, -1, v18, vcc_lo
	flat_load_ubyte v32, v[32:33] slc
	v_add_co_u32 v33, vcc_lo, 0xfffffd00, v17
	v_add_co_ci_u32_e64 v34, null, -1, v18, vcc_lo
	flat_load_ubyte v33, v[33:34] slc
	v_add_co_u32 v34, vcc_lo, 0xfffffd20, v17
	v_add_co_ci_u32_e64 v35, null, -1, v18, vcc_lo
	flat_load_ubyte v34, v[34:35] slc
	v_add_co_u32 v35, vcc_lo, 0xfffffd40, v17
	v_add_co_ci_u32_e64 v36, null, -1, v18, vcc_lo
	flat_load_ubyte v35, v[35:36] slc
	v_add_co_u32 v36, vcc_lo, 0xfffffd60, v17
	v_add_co_ci_u32_e64 v37, null, -1, v18, vcc_lo
	flat_load_ubyte v36, v[36:37] slc
	v_add_co_u32 v37, vcc_lo, 0xfffffd80, v17
	v_add_co_ci_u32_e64 v38, null, -1, v18, vcc_lo
	flat_load_ubyte v37, v[37:38] slc
	v_add_co_u32 v38, vcc_lo, 0xfffffda0, v17
	v_add_co_ci_u32_e64 v39, null, -1, v18, vcc_lo
	v_add_co_u32 v48, vcc_lo, 0xfffffdc0, v17
	v_add_co_ci_u32_e64 v49, null, -1, v18, vcc_lo
	flat_load_ubyte v38, v[38:39] slc
	flat_load_ubyte v39, v[48:49] slc
	v_add_co_u32 v48, vcc_lo, 0xfffffde0, v17
	v_add_co_ci_u32_e64 v49, null, -1, v18, vcc_lo
	flat_load_ubyte v48, v[48:49] slc
	v_add_co_u32 v49, vcc_lo, 0xfffffe00, v17
	v_add_co_ci_u32_e64 v50, null, -1, v18, vcc_lo
	;; [unrolled: 3-line block ×15, first 2 shown]
	s_waitcnt vmcnt(28)
	flat_load_ubyte v100, v[49:50] slc
	v_add_co_u32 v49, vcc_lo, 0xffffffc0, v17
	v_add_co_ci_u32_e64 v50, null, -1, v18, vcc_lo
	flat_load_ubyte v101, v[49:50] slc
	v_add_co_u32 v49, vcc_lo, 0xffffffe0, v17
	v_add_co_ci_u32_e64 v50, null, -1, v18, vcc_lo
	flat_load_ubyte v49, v[49:50] slc
	flat_load_ubyte v50, v[17:18] slc
	s_waitcnt vmcnt(31) lgkmcnt(31)
	flat_store_byte v[8:9], v26 glc slc
	s_waitcnt vmcnt(30) lgkmcnt(31)
	flat_store_byte v[8:9], v27 offset:32 glc slc
	s_waitcnt vmcnt(29) lgkmcnt(31)
	flat_store_byte v[8:9], v28 offset:64 glc slc
	;; [unrolled: 2-line block ×31, first 2 shown]
	flat_store_byte v[10:11], v26 glc slc
	flat_store_byte v[10:11], v27 offset:32 glc slc
	flat_store_byte v[10:11], v28 offset:64 glc slc
	;; [unrolled: 1-line block ×31, first 2 shown]
	v_add_co_u32 v8, vcc_lo, v8, v76
	v_add_co_ci_u32_e64 v9, null, 0, v9, vcc_lo
	v_add_co_u32 v10, vcc_lo, v10, v76
	v_add_co_ci_u32_e64 v11, null, 0, v11, vcc_lo
	;; [unrolled: 2-line block ×3, first 2 shown]
	v_cmp_gt_i32_e32 vcc_lo, 1, v23
	s_or_b32 s17, vcc_lo, s17
	s_andn2_b32 exec_lo, exec_lo, s17
	s_cbranch_execnz .LBB6_8987
; %bb.8988:                             ;   in Loop: Header=BB6_8890 Depth=3
	s_or_b32 exec_lo, exec_lo, s17
	buffer_load_dword v100, off, s[0:3], s33 offset:204 ; 4-byte Folded Reload
	v_add_nc_u32_e32 v99, 0xfffffe00, v75
.LBB6_8989:                             ;   in Loop: Header=BB6_8890 Depth=3
	s_or_b32 exec_lo, exec_lo, s16
	v_lshlrev_b32_e32 v8, 10, v25
	v_cmp_ne_u32_e32 vcc_lo, v20, v8
	s_and_b32 exec_lo, exec_lo, vcc_lo
	s_cbranch_execz .LBB6_8995
; %bb.8990:                             ;   in Loop: Header=BB6_8890 Depth=3
	v_add_nc_u32_e32 v9, v22, v24
	v_lshlrev_b32_e32 v10, 5, v23
	v_and_b32_e32 v9, 0xffffffe0, v9
	v_sub_nc_u32_e32 v9, v22, v9
	v_sub_nc_u32_e32 v9, v9, v10
	v_add_nc_u32_e32 v8, v8, v9
	v_sub_nc_u32_e32 v10, v20, v8
	v_cmp_lt_i32_e32 vcc_lo, 0, v10
	s_and_b32 exec_lo, exec_lo, vcc_lo
	s_cbranch_execz .LBB6_8995
; %bb.8991:                             ;   in Loop: Header=BB6_8890 Depth=3
	s_trap 2
	ds_read_b64 v[17:18], v0
	ds_read_b128 v[22:25], v0
	v_add_nc_u32_e32 v19, v8, v19
	s_mov_b32 s23, 0
	v_ashrrev_i32_e32 v20, 31, v19
	s_waitcnt lgkmcnt(1)
	v_add_co_u32 v8, vcc_lo, v17, v19
	v_add_co_ci_u32_e64 v9, null, v18, v20, vcc_lo
	s_waitcnt lgkmcnt(0)
	v_add_co_u32 v11, vcc_lo, v22, v19
	v_add_co_ci_u32_e64 v17, null, v23, v20, vcc_lo
	v_add_co_u32 v18, vcc_lo, v24, v19
	v_add_co_ci_u32_e64 v19, null, v25, v20, vcc_lo
	s_inst_prefetch 0x1
	.p2align	6
.LBB6_8992:                             ;   Parent Loop BB6_47 Depth=1
                                        ;     Parent Loop BB6_8887 Depth=2
                                        ;       Parent Loop BB6_8890 Depth=3
                                        ; =>      This Loop Header: Depth=4
                                        ;           Child Loop BB6_8993 Depth 5
	flat_load_ubyte v20, v[8:9] slc
	s_mov_b64 s[18:19], 0
	s_mov_b32 s73, -1
	.p2align	6
.LBB6_8993:                             ;   Parent Loop BB6_47 Depth=1
                                        ;     Parent Loop BB6_8887 Depth=2
                                        ;       Parent Loop BB6_8890 Depth=3
                                        ;         Parent Loop BB6_8992 Depth=4
                                        ; =>        This Inner Loop Header: Depth=5
	s_cmp_eq_u32 s18, 1
	s_cselect_b32 vcc_lo, -1, 0
	s_cmp_eq_u32 s18, 0
	v_cndmask_b32_e32 v22, v11, v18, vcc_lo
	v_cndmask_b32_e32 v23, v17, v19, vcc_lo
	s_mov_b64 s[18:19], 1
	v_add_co_u32 v24, s16, v22, 32
	v_add_co_ci_u32_e64 v25, null, 0, v23, s16
	s_cselect_b32 s16, -1, 0
	v_cndmask_b32_e32 v18, v18, v24, vcc_lo
	v_cndmask_b32_e64 v11, v11, v24, s16
	v_cndmask_b32_e32 v19, v19, v25, vcc_lo
	v_cndmask_b32_e64 v17, v17, v25, s16
	s_and_b32 s17, exec_lo, s73
	s_mov_b32 s73, 0
	s_mov_b32 vcc_lo, s17
	s_waitcnt vmcnt(0) lgkmcnt(0)
	flat_store_byte v[22:23], v20 glc slc
	s_cbranch_vccnz .LBB6_8993
; %bb.8994:                             ;   in Loop: Header=BB6_8992 Depth=4
	v_sub_nc_u32_e32 v10, v10, v56
	v_add_co_u32 v11, vcc_lo, v11, v78
	v_add_co_ci_u32_e64 v17, null, v17, v88, vcc_lo
	v_add_co_u32 v18, vcc_lo, v18, v78
	v_add_co_ci_u32_e64 v19, null, v19, v88, vcc_lo
	v_cmp_gt_i32_e32 vcc_lo, 1, v10
	v_add_co_u32 v8, s16, v92, v8
	v_add_co_ci_u32_e64 v9, null, v93, v9, s16
	s_or_b32 s23, vcc_lo, s23
	s_andn2_b32 exec_lo, exec_lo, s23
	s_cbranch_execnz .LBB6_8992
.LBB6_8995:                             ;   in Loop: Header=BB6_8890 Depth=3
	s_inst_prefetch 0x2
	s_or_b32 exec_lo, exec_lo, s22
	s_mov_b32 s16, 0
.LBB6_8996:                             ;   in Loop: Header=BB6_8890 Depth=3
	s_and_b32 vcc_lo, exec_lo, s16
	s_cbranch_vccz .LBB6_9025
; %bb.8997:                             ;   in Loop: Header=BB6_8890 Depth=3
	s_mov_b32 s16, -1
	s_and_saveexec_b32 s17, s14
	s_cbranch_execz .LBB6_8999
; %bb.8998:                             ;   in Loop: Header=BB6_8890 Depth=3
	ds_read_b32 v8, v0 offset:720
	s_waitcnt lgkmcnt(0)
	v_and_b32_e32 v8, 15, v8
	v_cmp_eq_u32_e32 vcc_lo, 0, v8
	s_orn2_b32 s16, vcc_lo, exec_lo
.LBB6_8999:                             ;   in Loop: Header=BB6_8890 Depth=3
	s_or_b32 exec_lo, exec_lo, s17
	s_and_saveexec_b32 s17, s12
	s_cbranch_execz .LBB6_9001
; %bb.9000:                             ;   in Loop: Header=BB6_8890 Depth=3
	ds_read_b32 v8, v0 offset:784
	s_waitcnt lgkmcnt(0)
	v_and_b32_e32 v8, 15, v8
	v_cmp_eq_u32_e32 vcc_lo, 0, v8
	s_and_b32 s18, s16, vcc_lo
	s_andn2_b32 s16, s16, exec_lo
	s_and_b32 s18, s18, exec_lo
	s_or_b32 s16, s16, s18
.LBB6_9001:                             ;   in Loop: Header=BB6_8890 Depth=3
	s_or_b32 exec_lo, exec_lo, s17
	s_xor_b32 s16, s16, -1
	v_mov_b32_e32 v10, 0
	v_cndmask_b32_e64 v8, 0, 1, s16
	v_mov_b32_e32 v9, v0
	v_mov_b32_e32 v22, v89
	s_mov_b32 s16, -1
	v_cmp_ne_u32_e32 vcc_lo, 0, v8
	v_mov_b32_e32 v8, v21
	s_cbranch_vccz .LBB6_9003
; %bb.9002:                             ;   in Loop: Header=BB6_8890 Depth=3
	s_and_saveexec_b32 s17, s16
	s_cbranch_execnz .LBB6_9016
	s_branch .LBB6_9024
.LBB6_9003:                             ;   in Loop: Header=BB6_8890 Depth=3
	v_ashrrev_i32_e32 v8, 31, v21
	s_mov_b32 s17, exec_lo
	v_lshrrev_b32_e32 v8, 20, v8
	v_add_nc_u32_e32 v8, v21, v8
	v_ashrrev_i32_e32 v18, 12, v8
	v_sub_nc_u32_e32 v17, v18, v89
	v_cmpx_lt_i32_e32 0, v17
	s_cbranch_execz .LBB6_9007
; %bb.9004:                             ;   in Loop: Header=BB6_8890 Depth=3
	v_mov_b32_e32 v8, v15
	v_mov_b32_e32 v10, v13
	;; [unrolled: 1-line block ×4, first 2 shown]
	s_mov_b32 s18, 0
.LBB6_9005:                             ;   Parent Loop BB6_47 Depth=1
                                        ;     Parent Loop BB6_8887 Depth=2
                                        ;       Parent Loop BB6_8890 Depth=3
                                        ; =>      This Inner Loop Header: Depth=4
	v_add_co_u32 v19, vcc_lo, v94, v10
	v_add_co_ci_u32_e64 v20, null, v106, v11, vcc_lo
	v_sub_nc_u32_e32 v17, v17, v47
	v_add_co_u32 v38, vcc_lo, 0x800, v19
	v_add_co_ci_u32_e64 v39, null, 0, v20, vcc_lo
	s_clause 0x3
	global_load_dwordx4 v[22:25], v[19:20], off slc
	global_load_dwordx4 v[26:29], v[19:20], off offset:512 slc
	global_load_dwordx4 v[30:33], v[19:20], off offset:1024 slc
	;; [unrolled: 1-line block ×3, first 2 shown]
	s_clause 0x3
	global_load_dwordx4 v[48:51], v[38:39], off slc
	global_load_dwordx4 v[52:55], v[38:39], off offset:512 slc
	global_load_dwordx4 v[82:85], v[38:39], off offset:1024 slc
	;; [unrolled: 1-line block ×3, first 2 shown]
	v_add_co_u32 v19, vcc_lo, v94, v8
	v_add_co_ci_u32_e64 v20, null, v106, v9, vcc_lo
	v_add_co_u32 v10, vcc_lo, v10, v74
	v_add_co_ci_u32_e64 v11, null, 0, v11, vcc_lo
	v_add_co_u32 v8, vcc_lo, v8, v74
	v_add_co_ci_u32_e64 v9, null, 0, v9, vcc_lo
	v_cmp_gt_i32_e32 vcc_lo, 1, v17
	v_add_co_u32 v38, s16, 0x800, v19
	v_add_co_ci_u32_e64 v39, null, 0, v20, s16
	s_or_b32 s18, vcc_lo, s18
	s_waitcnt vmcnt(7)
	global_store_dwordx4 v[19:20], v[22:25], off glc slc
	s_waitcnt vmcnt(6)
	global_store_dwordx4 v[19:20], v[26:29], off offset:512 glc slc
	s_waitcnt vmcnt(5)
	global_store_dwordx4 v[19:20], v[30:33], off offset:1024 glc slc
	;; [unrolled: 2-line block ×3, first 2 shown]
	s_waitcnt vmcnt(3)
	global_store_dwordx4 v[38:39], v[48:51], off glc slc
	s_waitcnt vmcnt(2)
	global_store_dwordx4 v[38:39], v[52:55], off offset:512 glc slc
	s_waitcnt vmcnt(1)
	global_store_dwordx4 v[38:39], v[82:85], off offset:1024 glc slc
	;; [unrolled: 2-line block ×3, first 2 shown]
	s_andn2_b32 exec_lo, exec_lo, s18
	s_cbranch_execnz .LBB6_9005
; %bb.9006:                             ;   in Loop: Header=BB6_8890 Depth=3
	s_or_b32 exec_lo, exec_lo, s18
	buffer_load_dword v100, off, s[0:3], s33 offset:204 ; 4-byte Folded Reload
	v_add_nc_u32_e32 v99, 0xfffffe00, v75
.LBB6_9007:                             ;   in Loop: Header=BB6_8890 Depth=3
	s_or_b32 exec_lo, exec_lo, s17
	v_lshlrev_b32_e32 v11, 12, v18
	v_mov_b32_e32 v10, 0
	s_mov_b32 s16, 0
	s_mov_b32 s18, exec_lo
                                        ; implicit-def: $vgpr8
                                        ; implicit-def: $vgpr9
                                        ; implicit-def: $vgpr22
	v_cmpx_ne_u32_e64 v21, v11
	s_cbranch_execz .LBB6_9015
; %bb.9008:                             ;   in Loop: Header=BB6_8890 Depth=3
	buffer_load_dword v9, off, s[0:3], s33 offset:200 ; 4-byte Folded Reload
	v_lshlrev_b32_e32 v8, 5, v17
	v_sub_nc_u32_e32 v10, v21, v11
	s_mov_b32 s19, exec_lo
	v_ashrrev_i32_e32 v17, 31, v10
	v_lshrrev_b32_e32 v17, 23, v17
	v_add_nc_u32_e32 v20, v10, v17
	v_and_b32_e32 v17, 0xfffffe00, v20
	v_ashrrev_i32_e32 v20, 9, v20
	v_sub_nc_u32_e32 v19, v10, v17
	v_cmp_lt_i32_e32 vcc_lo, 15, v19
	v_add_co_ci_u32_e64 v20, null, 0, v20, vcc_lo
	s_waitcnt vmcnt(0)
	v_sub_nc_u32_e32 v8, v9, v8
	v_ashrrev_i32_e32 v9, 31, v8
	v_lshrrev_b32_e32 v9, 27, v9
	v_add_nc_u32_e32 v9, v8, v9
	v_and_b32_e32 v18, 0xffffffe0, v9
	v_ashrrev_i32_e32 v22, 5, v9
	v_sub_nc_u32_e32 v18, v8, v18
	v_sub_nc_u32_e32 v20, v20, v22
	v_lshlrev_b32_e32 v8, 4, v18
	v_lshl_add_u32 v9, v22, 9, v8
	v_sub_nc_u32_e32 v8, v10, v9
	v_cmpx_lt_i32_e32 15, v8
	s_cbranch_execz .LBB6_9012
; %bb.9009:                             ;   in Loop: Header=BB6_8890 Depth=3
	v_add_nc_u32_e32 v9, v9, v11
	s_mov_b32 s22, 0
	v_ashrrev_i32_e32 v10, 31, v9
	.p2align	6
.LBB6_9010:                             ;   Parent Loop BB6_47 Depth=1
                                        ;     Parent Loop BB6_8887 Depth=2
                                        ;       Parent Loop BB6_8890 Depth=3
                                        ; =>      This Inner Loop Header: Depth=4
	v_add_co_u32 v22, s16, v13, v9
	v_add_co_ci_u32_e64 v23, null, v14, v10, s16
	v_sub_nc_u32_e32 v8, v8, v75
	v_add_co_u32 v26, s16, v15, v9
	global_load_dwordx4 v[22:25], v[22:23], off slc
	v_add_co_ci_u32_e64 v27, null, v16, v10, s16
	v_cmp_gt_i32_e64 s16, 16, v8
	v_add_co_u32 v9, s17, v9, v75
	v_sub_nc_u32_e32 v20, v20, v47
	v_add_co_ci_u32_e64 v10, null, 0, v10, s17
	s_or_b32 s22, s16, s22
	s_waitcnt vmcnt(0)
	global_store_dwordx4 v[26:27], v[22:25], off glc slc
	s_andn2_b32 exec_lo, exec_lo, s22
	s_cbranch_execnz .LBB6_9010
; %bb.9011:                             ;   in Loop: Header=BB6_8890 Depth=3
	s_or_b32 exec_lo, exec_lo, s22
.LBB6_9012:                             ;   in Loop: Header=BB6_8890 Depth=3
	s_or_b32 exec_lo, exec_lo, s19
	v_and_b32_e32 v23, 15, v21
	v_mov_b32_e32 v10, 0
	s_mov_b32 s17, 0
	s_mov_b32 s19, exec_lo
                                        ; implicit-def: $vgpr9
                                        ; implicit-def: $vgpr22
	v_cndmask_b32_e32 v8, v19, v23, vcc_lo
	v_cmpx_ne_u32_e32 0, v8
	s_cbranch_execz .LBB6_9014
; %bb.9013:                             ;   in Loop: Header=BB6_8890 Depth=3
	v_cmp_lt_i32_e64 s16, 0, v20
	s_mov_b32 s17, exec_lo
	v_cndmask_b32_e64 v9, 0, v47, s16
	v_sub_nc_u32_e32 v9, v9, v20
	v_lshl_add_u32 v9, v9, 5, v18
	v_sub_nc_u32_e32 v18, v19, v23
	v_ashrrev_i32_e32 v10, 31, v9
	v_cndmask_b32_e32 v18, 0, v18, vcc_lo
	v_lshrrev_b32_e32 v10, 27, v10
	v_add_nc_u32_e32 v19, v9, v10
	v_add3_u32 v10, v17, v11, v18
	v_ashrrev_i32_e32 v22, 5, v19
.LBB6_9014:                             ;   in Loop: Header=BB6_8890 Depth=3
	s_or_b32 exec_lo, exec_lo, s19
	s_and_b32 s16, s17, exec_lo
.LBB6_9015:                             ;   in Loop: Header=BB6_8890 Depth=3
	s_or_b32 exec_lo, exec_lo, s18
	s_and_saveexec_b32 s17, s16
	s_cbranch_execz .LBB6_9024
.LBB6_9016:                             ;   in Loop: Header=BB6_8890 Depth=3
	v_ashrrev_i32_e32 v11, 31, v8
	s_mov_b32 s16, exec_lo
	v_lshrrev_b32_e32 v11, 22, v11
	v_add_nc_u32_e32 v11, v8, v11
	v_ashrrev_i32_e32 v17, 10, v11
	v_sub_nc_u32_e32 v11, v17, v22
	v_cmpx_lt_i32_e32 0, v11
	s_cbranch_execz .LBB6_9020
; %bb.9017:                             ;   in Loop: Header=BB6_8890 Depth=3
	v_ashrrev_i32_e32 v18, 31, v9
	v_lshlrev_b32_e32 v19, 10, v22
	s_mov_b32 s18, 0
	v_lshrrev_b32_e32 v18, 27, v18
	v_add_nc_u32_e32 v18, v9, v18
	v_and_b32_e32 v18, 0xffffffe0, v18
	v_sub_nc_u32_e32 v18, v9, v18
	v_add3_u32 v18, v10, v18, v19
	v_ashrrev_i32_e32 v19, 31, v18
.LBB6_9018:                             ;   Parent Loop BB6_47 Depth=1
                                        ;     Parent Loop BB6_8887 Depth=2
                                        ;       Parent Loop BB6_8890 Depth=3
                                        ; =>      This Inner Loop Header: Depth=4
	v_add_co_u32 v22, vcc_lo, v18, v13
	v_add_co_ci_u32_e64 v23, null, v19, v14, vcc_lo
	v_sub_nc_u32_e32 v11, v11, v47
	s_clause 0x1f
	flat_load_ubyte v20, v[22:23] slc
	flat_load_ubyte v24, v[22:23] offset:32 slc
	flat_load_ubyte v25, v[22:23] offset:64 slc
	;; [unrolled: 1-line block ×31, first 2 shown]
	v_add_co_u32 v22, vcc_lo, v18, v15
	v_add_co_ci_u32_e64 v23, null, v19, v16, vcc_lo
	v_add_co_u32 v13, vcc_lo, v13, v76
	v_add_co_ci_u32_e64 v14, null, 0, v14, vcc_lo
	;; [unrolled: 2-line block ×3, first 2 shown]
	v_cmp_gt_i32_e32 vcc_lo, 1, v11
	s_waitcnt vmcnt(31) lgkmcnt(31)
	flat_store_byte v[22:23], v20 glc slc
	s_waitcnt vmcnt(30) lgkmcnt(31)
	flat_store_byte v[22:23], v24 offset:32 glc slc
	s_waitcnt vmcnt(29) lgkmcnt(31)
	flat_store_byte v[22:23], v25 offset:64 glc slc
	;; [unrolled: 2-line block ×31, first 2 shown]
	s_or_b32 s18, vcc_lo, s18
	s_andn2_b32 exec_lo, exec_lo, s18
	s_cbranch_execnz .LBB6_9018
; %bb.9019:                             ;   in Loop: Header=BB6_8890 Depth=3
	s_or_b32 exec_lo, exec_lo, s18
.LBB6_9020:                             ;   in Loop: Header=BB6_8890 Depth=3
	s_or_b32 exec_lo, exec_lo, s16
	v_lshlrev_b32_e32 v13, 10, v17
	v_cmp_ne_u32_e32 vcc_lo, v8, v13
	s_and_b32 exec_lo, exec_lo, vcc_lo
	s_cbranch_execz .LBB6_9024
; %bb.9021:                             ;   in Loop: Header=BB6_8890 Depth=3
	v_ashrrev_i32_e32 v14, 31, v9
	v_lshlrev_b32_e32 v11, 5, v11
	v_lshrrev_b32_e32 v14, 27, v14
	v_add_nc_u32_e32 v14, v9, v14
	v_and_b32_e32 v14, 0xffffffe0, v14
	v_sub_nc_u32_e32 v9, v9, v14
	v_sub_nc_u32_e32 v9, v9, v11
	v_add_nc_u32_e32 v13, v13, v9
	v_sub_nc_u32_e32 v11, v8, v13
	v_cmp_lt_i32_e32 vcc_lo, 0, v11
	s_and_b32 exec_lo, exec_lo, vcc_lo
	s_cbranch_execz .LBB6_9024
; %bb.9022:                             ;   in Loop: Header=BB6_8890 Depth=3
	s_trap 2
	ds_read_b64 v[8:9], v0
	v_add_nc_u32_e32 v10, v13, v10
	s_mov_b32 s18, 0
	v_ashrrev_i32_e32 v13, 31, v10
	.p2align	6
.LBB6_9023:                             ;   Parent Loop BB6_47 Depth=1
                                        ;     Parent Loop BB6_8887 Depth=2
                                        ;       Parent Loop BB6_8890 Depth=3
                                        ; =>      This Inner Loop Header: Depth=4
	s_waitcnt lgkmcnt(0)
	v_add_co_u32 v14, vcc_lo, v8, v10
	v_add_co_ci_u32_e64 v15, null, v9, v13, vcc_lo
	v_sub_nc_u32_e32 v11, v11, v56
	v_add_co_u32 v10, s16, v10, v56
	flat_load_ubyte v16, v[14:15] slc
	v_add_co_ci_u32_e64 v13, null, 0, v13, s16
	v_cmp_gt_i32_e32 vcc_lo, 1, v11
	s_or_b32 s18, vcc_lo, s18
	s_waitcnt vmcnt(0) lgkmcnt(0)
	flat_store_byte v[14:15], v16 glc slc
	s_andn2_b32 exec_lo, exec_lo, s18
	s_cbranch_execnz .LBB6_9023
.LBB6_9024:                             ;   in Loop: Header=BB6_8890 Depth=3
	s_or_b32 exec_lo, exec_lo, s17
.LBB6_9025:                             ;   in Loop: Header=BB6_8890 Depth=3
	v_cmp_lt_i32_e64 s16, 0, v21
	s_and_saveexec_b32 s17, s6
	s_cbranch_execz .LBB6_8966
.LBB6_9026:                             ;   in Loop: Header=BB6_8890 Depth=3
	s_and_saveexec_b32 s18, s29
	s_xor_b32 s18, exec_lo, s18
	s_cbranch_execz .LBB6_9041
; %bb.9027:                             ;   in Loop: Header=BB6_8890 Depth=3
	s_and_saveexec_b32 s19, s11
	s_cbranch_execz .LBB6_9040
; %bb.9028:                             ;   in Loop: Header=BB6_8890 Depth=3
	s_mov_b32 s23, exec_lo
	s_mov_b32 s22, exec_lo
	v_mbcnt_lo_u32_b32 v8, s23, 0
	s_waitcnt vmcnt(0) lgkmcnt(0)
	s_waitcnt_vscnt null, 0x0
	buffer_gl1_inv
	buffer_gl0_inv
	v_cmpx_eq_u32_e32 0, v8
	s_cbranch_execz .LBB6_9030
; %bb.9029:                             ;   in Loop: Header=BB6_8890 Depth=3
	s_bcnt1_i32_b32 s23, s23
	v_mov_b32_e32 v9, v2
	v_mov_b32_e32 v8, s23
	ds_add_u64 v0, v[8:9]
	s_trap 2
.LBB6_9030:                             ;   in Loop: Header=BB6_8890 Depth=3
	s_or_b32 exec_lo, exec_lo, s22
	s_trap 2
	ds_read_b64 v[8:9], v0
	s_waitcnt lgkmcnt(0)
	buffer_gl0_inv
	v_add_co_u32 v70, vcc_lo, v70, v47
	v_add_co_ci_u32_e64 v71, null, 0, v71, vcc_lo
	s_mov_b32 s22, exec_lo
	v_cmpx_lt_u64_e64 v[8:9], v[70:71]
	s_cbranch_execz .LBB6_9039
; %bb.9031:                             ;   in Loop: Header=BB6_8890 Depth=3
	s_mov_b32 s23, 0
	s_mov_b32 s75, 0
                                        ; implicit-def: $sgpr73
                                        ; implicit-def: $sgpr74
	s_inst_prefetch 0x1
	s_branch .LBB6_9033
	.p2align	6
.LBB6_9032:                             ;   in Loop: Header=BB6_9033 Depth=4
	s_or_b32 exec_lo, exec_lo, s77
	s_and_b32 s76, exec_lo, s78
	s_or_b32 s23, s76, s23
	s_andn2_b32 s73, s73, exec_lo
	s_and_b32 s76, s74, exec_lo
	s_or_b32 s73, s73, s76
	s_andn2_b32 exec_lo, exec_lo, s23
	s_cbranch_execz .LBB6_9037
.LBB6_9033:                             ;   Parent Loop BB6_47 Depth=1
                                        ;     Parent Loop BB6_8887 Depth=2
                                        ;       Parent Loop BB6_8890 Depth=3
                                        ; =>      This Inner Loop Header: Depth=4
	s_add_i32 s75, s75, 1
	s_cmpk_lg_i32 s75, 0x2710
	s_cselect_b32 s76, -1, 0
	s_and_b32 vcc_lo, exec_lo, s76
	s_cbranch_vccz .LBB6_9035
; %bb.9034:                             ;   in Loop: Header=BB6_9033 Depth=4
	s_mov_b32 s78, -1
	s_or_b32 s74, s74, exec_lo
	s_and_saveexec_b32 s77, s76
	s_cbranch_execz .LBB6_9032
	s_branch .LBB6_9036
	.p2align	6
.LBB6_9035:                             ;   in Loop: Header=BB6_9033 Depth=4
	s_trap 2
	ds_read_b64 v[8:9], v0
	s_andn2_b32 s76, s76, exec_lo
	s_mov_b32 s75, 0
	s_waitcnt lgkmcnt(0)
	flat_load_dword v8, v[8:9] glc dlc
	s_waitcnt vmcnt(0) lgkmcnt(0)
	buffer_gl1_inv
	buffer_gl0_inv
	v_cmp_eq_u32_e32 vcc_lo, 0, v8
	s_and_b32 s77, vcc_lo, exec_lo
	s_or_b32 s76, s76, s77
	s_mov_b32 s78, -1
	s_or_b32 s74, s74, exec_lo
	s_and_saveexec_b32 s77, s76
	s_cbranch_execz .LBB6_9032
.LBB6_9036:                             ;   in Loop: Header=BB6_9033 Depth=4
	s_sleep 1
	s_trap 2
	ds_read_b64 v[8:9], v0
	s_waitcnt lgkmcnt(0)
	buffer_gl0_inv
	s_andn2_b32 s74, s74, exec_lo
	v_cmp_ge_u64_e32 vcc_lo, v[8:9], v[70:71]
	s_orn2_b32 s78, vcc_lo, exec_lo
	s_branch .LBB6_9032
.LBB6_9037:                             ;   in Loop: Header=BB6_8890 Depth=3
	s_inst_prefetch 0x2
	s_or_b32 exec_lo, exec_lo, s23
	s_and_saveexec_b32 s23, s73
	s_xor_b32 s23, exec_lo, s23
	s_cbranch_execz .LBB6_9039
; %bb.9038:                             ;   in Loop: Header=BB6_8890 Depth=3
	ds_write_b32 v0, v57
	s_trap 2
.LBB6_9039:                             ;   in Loop: Header=BB6_8890 Depth=3
	s_or_b32 exec_lo, exec_lo, s22
	;;#ASMSTART
	s_wakeup
	;;#ASMEND
.LBB6_9040:                             ;   in Loop: Header=BB6_8890 Depth=3
	s_or_b32 exec_lo, exec_lo, s19
.LBB6_9041:                             ;   in Loop: Header=BB6_8890 Depth=3
	s_andn2_saveexec_b32 s18, s18
	s_cbranch_execz .LBB6_9043
; %bb.9042:                             ;   in Loop: Header=BB6_8890 Depth=3
	s_waitcnt vmcnt(0) lgkmcnt(0)
	s_waitcnt_vscnt null, 0x0
	buffer_gl1_inv
	buffer_gl0_inv
	s_barrier
.LBB6_9043:                             ;   in Loop: Header=BB6_8890 Depth=3
	s_or_b32 exec_lo, exec_lo, s18
	s_or_b32 exec_lo, exec_lo, s17
                                        ; implicit-def: $vgpr8
	s_and_saveexec_b32 s17, s13
	s_xor_b32 s17, exec_lo, s17
	s_cbranch_execnz .LBB6_8967
.LBB6_9044:                             ;   in Loop: Header=BB6_8890 Depth=3
	s_andn2_saveexec_b32 s16, s17
	s_cbranch_execz .LBB6_9063
.LBB6_9045:                             ;   in Loop: Header=BB6_8890 Depth=3
	s_and_saveexec_b32 s17, s29
	s_xor_b32 s17, exec_lo, s17
	s_cbranch_execz .LBB6_9060
; %bb.9046:                             ;   in Loop: Header=BB6_8890 Depth=3
	s_and_saveexec_b32 s18, s11
	s_cbranch_execz .LBB6_9059
; %bb.9047:                             ;   in Loop: Header=BB6_8890 Depth=3
	s_mov_b32 s22, exec_lo
	s_mov_b32 s19, exec_lo
	v_mbcnt_lo_u32_b32 v8, s22, 0
	;;#ASMSTART
	s_waitcnt lgkmcnt(0) vmcnt(0)
	;;#ASMEND
	v_cmpx_eq_u32_e32 0, v8
	s_cbranch_execz .LBB6_9049
; %bb.9048:                             ;   in Loop: Header=BB6_8890 Depth=3
	s_bcnt1_i32_b32 s22, s22
	v_mov_b32_e32 v9, v2
	v_mov_b32_e32 v8, s22
	s_waitcnt vmcnt(0) lgkmcnt(0)
	s_waitcnt_vscnt null, 0x0
	ds_add_u64 v0, v[8:9]
	s_trap 2
.LBB6_9049:                             ;   in Loop: Header=BB6_8890 Depth=3
	s_or_b32 exec_lo, exec_lo, s19
	s_trap 2
	ds_read_b64 v[8:9], v0
	s_waitcnt vmcnt(0) lgkmcnt(0)
	buffer_gl0_inv
	v_add_co_u32 v70, vcc_lo, v70, v47
	v_add_co_ci_u32_e64 v71, null, 0, v71, vcc_lo
	s_mov_b32 s19, exec_lo
	v_cmpx_lt_u64_e64 v[8:9], v[70:71]
	s_cbranch_execz .LBB6_9058
; %bb.9050:                             ;   in Loop: Header=BB6_8890 Depth=3
	s_mov_b32 s22, 0
	s_mov_b32 s74, 0
                                        ; implicit-def: $sgpr23
                                        ; implicit-def: $sgpr73
	s_inst_prefetch 0x1
	s_branch .LBB6_9052
	.p2align	6
.LBB6_9051:                             ;   in Loop: Header=BB6_9052 Depth=4
	s_or_b32 exec_lo, exec_lo, s76
	s_and_b32 s75, exec_lo, s77
	s_or_b32 s22, s75, s22
	s_andn2_b32 s23, s23, exec_lo
	s_and_b32 s75, s73, exec_lo
	s_or_b32 s23, s23, s75
	s_andn2_b32 exec_lo, exec_lo, s22
	s_cbranch_execz .LBB6_9056
.LBB6_9052:                             ;   Parent Loop BB6_47 Depth=1
                                        ;     Parent Loop BB6_8887 Depth=2
                                        ;       Parent Loop BB6_8890 Depth=3
                                        ; =>      This Inner Loop Header: Depth=4
	s_add_i32 s74, s74, 1
	s_cmpk_lg_i32 s74, 0x2710
	s_cselect_b32 s75, -1, 0
	s_and_b32 vcc_lo, exec_lo, s75
	s_cbranch_vccz .LBB6_9054
; %bb.9053:                             ;   in Loop: Header=BB6_9052 Depth=4
	s_mov_b32 s77, -1
	s_or_b32 s73, s73, exec_lo
	s_and_saveexec_b32 s76, s75
	s_cbranch_execz .LBB6_9051
	s_branch .LBB6_9055
	.p2align	6
.LBB6_9054:                             ;   in Loop: Header=BB6_9052 Depth=4
	s_trap 2
	ds_read_b64 v[8:9], v0
	s_andn2_b32 s75, s75, exec_lo
	s_mov_b32 s74, 0
	s_waitcnt lgkmcnt(0)
	s_waitcnt_vscnt null, 0x0
	flat_load_dword v8, v[8:9] glc dlc
	s_waitcnt vmcnt(0) lgkmcnt(0)
	buffer_gl1_inv
	buffer_gl0_inv
	v_cmp_eq_u32_e32 vcc_lo, 0, v8
	s_and_b32 s76, vcc_lo, exec_lo
	s_or_b32 s75, s75, s76
	s_mov_b32 s77, -1
	s_or_b32 s73, s73, exec_lo
	s_and_saveexec_b32 s76, s75
	s_cbranch_execz .LBB6_9051
.LBB6_9055:                             ;   in Loop: Header=BB6_9052 Depth=4
	s_sleep 1
	s_trap 2
	ds_read_b64 v[8:9], v0
	s_waitcnt lgkmcnt(0)
	buffer_gl0_inv
	s_andn2_b32 s73, s73, exec_lo
	v_cmp_ge_u64_e32 vcc_lo, v[8:9], v[70:71]
	s_orn2_b32 s77, vcc_lo, exec_lo
	s_branch .LBB6_9051
.LBB6_9056:                             ;   in Loop: Header=BB6_8890 Depth=3
	s_inst_prefetch 0x2
	s_or_b32 exec_lo, exec_lo, s22
	s_and_saveexec_b32 s22, s23
	s_xor_b32 s22, exec_lo, s22
	s_cbranch_execz .LBB6_9058
; %bb.9057:                             ;   in Loop: Header=BB6_8890 Depth=3
	ds_write_b32 v0, v57
	s_trap 2
.LBB6_9058:                             ;   in Loop: Header=BB6_8890 Depth=3
	s_or_b32 exec_lo, exec_lo, s19
	;;#ASMSTART
	s_wakeup
	;;#ASMEND
.LBB6_9059:                             ;   in Loop: Header=BB6_8890 Depth=3
	s_or_b32 exec_lo, exec_lo, s18
.LBB6_9060:                             ;   in Loop: Header=BB6_8890 Depth=3
	s_andn2_saveexec_b32 s17, s17
	s_cbranch_execz .LBB6_9062
; %bb.9061:                             ;   in Loop: Header=BB6_8890 Depth=3
	;;#ASMSTART
	s_waitcnt lgkmcnt(0) vmcnt(0)
	;;#ASMEND
	s_barrier
.LBB6_9062:                             ;   in Loop: Header=BB6_8890 Depth=3
	s_or_b32 exec_lo, exec_lo, s17
	v_and_b32_e32 v8, 16, v44
.LBB6_9063:                             ;   in Loop: Header=BB6_8890 Depth=3
	s_or_b32 exec_lo, exec_lo, s16
	v_cmp_ne_u32_e32 vcc_lo, 0, v8
	s_xor_b32 s16, s7, -1
	s_and_b32 s17, vcc_lo, s16
	s_and_saveexec_b32 s16, s17
	s_cbranch_execz .LBB6_9065
; %bb.9064:                             ;   in Loop: Header=BB6_8890 Depth=3
	s_waitcnt vmcnt(0) lgkmcnt(0)
	s_waitcnt_vscnt null, 0x0
	flat_store_dword v[68:69], v57
.LBB6_9065:                             ;   in Loop: Header=BB6_8890 Depth=3
	s_or_b32 exec_lo, exec_lo, s16
	v_and_b32_e32 v8, 48, v44
	s_mov_b32 s16, exec_lo
	v_cmpx_ne_u32_e32 0, v8
	s_cbranch_execz .LBB6_8889
; %bb.9066:                             ;   in Loop: Header=BB6_8890 Depth=3
	v_add_co_u32 v96, vcc_lo, v96, 2
	v_add_co_ci_u32_e64 v97, null, 0, v97, vcc_lo
	s_waitcnt vmcnt(0) lgkmcnt(0)
	s_waitcnt_vscnt null, 0x0
	flat_store_dwordx2 v[64:65], v[96:97]
	s_branch .LBB6_8889
.LBB6_9067:                             ;   in Loop: Header=BB6_8887 Depth=2
	s_or_b32 exec_lo, exec_lo, s62
.LBB6_9068:                             ;   in Loop: Header=BB6_8887 Depth=2
	s_or_b32 exec_lo, exec_lo, s61
	s_mov_b32 s17, exec_lo
	v_cmpx_gt_i32_e32 2, v10
	s_cbranch_execz .LBB6_9144
; %bb.9069:                             ;   in Loop: Header=BB6_8887 Depth=2
	v_cmp_eq_u32_e64 s19, 0, v10
	s_mov_b32 s18, 0
	s_branch .LBB6_9071
.LBB6_9070:                             ;   in Loop: Header=BB6_9071 Depth=3
	s_or_b32 exec_lo, exec_lo, s16
	v_add_nc_u32_e32 v3, v12, v3
	s_mov_b32 s19, 0
	s_andn2_b32 exec_lo, exec_lo, s18
	s_cbranch_execz .LBB6_9143
.LBB6_9071:                             ;   Parent Loop BB6_47 Depth=1
                                        ;     Parent Loop BB6_8887 Depth=2
                                        ; =>    This Loop Header: Depth=3
                                        ;         Child Loop BB6_9077 Depth 4
                                        ;         Child Loop BB6_9105 Depth 4
	;; [unrolled: 1-line block ×3, first 2 shown]
	v_sub_nc_u32_e32 v4, v1, v3
	v_and_b32_e32 v5, 12, v44
	s_mov_b32 s22, exec_lo
	v_min_i32_e32 v12, v12, v4
	v_cmpx_ne_u32_e32 0, v5
	s_cbranch_execz .LBB6_9097
; %bb.9072:                             ;   in Loop: Header=BB6_9071 Depth=3
	v_and_b32_e32 v4, 8, v44
	s_mov_b32 s23, exec_lo
	s_waitcnt vmcnt(0) lgkmcnt(1)
	v_add_co_u32 v10, vcc_lo, v80, v4
	v_add_co_ci_u32_e64 v11, null, 0, v81, vcc_lo
	v_add_co_u32 v8, vcc_lo, v96, 2
	v_add_co_ci_u32_e64 v9, null, 0, v97, vcc_lo
	v_cmpx_lt_u64_e64 v[10:11], v[8:9]
	s_cbranch_execz .LBB6_9084
; %bb.9073:                             ;   in Loop: Header=BB6_9071 Depth=3
	v_and_b32_e32 v5, 64, v44
	s_mov_b32 s61, 0
	s_mov_b32 s73, 0
                                        ; implicit-def: $sgpr62
                                        ; implicit-def: $sgpr63
                                        ; implicit-def: $sgpr72
	v_cmp_eq_u32_e32 vcc_lo, 0, v5
	s_branch .LBB6_9077
.LBB6_9074:                             ;   in Loop: Header=BB6_9077 Depth=4
	s_waitcnt vmcnt(0) lgkmcnt(0)
	v_add_co_u32 v10, s16, v80, v4
	v_add_co_ci_u32_e64 v11, null, 0, v81, s16
	s_or_b32 s76, s76, exec_lo
	v_cmp_ge_u64_e64 s16, v[10:11], v[8:9]
	s_orn2_b32 s75, s16, exec_lo
.LBB6_9075:                             ;   in Loop: Header=BB6_9077 Depth=4
	s_or_b32 exec_lo, exec_lo, s78
	s_andn2_b32 s16, s72, exec_lo
	s_and_b32 s72, s76, exec_lo
	s_andn2_b32 s63, s63, exec_lo
	s_and_b32 s75, s75, exec_lo
	s_or_b32 s72, s16, s72
	s_or_b32 s63, s63, s75
.LBB6_9076:                             ;   in Loop: Header=BB6_9077 Depth=4
	s_or_b32 exec_lo, exec_lo, s74
	s_and_b32 s16, exec_lo, s63
	s_or_b32 s61, s16, s61
	s_andn2_b32 s16, s62, exec_lo
	s_and_b32 s62, s72, exec_lo
	s_or_b32 s62, s16, s62
	s_andn2_b32 exec_lo, exec_lo, s61
	s_cbranch_execz .LBB6_9081
.LBB6_9077:                             ;   Parent Loop BB6_47 Depth=1
                                        ;     Parent Loop BB6_8887 Depth=2
                                        ;       Parent Loop BB6_9071 Depth=3
                                        ; =>      This Inner Loop Header: Depth=4
	s_sleep 1
	s_waitcnt vmcnt(0) lgkmcnt(0)
	flat_load_dwordx2 v[80:81], v[64:65] glc dlc
	s_or_b32 s72, s72, exec_lo
	s_or_b32 s63, s63, exec_lo
                                        ; implicit-def: $vgpr5
	s_and_saveexec_b32 s74, vcc_lo
	s_cbranch_execz .LBB6_9076
; %bb.9078:                             ;   in Loop: Header=BB6_9077 Depth=4
	s_cmpk_lt_i32 s73, 0x270f
	s_mov_b32 s75, -1
	s_cselect_b32 s77, -1, 0
	s_cmpk_gt_i32 s73, 0x270e
	s_cbranch_scc0 .LBB6_9080
; %bb.9079:                             ;   in Loop: Header=BB6_9077 Depth=4
	s_trap 2
	ds_read_b64 v[10:11], v0
	s_andn2_b32 s73, s77, exec_lo
	s_mov_b32 s76, 0
	s_waitcnt vmcnt(0) lgkmcnt(0)
	s_waitcnt_vscnt null, 0x0
	flat_load_dword v5, v[10:11] glc dlc
	s_waitcnt vmcnt(0) lgkmcnt(0)
	buffer_gl1_inv
	buffer_gl0_inv
	v_cmp_eq_u32_e64 s16, 0, v5
	s_and_b32 s16, s16, exec_lo
	s_or_b32 s77, s73, s16
	s_mov_b32 s73, 0
	s_and_saveexec_b32 s78, s77
	s_cbranch_execz .LBB6_9075
	s_branch .LBB6_9074
.LBB6_9080:                             ;   in Loop: Header=BB6_9077 Depth=4
	s_add_i32 s73, s73, 1
	s_mov_b32 s76, -1
                                        ; implicit-def: $vgpr5
	s_and_saveexec_b32 s78, s77
	s_cbranch_execz .LBB6_9075
	s_branch .LBB6_9074
.LBB6_9081:                             ;   in Loop: Header=BB6_9071 Depth=3
	s_or_b32 exec_lo, exec_lo, s61
	s_xor_b32 s16, s62, -1
	s_and_saveexec_b32 s61, s16
	s_xor_b32 s16, exec_lo, s61
	s_cbranch_execz .LBB6_9083
; %bb.9082:                             ;   in Loop: Header=BB6_9071 Depth=3
	v_or_b32_e32 v44, 64, v44
	s_waitcnt vmcnt(0) lgkmcnt(0)
	s_waitcnt_vscnt null, 0x0
	ds_write_b32 v0, v5
	s_trap 2
.LBB6_9083:                             ;   in Loop: Header=BB6_9071 Depth=3
	s_or_b32 exec_lo, exec_lo, s16
.LBB6_9084:                             ;   in Loop: Header=BB6_9071 Depth=3
	s_or_b32 exec_lo, exec_lo, s23
	v_and_b32_e32 v5, 0x108, v44
	s_mov_b32 s16, exec_lo
	;;#ASMSTART
	s_wakeup
	;;#ASMEND
                                        ; implicit-def: $vgpr10_vgpr11
	v_cmpx_ne_u32_e32 0x108, v5
	s_xor_b32 s16, exec_lo, s16
; %bb.9085:                             ;   in Loop: Header=BB6_9071 Depth=3
	v_and_b32_e32 v10, 7, v96
	v_mov_b32_e32 v11, v2
                                        ; implicit-def: $vgpr96_vgpr97
; %bb.9086:                             ;   in Loop: Header=BB6_9071 Depth=3
	s_andn2_saveexec_b32 s16, s16
	s_cbranch_execz .LBB6_9088
; %bb.9087:                             ;   in Loop: Header=BB6_9071 Depth=3
	v_and_b32_e32 v10, 7, v96
	v_ashrrev_i32_e32 v13, 31, v12
	v_mov_b32_e32 v11, v2
	v_mad_u64_u32 v[14:15], null, v10, 24, v[6:7]
	flat_store_dwordx2 v[14:15], v[12:13] offset:8
.LBB6_9088:                             ;   in Loop: Header=BB6_9071 Depth=3
	s_or_b32 exec_lo, exec_lo, s16
	v_and_b32_e32 v5, 0x100, v44
	s_mov_b32 s16, -1
	s_mov_b32 s23, exec_lo
                                        ; implicit-def: $vgpr13_vgpr14
	v_cmpx_ne_u32_e32 0, v5
	s_cbranch_execz .LBB6_9092
; %bb.9089:                             ;   in Loop: Header=BB6_9071 Depth=3
	v_mad_u64_u32 v[15:16], null, v10, 24, v[6:7]
	s_mov_b32 s61, exec_lo
	v_mov_b32_e32 v5, v16
	v_mad_u64_u32 v[13:14], null, v11, 24, v[5:6]
	v_mov_b32_e32 v16, v13
                                        ; implicit-def: $vgpr13_vgpr14
	flat_load_dword v5, v[15:16]
	s_waitcnt vmcnt(0) lgkmcnt(0)
	v_cmp_ne_u32_e32 vcc_lo, 1, v5
	v_cmpx_eq_u32_e32 1, v5
	s_cbranch_execz .LBB6_9091
; %bb.9090:                             ;   in Loop: Header=BB6_9071 Depth=3
	flat_load_dword v13, v[15:16] offset:4 glc dlc
	s_waitcnt vmcnt(0) lgkmcnt(0)
	v_ashrrev_i32_e32 v14, 31, v13
.LBB6_9091:                             ;   in Loop: Header=BB6_9071 Depth=3
	s_or_b32 exec_lo, exec_lo, s61
	s_orn2_b32 s16, vcc_lo, exec_lo
.LBB6_9092:                             ;   in Loop: Header=BB6_9071 Depth=3
	s_or_b32 exec_lo, exec_lo, s23
	s_and_saveexec_b32 s23, s16
; %bb.9093:                             ;   in Loop: Header=BB6_9071 Depth=3
	v_mul_lo_u32 v5, v11, v45
	v_mul_lo_u32 v11, v10, v102
	v_mad_u64_u32 v[13:14], null, v10, v45, 0
	v_add3_u32 v14, v14, v11, v5
; %bb.9094:                             ;   in Loop: Header=BB6_9071 Depth=3
	s_or_b32 exec_lo, exec_lo, s23
	v_cmp_eq_u32_e32 vcc_lo, 0, v4
	v_and_b32_e32 v11, 0x2000, v44
	s_mov_b32 s16, exec_lo
	v_cndmask_b32_e32 v10, 0xd0, v103, vcc_lo
	v_add_co_u32 v4, vcc_lo, v66, v13
	v_add_co_ci_u32_e64 v5, null, v67, v14, vcc_lo
	v_add_nc_u32_e32 v10, v0, v10
	ds_write_b64 v10, v[4:5] offset:584
	v_cmpx_ne_u32_e32 0, v11
	s_cbranch_execz .LBB6_9096
; %bb.9095:                             ;   in Loop: Header=BB6_9071 Depth=3
	ds_read_b64 v[4:5], v0 offset:872
	s_waitcnt lgkmcnt(0)
	v_add_co_u32 v4, vcc_lo, v4, 1
	v_add_co_ci_u32_e64 v5, null, 0, v5, vcc_lo
	ds_write_b64 v0, v[4:5] offset:872
.LBB6_9096:                             ;   in Loop: Header=BB6_9071 Depth=3
	s_or_b32 exec_lo, exec_lo, s16
	v_mov_b32_e32 v97, v9
	v_mov_b32_e32 v96, v8
.LBB6_9097:                             ;   in Loop: Header=BB6_9071 Depth=3
	s_or_b32 exec_lo, exec_lo, s22
	s_xor_b32 s16, s19, -1
	s_and_b32 s16, exec_lo, s16
	s_or_b32 s18, s16, s18
	s_and_saveexec_b32 s16, s6
	s_cbranch_execz .LBB6_9116
; %bb.9098:                             ;   in Loop: Header=BB6_9071 Depth=3
	s_and_saveexec_b32 s19, s29
	s_xor_b32 s19, exec_lo, s19
	s_cbranch_execz .LBB6_9113
; %bb.9099:                             ;   in Loop: Header=BB6_9071 Depth=3
	s_and_saveexec_b32 s22, s11
	s_cbranch_execz .LBB6_9112
; %bb.9100:                             ;   in Loop: Header=BB6_9071 Depth=3
	s_mov_b32 s61, exec_lo
	s_mov_b32 s23, exec_lo
	v_mbcnt_lo_u32_b32 v4, s61, 0
	s_waitcnt vmcnt(0) lgkmcnt(0)
	s_waitcnt_vscnt null, 0x0
	buffer_gl1_inv
	buffer_gl0_inv
	v_cmpx_eq_u32_e32 0, v4
	s_cbranch_execz .LBB6_9102
; %bb.9101:                             ;   in Loop: Header=BB6_9071 Depth=3
	s_bcnt1_i32_b32 s61, s61
	v_mov_b32_e32 v5, v2
	v_mov_b32_e32 v4, s61
	ds_add_u64 v0, v[4:5]
	s_trap 2
.LBB6_9102:                             ;   in Loop: Header=BB6_9071 Depth=3
	s_or_b32 exec_lo, exec_lo, s23
	s_trap 2
	ds_read_b64 v[4:5], v0
	s_waitcnt lgkmcnt(0)
	buffer_gl0_inv
	v_add_co_u32 v70, vcc_lo, v70, v47
	v_add_co_ci_u32_e64 v71, null, 0, v71, vcc_lo
	s_mov_b32 s23, exec_lo
	v_cmpx_lt_u64_e64 v[4:5], v[70:71]
	s_cbranch_execz .LBB6_9111
; %bb.9103:                             ;   in Loop: Header=BB6_9071 Depth=3
	s_mov_b32 s61, 0
	s_mov_b32 s72, 0
                                        ; implicit-def: $sgpr62
                                        ; implicit-def: $sgpr63
	s_inst_prefetch 0x1
	s_branch .LBB6_9105
	.p2align	6
.LBB6_9104:                             ;   in Loop: Header=BB6_9105 Depth=4
	s_or_b32 exec_lo, exec_lo, s74
	s_and_b32 s73, exec_lo, s75
	s_or_b32 s61, s73, s61
	s_andn2_b32 s62, s62, exec_lo
	s_and_b32 s73, s63, exec_lo
	s_or_b32 s62, s62, s73
	s_andn2_b32 exec_lo, exec_lo, s61
	s_cbranch_execz .LBB6_9109
.LBB6_9105:                             ;   Parent Loop BB6_47 Depth=1
                                        ;     Parent Loop BB6_8887 Depth=2
                                        ;       Parent Loop BB6_9071 Depth=3
                                        ; =>      This Inner Loop Header: Depth=4
	s_add_i32 s72, s72, 1
	s_cmpk_lg_i32 s72, 0x2710
	s_cselect_b32 s73, -1, 0
	s_and_b32 vcc_lo, exec_lo, s73
	s_cbranch_vccz .LBB6_9107
; %bb.9106:                             ;   in Loop: Header=BB6_9105 Depth=4
	s_mov_b32 s75, -1
	s_or_b32 s63, s63, exec_lo
	s_and_saveexec_b32 s74, s73
	s_cbranch_execz .LBB6_9104
	s_branch .LBB6_9108
	.p2align	6
.LBB6_9107:                             ;   in Loop: Header=BB6_9105 Depth=4
	s_trap 2
	ds_read_b64 v[4:5], v0
	s_andn2_b32 s73, s73, exec_lo
	s_mov_b32 s72, 0
	s_waitcnt lgkmcnt(0)
	flat_load_dword v4, v[4:5] glc dlc
	s_waitcnt vmcnt(0) lgkmcnt(0)
	buffer_gl1_inv
	buffer_gl0_inv
	v_cmp_eq_u32_e32 vcc_lo, 0, v4
	s_and_b32 s74, vcc_lo, exec_lo
	s_or_b32 s73, s73, s74
	s_mov_b32 s75, -1
	s_or_b32 s63, s63, exec_lo
	s_and_saveexec_b32 s74, s73
	s_cbranch_execz .LBB6_9104
.LBB6_9108:                             ;   in Loop: Header=BB6_9105 Depth=4
	s_sleep 1
	s_trap 2
	ds_read_b64 v[4:5], v0
	s_waitcnt lgkmcnt(0)
	buffer_gl0_inv
	s_andn2_b32 s63, s63, exec_lo
	v_cmp_ge_u64_e32 vcc_lo, v[4:5], v[70:71]
	s_orn2_b32 s75, vcc_lo, exec_lo
	s_branch .LBB6_9104
.LBB6_9109:                             ;   in Loop: Header=BB6_9071 Depth=3
	s_inst_prefetch 0x2
	s_or_b32 exec_lo, exec_lo, s61
	s_and_saveexec_b32 s61, s62
	s_xor_b32 s61, exec_lo, s61
	s_cbranch_execz .LBB6_9111
; %bb.9110:                             ;   in Loop: Header=BB6_9071 Depth=3
	ds_write_b32 v0, v57
	s_trap 2
.LBB6_9111:                             ;   in Loop: Header=BB6_9071 Depth=3
	s_or_b32 exec_lo, exec_lo, s23
	;;#ASMSTART
	s_wakeup
	;;#ASMEND
.LBB6_9112:                             ;   in Loop: Header=BB6_9071 Depth=3
	s_or_b32 exec_lo, exec_lo, s22
.LBB6_9113:                             ;   in Loop: Header=BB6_9071 Depth=3
	s_andn2_saveexec_b32 s19, s19
	s_cbranch_execz .LBB6_9115
; %bb.9114:                             ;   in Loop: Header=BB6_9071 Depth=3
	s_waitcnt vmcnt(0) lgkmcnt(0)
	s_waitcnt_vscnt null, 0x0
	buffer_gl1_inv
	buffer_gl0_inv
	s_barrier
.LBB6_9115:                             ;   in Loop: Header=BB6_9071 Depth=3
	s_or_b32 exec_lo, exec_lo, s19
.LBB6_9116:                             ;   in Loop: Header=BB6_9071 Depth=3
	s_or_b32 exec_lo, exec_lo, s16
                                        ; implicit-def: $vgpr4
	s_and_saveexec_b32 s16, s13
	s_xor_b32 s19, exec_lo, s16
	s_cbranch_execz .LBB6_9120
; %bb.9117:                             ;   in Loop: Header=BB6_9071 Depth=3
	s_trap 2
	ds_read_b32 v4, v0
	v_cmp_lt_i32_e32 vcc_lo, 0, v12
	s_waitcnt lgkmcnt(0)
	v_readfirstlane_b32 s16, v4
	v_and_b32_e32 v4, 16, v44
	s_cmp_eq_u32 s16, 0
	v_cmp_ne_u32_e64 s16, 0, v4
	s_cselect_b32 s22, -1, 0
	v_and_b32_e32 v4, 16, v44
	s_and_b32 s22, vcc_lo, s22
	s_and_b32 s22, s16, s22
	s_and_saveexec_b32 s16, s22
	s_cbranch_execz .LBB6_9119
; %bb.9118:                             ;   in Loop: Header=BB6_9071 Depth=3
	v_mov_b32_e32 v4, 1
	s_waitcnt vmcnt(0)
	s_waitcnt_vscnt null, 0x0
	buffer_gl1_inv
	buffer_gl0_inv
.LBB6_9119:                             ;   in Loop: Header=BB6_9071 Depth=3
	s_or_b32 exec_lo, exec_lo, s16
	s_andn2_saveexec_b32 s16, s19
	s_cbranch_execz .LBB6_9139
	s_branch .LBB6_9121
.LBB6_9120:                             ;   in Loop: Header=BB6_9071 Depth=3
	s_andn2_saveexec_b32 s16, s19
	s_cbranch_execz .LBB6_9139
.LBB6_9121:                             ;   in Loop: Header=BB6_9071 Depth=3
	s_and_saveexec_b32 s19, s29
	s_xor_b32 s19, exec_lo, s19
	s_cbranch_execz .LBB6_9136
; %bb.9122:                             ;   in Loop: Header=BB6_9071 Depth=3
	s_and_saveexec_b32 s22, s11
	s_cbranch_execz .LBB6_9135
; %bb.9123:                             ;   in Loop: Header=BB6_9071 Depth=3
	s_mov_b32 s61, exec_lo
	s_mov_b32 s23, exec_lo
	v_mbcnt_lo_u32_b32 v4, s61, 0
	;;#ASMSTART
	s_waitcnt lgkmcnt(0) vmcnt(0)
	;;#ASMEND
	v_cmpx_eq_u32_e32 0, v4
	s_cbranch_execz .LBB6_9125
; %bb.9124:                             ;   in Loop: Header=BB6_9071 Depth=3
	s_bcnt1_i32_b32 s61, s61
	v_mov_b32_e32 v5, v2
	v_mov_b32_e32 v4, s61
	s_waitcnt vmcnt(0) lgkmcnt(0)
	s_waitcnt_vscnt null, 0x0
	ds_add_u64 v0, v[4:5]
	s_trap 2
.LBB6_9125:                             ;   in Loop: Header=BB6_9071 Depth=3
	s_or_b32 exec_lo, exec_lo, s23
	s_trap 2
	ds_read_b64 v[4:5], v0
	s_waitcnt vmcnt(0) lgkmcnt(0)
	buffer_gl0_inv
	v_add_co_u32 v70, vcc_lo, v70, v47
	v_add_co_ci_u32_e64 v71, null, 0, v71, vcc_lo
	s_mov_b32 s23, exec_lo
	v_cmpx_lt_u64_e64 v[4:5], v[70:71]
	s_cbranch_execz .LBB6_9134
; %bb.9126:                             ;   in Loop: Header=BB6_9071 Depth=3
	s_mov_b32 s61, 0
	s_mov_b32 s72, 0
                                        ; implicit-def: $sgpr62
                                        ; implicit-def: $sgpr63
	s_inst_prefetch 0x1
	s_branch .LBB6_9128
	.p2align	6
.LBB6_9127:                             ;   in Loop: Header=BB6_9128 Depth=4
	s_or_b32 exec_lo, exec_lo, s74
	s_and_b32 s73, exec_lo, s75
	s_or_b32 s61, s73, s61
	s_andn2_b32 s62, s62, exec_lo
	s_and_b32 s73, s63, exec_lo
	s_or_b32 s62, s62, s73
	s_andn2_b32 exec_lo, exec_lo, s61
	s_cbranch_execz .LBB6_9132
.LBB6_9128:                             ;   Parent Loop BB6_47 Depth=1
                                        ;     Parent Loop BB6_8887 Depth=2
                                        ;       Parent Loop BB6_9071 Depth=3
                                        ; =>      This Inner Loop Header: Depth=4
	s_add_i32 s72, s72, 1
	s_cmpk_lg_i32 s72, 0x2710
	s_cselect_b32 s73, -1, 0
	s_and_b32 vcc_lo, exec_lo, s73
	s_cbranch_vccz .LBB6_9130
; %bb.9129:                             ;   in Loop: Header=BB6_9128 Depth=4
	s_mov_b32 s75, -1
	s_or_b32 s63, s63, exec_lo
	s_and_saveexec_b32 s74, s73
	s_cbranch_execz .LBB6_9127
	s_branch .LBB6_9131
	.p2align	6
.LBB6_9130:                             ;   in Loop: Header=BB6_9128 Depth=4
	s_trap 2
	ds_read_b64 v[4:5], v0
	s_andn2_b32 s73, s73, exec_lo
	s_mov_b32 s72, 0
	s_waitcnt lgkmcnt(0)
	s_waitcnt_vscnt null, 0x0
	flat_load_dword v4, v[4:5] glc dlc
	s_waitcnt vmcnt(0) lgkmcnt(0)
	buffer_gl1_inv
	buffer_gl0_inv
	v_cmp_eq_u32_e32 vcc_lo, 0, v4
	s_and_b32 s74, vcc_lo, exec_lo
	s_or_b32 s73, s73, s74
	s_mov_b32 s75, -1
	s_or_b32 s63, s63, exec_lo
	s_and_saveexec_b32 s74, s73
	s_cbranch_execz .LBB6_9127
.LBB6_9131:                             ;   in Loop: Header=BB6_9128 Depth=4
	s_sleep 1
	s_trap 2
	ds_read_b64 v[4:5], v0
	s_waitcnt lgkmcnt(0)
	buffer_gl0_inv
	s_andn2_b32 s63, s63, exec_lo
	v_cmp_ge_u64_e32 vcc_lo, v[4:5], v[70:71]
	s_orn2_b32 s75, vcc_lo, exec_lo
	s_branch .LBB6_9127
.LBB6_9132:                             ;   in Loop: Header=BB6_9071 Depth=3
	s_inst_prefetch 0x2
	s_or_b32 exec_lo, exec_lo, s61
	s_and_saveexec_b32 s61, s62
	s_xor_b32 s61, exec_lo, s61
	s_cbranch_execz .LBB6_9134
; %bb.9133:                             ;   in Loop: Header=BB6_9071 Depth=3
	ds_write_b32 v0, v57
	s_trap 2
.LBB6_9134:                             ;   in Loop: Header=BB6_9071 Depth=3
	s_or_b32 exec_lo, exec_lo, s23
	;;#ASMSTART
	s_wakeup
	;;#ASMEND
.LBB6_9135:                             ;   in Loop: Header=BB6_9071 Depth=3
	s_or_b32 exec_lo, exec_lo, s22
.LBB6_9136:                             ;   in Loop: Header=BB6_9071 Depth=3
	s_andn2_saveexec_b32 s19, s19
	s_cbranch_execz .LBB6_9138
; %bb.9137:                             ;   in Loop: Header=BB6_9071 Depth=3
	;;#ASMSTART
	s_waitcnt lgkmcnt(0) vmcnt(0)
	;;#ASMEND
	s_barrier
.LBB6_9138:                             ;   in Loop: Header=BB6_9071 Depth=3
	s_or_b32 exec_lo, exec_lo, s19
	v_and_b32_e32 v4, 16, v44
.LBB6_9139:                             ;   in Loop: Header=BB6_9071 Depth=3
	s_or_b32 exec_lo, exec_lo, s16
	v_cmp_ne_u32_e32 vcc_lo, 0, v4
	s_xor_b32 s16, s7, -1
	s_and_b32 s19, vcc_lo, s16
	s_and_saveexec_b32 s16, s19
	s_cbranch_execz .LBB6_9141
; %bb.9140:                             ;   in Loop: Header=BB6_9071 Depth=3
	s_waitcnt vmcnt(0) lgkmcnt(0)
	s_waitcnt_vscnt null, 0x0
	flat_store_dword v[68:69], v57
.LBB6_9141:                             ;   in Loop: Header=BB6_9071 Depth=3
	s_or_b32 exec_lo, exec_lo, s16
	v_and_b32_e32 v4, 48, v44
	s_mov_b32 s16, exec_lo
	v_cmpx_ne_u32_e32 0, v4
	s_cbranch_execz .LBB6_9070
; %bb.9142:                             ;   in Loop: Header=BB6_9071 Depth=3
	v_add_co_u32 v96, vcc_lo, v96, 2
	v_add_co_ci_u32_e64 v97, null, 0, v97, vcc_lo
	s_waitcnt vmcnt(0) lgkmcnt(0)
	s_waitcnt_vscnt null, 0x0
	flat_store_dwordx2 v[64:65], v[96:97]
	s_branch .LBB6_9070
.LBB6_9143:                             ;   in Loop: Header=BB6_8887 Depth=2
	s_or_b32 exec_lo, exec_lo, s18
.LBB6_9144:                             ;   in Loop: Header=BB6_8887 Depth=2
	s_or_b32 exec_lo, exec_lo, s17
	s_add_i32 s16, s21, 1
	s_cmp_eq_u32 s21, s56
	s_cbranch_scc1 .LBB6_9146
; %bb.9145:                             ;   in Loop: Header=BB6_8887 Depth=2
	s_mov_b32 s21, s16
	s_branch .LBB6_8887
.LBB6_9146:                             ;   in Loop: Header=BB6_47 Depth=1
	s_clause 0x3
	buffer_load_dword v102, off, s[0:3], s33 offset:248
	buffer_load_dword v103, off, s[0:3], s33 offset:252
	;; [unrolled: 1-line block ×4, first 2 shown]
	s_waitcnt vmcnt(1)
	v_mul_lo_u32 v3, v10, s59
	s_waitcnt vmcnt(0)
	v_mul_lo_u32 v1, v11, s58
	v_mad_u64_u32 v[8:9], null, v10, s58, 0
	v_add3_u32 v9, v9, v3, v1
	s_clause 0x1
	buffer_load_dword v3, off, s[0:3], s33 offset:208
	buffer_load_dword v4, off, s[0:3], s33 offset:212
	s_waitcnt vmcnt(1)
	v_sub_co_u32 v3, vcc_lo, v3, v8
	s_waitcnt vmcnt(0)
	v_sub_co_ci_u32_e64 v4, null, v4, v9, vcc_lo
	v_cmp_lt_i64_e32 vcc_lo, v[10:11], v[3:4]
	v_cndmask_b32_e32 v3, v3, v10, vcc_lo
	v_mov_b32_e32 v10, 0
	v_max_i32_e32 v1, 0, v3
	v_cmp_lt_i32_e32 vcc_lo, 0, v3
	v_add_nc_u32_e32 v4, 31, v1
	s_and_b32 s16, s57, vcc_lo
	v_lshrrev_b32_e32 v4, 1, v4
	v_and_b32_e32 v4, 0x3ffffff0, v4
	v_max_i32_e32 v3, s45, v4
	v_mov_b32_e32 v4, 0
	s_and_saveexec_b32 s18, s16
	s_cbranch_execz .LBB6_9286
; %bb.9147:                             ;   in Loop: Header=BB6_47 Depth=1
	buffer_load_dword v4, off, s[0:3], s33 offset:192 ; 4-byte Folded Reload
	s_mov_b32 s22, 1
	s_mov_b32 s21, -1
	s_mov_b32 s19, 0
	s_waitcnt vmcnt(0)
	v_add_co_u32 v5, vcc_lo, v8, v4
	buffer_load_dword v4, off, s[0:3], s33 offset:196 ; 4-byte Folded Reload
	s_waitcnt vmcnt(0)
	v_add_co_ci_u32_e64 v16, null, v9, v4, vcc_lo
	v_mov_b32_e32 v4, 0
	s_branch .LBB6_9149
.LBB6_9148:                             ;   in Loop: Header=BB6_9149 Depth=2
	s_or_b32 exec_lo, exec_lo, s16
	v_add_nc_u32_e32 v4, v3, v4
	s_xor_b32 s16, s21, -1
	v_mov_b32_e32 v10, s22
	s_mov_b32 s21, 0
	s_mov_b32 s22, 2
	v_cmp_ge_i32_e32 vcc_lo, v4, v1
	s_or_b32 s16, s16, vcc_lo
	s_and_b32 s16, exec_lo, s16
	s_or_b32 s19, s16, s19
	s_andn2_b32 exec_lo, exec_lo, s19
	s_cbranch_execz .LBB6_9285
.LBB6_9149:                             ;   Parent Loop BB6_47 Depth=1
                                        ; =>  This Loop Header: Depth=2
                                        ;       Child Loop BB6_9157 Depth 3
                                        ;       Child Loop BB6_9181 Depth 3
	;; [unrolled: 1-line block ×9, first 2 shown]
	s_and_saveexec_b32 s17, s4
	s_cbranch_execz .LBB6_9151
; %bb.9150:                             ;   in Loop: Header=BB6_9149 Depth=2
	s_trap 2
	ds_read_b128 v[8:11], v0
	v_ashrrev_i32_e32 v12, 31, v4
	s_waitcnt lgkmcnt(0)
	v_add_co_u32 v13, vcc_lo, v10, v5
	v_add_co_ci_u32_e64 v14, null, v11, v16, vcc_lo
	v_add_co_u32 v8, vcc_lo, v8, v5
	v_add_co_ci_u32_e64 v9, null, v9, v16, vcc_lo
	;; [unrolled: 2-line block ×3, first 2 shown]
	v_cmp_ne_u64_e32 vcc_lo, 0, v[10:11]
	v_add_co_u32 v8, s16, v8, v4
	v_add_co_ci_u32_e64 v9, null, v9, v12, s16
	v_cndmask_b32_e32 v11, 0, v14, vcc_lo
	v_cndmask_b32_e32 v10, 0, v13, vcc_lo
	ds_write_b64 v0, v[8:9]
	ds_write_b64 v0, v[10:11]
.LBB6_9151:                             ;   in Loop: Header=BB6_9149 Depth=2
	s_or_b32 exec_lo, exec_lo, s17
	v_and_b32_e32 v8, 4, v44
	s_mov_b32 s17, exec_lo
	v_cmpx_ne_u32_e32 0, v8
	s_cbranch_execz .LBB6_9173
; %bb.9152:                             ;   in Loop: Header=BB6_9149 Depth=2
	v_add_co_u32 v8, vcc_lo, v96, 2
	v_add_co_ci_u32_e64 v9, null, 0, v97, vcc_lo
	s_mov_b32 s23, exec_lo
	s_waitcnt vmcnt(0) lgkmcnt(1)
	v_cmpx_lt_u64_e64 v[80:81], v[8:9]
	s_cbranch_execz .LBB6_9164
; %bb.9153:                             ;   in Loop: Header=BB6_9149 Depth=2
	v_and_b32_e32 v10, 64, v44
	s_mov_b32 s61, 0
	s_mov_b32 s73, 0
                                        ; implicit-def: $sgpr62
                                        ; implicit-def: $sgpr63
                                        ; implicit-def: $sgpr72
	v_cmp_eq_u32_e32 vcc_lo, 0, v10
	s_branch .LBB6_9157
.LBB6_9154:                             ;   in Loop: Header=BB6_9157 Depth=3
	s_waitcnt vmcnt(0) lgkmcnt(0)
	v_cmp_ge_u64_e64 s16, v[80:81], v[8:9]
	s_or_b32 s76, s76, exec_lo
	s_orn2_b32 s75, s16, exec_lo
.LBB6_9155:                             ;   in Loop: Header=BB6_9157 Depth=3
	s_or_b32 exec_lo, exec_lo, s78
	s_andn2_b32 s16, s72, exec_lo
	s_and_b32 s72, s76, exec_lo
	s_andn2_b32 s63, s63, exec_lo
	s_and_b32 s75, s75, exec_lo
	s_or_b32 s72, s16, s72
	s_or_b32 s63, s63, s75
.LBB6_9156:                             ;   in Loop: Header=BB6_9157 Depth=3
	s_or_b32 exec_lo, exec_lo, s74
	s_and_b32 s16, exec_lo, s63
	s_or_b32 s61, s16, s61
	s_andn2_b32 s16, s62, exec_lo
	s_and_b32 s62, s72, exec_lo
	s_or_b32 s62, s16, s62
	s_andn2_b32 exec_lo, exec_lo, s61
	s_cbranch_execz .LBB6_9161
.LBB6_9157:                             ;   Parent Loop BB6_47 Depth=1
                                        ;     Parent Loop BB6_9149 Depth=2
                                        ; =>    This Inner Loop Header: Depth=3
	s_sleep 1
	s_waitcnt vmcnt(0) lgkmcnt(0)
	flat_load_dwordx2 v[80:81], v[64:65] glc dlc
	s_or_b32 s72, s72, exec_lo
	s_or_b32 s63, s63, exec_lo
                                        ; implicit-def: $vgpr10
	s_and_saveexec_b32 s74, vcc_lo
	s_cbranch_execz .LBB6_9156
; %bb.9158:                             ;   in Loop: Header=BB6_9157 Depth=3
	s_cmpk_lt_i32 s73, 0x270f
	s_mov_b32 s75, -1
	s_cselect_b32 s77, -1, 0
	s_cmpk_gt_i32 s73, 0x270e
	s_cbranch_scc0 .LBB6_9160
; %bb.9159:                             ;   in Loop: Header=BB6_9157 Depth=3
	s_trap 2
	ds_read_b64 v[10:11], v0
	s_andn2_b32 s73, s77, exec_lo
	s_mov_b32 s76, 0
	s_waitcnt vmcnt(0) lgkmcnt(0)
	s_waitcnt_vscnt null, 0x0
	flat_load_dword v10, v[10:11] glc dlc
	s_waitcnt vmcnt(0) lgkmcnt(0)
	buffer_gl1_inv
	buffer_gl0_inv
	v_cmp_eq_u32_e64 s16, 0, v10
	s_and_b32 s16, s16, exec_lo
	s_or_b32 s77, s73, s16
	s_mov_b32 s73, 0
	s_and_saveexec_b32 s78, s77
	s_cbranch_execz .LBB6_9155
	s_branch .LBB6_9154
.LBB6_9160:                             ;   in Loop: Header=BB6_9157 Depth=3
	s_add_i32 s73, s73, 1
	s_mov_b32 s76, -1
                                        ; implicit-def: $vgpr10
	s_and_saveexec_b32 s78, s77
	s_cbranch_execz .LBB6_9155
	s_branch .LBB6_9154
.LBB6_9161:                             ;   in Loop: Header=BB6_9149 Depth=2
	s_or_b32 exec_lo, exec_lo, s61
	s_xor_b32 s16, s62, -1
	s_and_saveexec_b32 s61, s16
	s_xor_b32 s16, exec_lo, s61
	s_cbranch_execz .LBB6_9163
; %bb.9162:                             ;   in Loop: Header=BB6_9149 Depth=2
	v_or_b32_e32 v44, 64, v44
	s_waitcnt vmcnt(0) lgkmcnt(0)
	s_waitcnt_vscnt null, 0x0
	ds_write_b32 v0, v10
	s_trap 2
.LBB6_9163:                             ;   in Loop: Header=BB6_9149 Depth=2
	s_or_b32 exec_lo, exec_lo, s16
.LBB6_9164:                             ;   in Loop: Header=BB6_9149 Depth=2
	s_or_b32 exec_lo, exec_lo, s23
	v_and_b32_e32 v10, 0x100, v44
	v_and_b32_e32 v14, 7, v96
	s_mov_b32 s16, -1
	;;#ASMSTART
	s_wakeup
	;;#ASMEND
	v_cmp_ne_u32_e32 vcc_lo, 0, v10
                                        ; implicit-def: $vgpr10_vgpr11
	s_and_saveexec_b32 s23, vcc_lo
	s_cbranch_execz .LBB6_9168
; %bb.9165:                             ;   in Loop: Header=BB6_9149 Depth=2
	v_mad_u64_u32 v[12:13], null, v14, 24, v[6:7]
	flat_load_dword v10, v[12:13]
	s_waitcnt vmcnt(0) lgkmcnt(0)
	v_cmp_eq_u32_e64 s16, 1, v10
	v_cmp_ne_u32_e32 vcc_lo, 1, v10
                                        ; implicit-def: $vgpr10_vgpr11
	s_and_saveexec_b32 s61, s16
	s_cbranch_execz .LBB6_9167
; %bb.9166:                             ;   in Loop: Header=BB6_9149 Depth=2
	flat_load_dword v10, v[12:13] offset:4 glc dlc
	s_waitcnt vmcnt(0) lgkmcnt(0)
	v_ashrrev_i32_e32 v11, 31, v10
.LBB6_9167:                             ;   in Loop: Header=BB6_9149 Depth=2
	s_or_b32 exec_lo, exec_lo, s61
	s_orn2_b32 s16, vcc_lo, exec_lo
.LBB6_9168:                             ;   in Loop: Header=BB6_9149 Depth=2
	s_or_b32 exec_lo, exec_lo, s23
	s_and_saveexec_b32 s23, s16
; %bb.9169:                             ;   in Loop: Header=BB6_9149 Depth=2
	v_mad_i64_i32 v[10:11], null, v14, v45, 0
; %bb.9170:                             ;   in Loop: Header=BB6_9149 Depth=2
	s_or_b32 exec_lo, exec_lo, s23
	v_add_co_u32 v10, vcc_lo, v66, v10
	v_and_b32_e32 v12, 0x2000, v44
	v_add_co_ci_u32_e64 v11, null, v67, v11, vcc_lo
	s_mov_b32 s16, exec_lo
	ds_write_b64 v0, v[10:11] offset:720
	v_cmpx_ne_u32_e32 0, v12
	s_cbranch_execz .LBB6_9172
; %bb.9171:                             ;   in Loop: Header=BB6_9149 Depth=2
	ds_read_b64 v[10:11], v0 offset:872
	s_waitcnt lgkmcnt(0)
	v_add_co_u32 v10, vcc_lo, v10, 1
	v_add_co_ci_u32_e64 v11, null, 0, v11, vcc_lo
	ds_write_b64 v0, v[10:11] offset:872
.LBB6_9172:                             ;   in Loop: Header=BB6_9149 Depth=2
	s_or_b32 exec_lo, exec_lo, s16
	v_mov_b32_e32 v97, v9
	v_mov_b32_e32 v96, v8
.LBB6_9173:                             ;   in Loop: Header=BB6_9149 Depth=2
	s_or_b32 exec_lo, exec_lo, s17
	s_and_saveexec_b32 s16, s6
	s_cbranch_execz .LBB6_9192
; %bb.9174:                             ;   in Loop: Header=BB6_9149 Depth=2
	s_and_saveexec_b32 s17, s29
	s_xor_b32 s17, exec_lo, s17
	s_cbranch_execz .LBB6_9189
; %bb.9175:                             ;   in Loop: Header=BB6_9149 Depth=2
	s_and_saveexec_b32 s23, s11
	s_cbranch_execz .LBB6_9188
; %bb.9176:                             ;   in Loop: Header=BB6_9149 Depth=2
	s_mov_b32 s62, exec_lo
	s_mov_b32 s61, exec_lo
	v_mbcnt_lo_u32_b32 v8, s62, 0
	s_waitcnt vmcnt(0) lgkmcnt(0)
	s_waitcnt_vscnt null, 0x0
	buffer_gl1_inv
	buffer_gl0_inv
	v_cmpx_eq_u32_e32 0, v8
	s_cbranch_execz .LBB6_9178
; %bb.9177:                             ;   in Loop: Header=BB6_9149 Depth=2
	s_bcnt1_i32_b32 s62, s62
	v_mov_b32_e32 v9, v2
	v_mov_b32_e32 v8, s62
	ds_add_u64 v0, v[8:9]
	s_trap 2
.LBB6_9178:                             ;   in Loop: Header=BB6_9149 Depth=2
	s_or_b32 exec_lo, exec_lo, s61
	s_trap 2
	ds_read_b64 v[8:9], v0
	s_waitcnt lgkmcnt(0)
	buffer_gl0_inv
	v_add_co_u32 v70, vcc_lo, v70, v47
	v_add_co_ci_u32_e64 v71, null, 0, v71, vcc_lo
	s_mov_b32 s61, exec_lo
	v_cmpx_lt_u64_e64 v[8:9], v[70:71]
	s_cbranch_execz .LBB6_9187
; %bb.9179:                             ;   in Loop: Header=BB6_9149 Depth=2
	s_mov_b32 s62, 0
	s_mov_b32 s73, 0
                                        ; implicit-def: $sgpr63
                                        ; implicit-def: $sgpr72
	s_inst_prefetch 0x1
	s_branch .LBB6_9181
	.p2align	6
.LBB6_9180:                             ;   in Loop: Header=BB6_9181 Depth=3
	s_or_b32 exec_lo, exec_lo, s75
	s_and_b32 s74, exec_lo, s76
	s_or_b32 s62, s74, s62
	s_andn2_b32 s63, s63, exec_lo
	s_and_b32 s74, s72, exec_lo
	s_or_b32 s63, s63, s74
	s_andn2_b32 exec_lo, exec_lo, s62
	s_cbranch_execz .LBB6_9185
.LBB6_9181:                             ;   Parent Loop BB6_47 Depth=1
                                        ;     Parent Loop BB6_9149 Depth=2
                                        ; =>    This Inner Loop Header: Depth=3
	s_add_i32 s73, s73, 1
	s_cmpk_lg_i32 s73, 0x2710
	s_cselect_b32 s74, -1, 0
	s_and_b32 vcc_lo, exec_lo, s74
	s_cbranch_vccz .LBB6_9183
; %bb.9182:                             ;   in Loop: Header=BB6_9181 Depth=3
	s_mov_b32 s76, -1
	s_or_b32 s72, s72, exec_lo
	s_and_saveexec_b32 s75, s74
	s_cbranch_execz .LBB6_9180
	s_branch .LBB6_9184
	.p2align	6
.LBB6_9183:                             ;   in Loop: Header=BB6_9181 Depth=3
	s_trap 2
	ds_read_b64 v[8:9], v0
	s_andn2_b32 s74, s74, exec_lo
	s_mov_b32 s73, 0
	s_waitcnt lgkmcnt(0)
	flat_load_dword v8, v[8:9] glc dlc
	s_waitcnt vmcnt(0) lgkmcnt(0)
	buffer_gl1_inv
	buffer_gl0_inv
	v_cmp_eq_u32_e32 vcc_lo, 0, v8
	s_and_b32 s75, vcc_lo, exec_lo
	s_or_b32 s74, s74, s75
	s_mov_b32 s76, -1
	s_or_b32 s72, s72, exec_lo
	s_and_saveexec_b32 s75, s74
	s_cbranch_execz .LBB6_9180
.LBB6_9184:                             ;   in Loop: Header=BB6_9181 Depth=3
	s_sleep 1
	s_trap 2
	ds_read_b64 v[8:9], v0
	s_waitcnt lgkmcnt(0)
	buffer_gl0_inv
	s_andn2_b32 s72, s72, exec_lo
	v_cmp_ge_u64_e32 vcc_lo, v[8:9], v[70:71]
	s_orn2_b32 s76, vcc_lo, exec_lo
	s_branch .LBB6_9180
.LBB6_9185:                             ;   in Loop: Header=BB6_9149 Depth=2
	s_inst_prefetch 0x2
	s_or_b32 exec_lo, exec_lo, s62
	s_and_saveexec_b32 s62, s63
	s_xor_b32 s62, exec_lo, s62
	s_cbranch_execz .LBB6_9187
; %bb.9186:                             ;   in Loop: Header=BB6_9149 Depth=2
	ds_write_b32 v0, v57
	s_trap 2
.LBB6_9187:                             ;   in Loop: Header=BB6_9149 Depth=2
	s_or_b32 exec_lo, exec_lo, s61
	;;#ASMSTART
	s_wakeup
	;;#ASMEND
.LBB6_9188:                             ;   in Loop: Header=BB6_9149 Depth=2
	s_or_b32 exec_lo, exec_lo, s23
.LBB6_9189:                             ;   in Loop: Header=BB6_9149 Depth=2
	s_andn2_saveexec_b32 s17, s17
	s_cbranch_execz .LBB6_9191
; %bb.9190:                             ;   in Loop: Header=BB6_9149 Depth=2
	s_waitcnt vmcnt(0) lgkmcnt(0)
	s_waitcnt_vscnt null, 0x0
	buffer_gl1_inv
	buffer_gl0_inv
	s_barrier
.LBB6_9191:                             ;   in Loop: Header=BB6_9149 Depth=2
	s_or_b32 exec_lo, exec_lo, s17
.LBB6_9192:                             ;   in Loop: Header=BB6_9149 Depth=2
	s_or_b32 exec_lo, exec_lo, s16
	s_trap 2
	ds_read_b32 v12, v0
	v_and_b32_e32 v8, 0x4000, v44
	s_xor_b32 s16, s5, -1
	v_cmp_ne_u32_e32 vcc_lo, 0, v8
	s_and_b32 s17, s16, vcc_lo
	s_and_saveexec_b32 s16, s17
	s_cbranch_execz .LBB6_9211
; %bb.9193:                             ;   in Loop: Header=BB6_9149 Depth=2
	s_and_saveexec_b32 s17, s29
	s_xor_b32 s17, exec_lo, s17
	s_cbranch_execz .LBB6_9208
; %bb.9194:                             ;   in Loop: Header=BB6_9149 Depth=2
	s_and_saveexec_b32 s23, s11
	s_cbranch_execz .LBB6_9207
; %bb.9195:                             ;   in Loop: Header=BB6_9149 Depth=2
	s_mov_b32 s62, exec_lo
	s_mov_b32 s61, exec_lo
	v_mbcnt_lo_u32_b32 v8, s62, 0
	s_waitcnt vmcnt(0) lgkmcnt(0)
	s_waitcnt_vscnt null, 0x0
	buffer_gl1_inv
	buffer_gl0_inv
	v_cmpx_eq_u32_e32 0, v8
	s_cbranch_execz .LBB6_9197
; %bb.9196:                             ;   in Loop: Header=BB6_9149 Depth=2
	s_bcnt1_i32_b32 s62, s62
	v_mov_b32_e32 v9, v2
	v_mov_b32_e32 v8, s62
	ds_add_u64 v0, v[8:9]
	s_trap 2
.LBB6_9197:                             ;   in Loop: Header=BB6_9149 Depth=2
	s_or_b32 exec_lo, exec_lo, s61
	s_trap 2
	ds_read_b64 v[8:9], v0
	s_waitcnt lgkmcnt(0)
	buffer_gl0_inv
	v_add_co_u32 v70, vcc_lo, v70, v47
	v_add_co_ci_u32_e64 v71, null, 0, v71, vcc_lo
	s_mov_b32 s61, exec_lo
	v_cmpx_lt_u64_e64 v[8:9], v[70:71]
	s_cbranch_execz .LBB6_9206
; %bb.9198:                             ;   in Loop: Header=BB6_9149 Depth=2
	s_mov_b32 s62, 0
	s_mov_b32 s73, 0
                                        ; implicit-def: $sgpr63
                                        ; implicit-def: $sgpr72
	s_inst_prefetch 0x1
	s_branch .LBB6_9200
	.p2align	6
.LBB6_9199:                             ;   in Loop: Header=BB6_9200 Depth=3
	s_or_b32 exec_lo, exec_lo, s75
	s_and_b32 s74, exec_lo, s76
	s_or_b32 s62, s74, s62
	s_andn2_b32 s63, s63, exec_lo
	s_and_b32 s74, s72, exec_lo
	s_or_b32 s63, s63, s74
	s_andn2_b32 exec_lo, exec_lo, s62
	s_cbranch_execz .LBB6_9204
.LBB6_9200:                             ;   Parent Loop BB6_47 Depth=1
                                        ;     Parent Loop BB6_9149 Depth=2
                                        ; =>    This Inner Loop Header: Depth=3
	s_add_i32 s73, s73, 1
	s_cmpk_lg_i32 s73, 0x2710
	s_cselect_b32 s74, -1, 0
	s_and_b32 vcc_lo, exec_lo, s74
	s_cbranch_vccz .LBB6_9202
; %bb.9201:                             ;   in Loop: Header=BB6_9200 Depth=3
	s_mov_b32 s76, -1
	s_or_b32 s72, s72, exec_lo
	s_and_saveexec_b32 s75, s74
	s_cbranch_execz .LBB6_9199
	s_branch .LBB6_9203
	.p2align	6
.LBB6_9202:                             ;   in Loop: Header=BB6_9200 Depth=3
	s_trap 2
	ds_read_b64 v[8:9], v0
	s_andn2_b32 s74, s74, exec_lo
	s_mov_b32 s73, 0
	s_waitcnt lgkmcnt(0)
	flat_load_dword v8, v[8:9] glc dlc
	s_waitcnt vmcnt(0) lgkmcnt(0)
	buffer_gl1_inv
	buffer_gl0_inv
	v_cmp_eq_u32_e32 vcc_lo, 0, v8
	s_and_b32 s75, vcc_lo, exec_lo
	s_or_b32 s74, s74, s75
	s_mov_b32 s76, -1
	s_or_b32 s72, s72, exec_lo
	s_and_saveexec_b32 s75, s74
	s_cbranch_execz .LBB6_9199
.LBB6_9203:                             ;   in Loop: Header=BB6_9200 Depth=3
	s_sleep 1
	s_trap 2
	ds_read_b64 v[8:9], v0
	s_waitcnt lgkmcnt(0)
	buffer_gl0_inv
	s_andn2_b32 s72, s72, exec_lo
	v_cmp_ge_u64_e32 vcc_lo, v[8:9], v[70:71]
	s_orn2_b32 s76, vcc_lo, exec_lo
	s_branch .LBB6_9199
.LBB6_9204:                             ;   in Loop: Header=BB6_9149 Depth=2
	s_inst_prefetch 0x2
	s_or_b32 exec_lo, exec_lo, s62
	s_and_saveexec_b32 s62, s63
	s_xor_b32 s62, exec_lo, s62
	s_cbranch_execz .LBB6_9206
; %bb.9205:                             ;   in Loop: Header=BB6_9149 Depth=2
	ds_write_b32 v0, v57
	s_trap 2
.LBB6_9206:                             ;   in Loop: Header=BB6_9149 Depth=2
	s_or_b32 exec_lo, exec_lo, s61
	;;#ASMSTART
	s_wakeup
	;;#ASMEND
.LBB6_9207:                             ;   in Loop: Header=BB6_9149 Depth=2
	s_or_b32 exec_lo, exec_lo, s23
.LBB6_9208:                             ;   in Loop: Header=BB6_9149 Depth=2
	s_andn2_saveexec_b32 s17, s17
	s_cbranch_execz .LBB6_9210
; %bb.9209:                             ;   in Loop: Header=BB6_9149 Depth=2
	s_waitcnt vmcnt(0) lgkmcnt(0)
	s_waitcnt_vscnt null, 0x0
	buffer_gl1_inv
	buffer_gl0_inv
	s_barrier
.LBB6_9210:                             ;   in Loop: Header=BB6_9149 Depth=2
	s_or_b32 exec_lo, exec_lo, s17
.LBB6_9211:                             ;   in Loop: Header=BB6_9149 Depth=2
	s_or_b32 exec_lo, exec_lo, s16
	s_trap 2
	ds_read_b64 v[8:9], v0
	v_sub_nc_u32_e32 v10, v1, v4
	v_min_i32_e32 v3, v3, v10
	s_waitcnt lgkmcnt(0)
	v_cmp_eq_u64_e32 vcc_lo, 0, v[8:9]
	s_cbranch_vccnz .LBB6_9219
; %bb.9212:                             ;   in Loop: Header=BB6_9149 Depth=2
	s_trap 2
	ds_read_b64 v[10:11], v0
	s_waitcnt lgkmcnt(0)
	v_cmp_eq_u64_e32 vcc_lo, 0, v[10:11]
	s_cbranch_vccnz .LBB6_9219
; %bb.9213:                             ;   in Loop: Header=BB6_9149 Depth=2
	s_mov_b32 s16, -1
	s_and_saveexec_b32 s17, s14
	s_cbranch_execz .LBB6_9215
; %bb.9214:                             ;   in Loop: Header=BB6_9149 Depth=2
	ds_read_b32 v13, v0 offset:720
	s_waitcnt lgkmcnt(0)
	v_and_b32_e32 v13, 15, v13
	v_cmp_eq_u32_e32 vcc_lo, 0, v13
	s_orn2_b32 s16, vcc_lo, exec_lo
.LBB6_9215:                             ;   in Loop: Header=BB6_9149 Depth=2
	s_or_b32 exec_lo, exec_lo, s17
	s_and_saveexec_b32 s17, s12
	s_cbranch_execz .LBB6_9217
; %bb.9216:                             ;   in Loop: Header=BB6_9149 Depth=2
	ds_read_b32 v13, v0 offset:784
	s_waitcnt lgkmcnt(0)
	v_and_b32_e32 v13, 15, v13
	v_cmp_eq_u32_e32 vcc_lo, 0, v13
	s_and_b32 s23, s16, vcc_lo
	s_andn2_b32 s16, s16, exec_lo
	s_and_b32 s23, s23, exec_lo
	s_or_b32 s16, s16, s23
.LBB6_9217:                             ;   in Loop: Header=BB6_9149 Depth=2
	s_or_b32 exec_lo, exec_lo, s17
	v_cmp_eq_u32_e32 vcc_lo, 0, v12
	s_xor_b32 s16, s16, -1
	v_mov_b32_e32 v12, 0
	v_cndmask_b32_e64 v13, 0, 1, s16
	v_mov_b32_e32 v14, v0
	v_cndmask_b32_e32 v17, 0, v3, vcc_lo
	v_mov_b32_e32 v22, v89
	s_mov_b32 s16, -1
	v_cmp_ne_u32_e32 vcc_lo, 0, v13
	v_mov_b32_e32 v13, v17
	s_cbranch_vccz .LBB6_9224
; %bb.9218:                             ;   in Loop: Header=BB6_9149 Depth=2
	s_and_saveexec_b32 s17, s16
	s_cbranch_execnz .LBB6_9237
	s_branch .LBB6_9245
.LBB6_9219:                             ;   in Loop: Header=BB6_9149 Depth=2
	s_mov_b32 s16, 0
	s_and_saveexec_b32 s17, s6
	s_cbranch_execnz .LBB6_9246
.LBB6_9220:                             ;   in Loop: Header=BB6_9149 Depth=2
	s_or_b32 exec_lo, exec_lo, s17
	s_and_saveexec_b32 s17, s13
	s_xor_b32 s17, exec_lo, s17
	s_cbranch_execz .LBB6_9264
.LBB6_9221:                             ;   in Loop: Header=BB6_9149 Depth=2
	v_and_b32_e32 v8, 16, v44
	v_cmp_ne_u32_e32 vcc_lo, 0, v8
	s_and_b32 s23, vcc_lo, s16
	s_and_saveexec_b32 s16, s23
	s_cbranch_execz .LBB6_9223
; %bb.9222:                             ;   in Loop: Header=BB6_9149 Depth=2
	s_waitcnt vmcnt(0) lgkmcnt(0)
	s_waitcnt_vscnt null, 0x0
	buffer_gl1_inv
	buffer_gl0_inv
.LBB6_9223:                             ;   in Loop: Header=BB6_9149 Depth=2
	s_or_b32 exec_lo, exec_lo, s16
	s_andn2_saveexec_b32 s16, s17
	s_cbranch_execz .LBB6_9283
	s_branch .LBB6_9265
.LBB6_9224:                             ;   in Loop: Header=BB6_9149 Depth=2
	v_ashrrev_i32_e32 v12, 31, v17
	s_mov_b32 s17, exec_lo
	v_lshrrev_b32_e32 v12, 20, v12
	v_add_nc_u32_e32 v12, v17, v12
	v_ashrrev_i32_e32 v19, 12, v12
	v_sub_nc_u32_e32 v18, v19, v89
	v_cmpx_lt_i32_e32 0, v18
	s_cbranch_execz .LBB6_9228
; %bb.9225:                             ;   in Loop: Header=BB6_9149 Depth=2
	v_mov_b32_e32 v13, v11
	v_mov_b32_e32 v15, v9
	;; [unrolled: 1-line block ×4, first 2 shown]
	s_mov_b32 s23, 0
.LBB6_9226:                             ;   Parent Loop BB6_47 Depth=1
                                        ;     Parent Loop BB6_9149 Depth=2
                                        ; =>    This Inner Loop Header: Depth=3
	v_add_co_u32 v32, vcc_lo, v94, v14
	v_add_co_ci_u32_e64 v33, null, v106, v15, vcc_lo
	v_sub_nc_u32_e32 v18, v18, v47
	v_add_co_u32 v82, vcc_lo, 0x800, v32
	v_add_co_ci_u32_e64 v83, null, 0, v33, vcc_lo
	s_clause 0x3
	global_load_dwordx4 v[20:23], v[32:33], off slc
	global_load_dwordx4 v[24:27], v[32:33], off offset:512 slc
	global_load_dwordx4 v[28:31], v[32:33], off offset:1024 slc
	;; [unrolled: 1-line block ×3, first 2 shown]
	s_clause 0x3
	global_load_dwordx4 v[36:39], v[82:83], off slc
	global_load_dwordx4 v[48:51], v[82:83], off offset:512 slc
	global_load_dwordx4 v[52:55], v[82:83], off offset:1024 slc
	;; [unrolled: 1-line block ×3, first 2 shown]
	v_add_co_u32 v86, vcc_lo, v94, v12
	v_add_co_ci_u32_e64 v87, null, v106, v13, vcc_lo
	v_add_co_u32 v14, vcc_lo, v14, v74
	v_add_co_ci_u32_e64 v15, null, 0, v15, vcc_lo
	v_add_co_u32 v12, vcc_lo, v12, v74
	v_add_co_ci_u32_e64 v13, null, 0, v13, vcc_lo
	v_cmp_gt_i32_e32 vcc_lo, 1, v18
	v_add_co_u32 v98, s16, 0x800, v86
	v_add_co_ci_u32_e64 v99, null, 0, v87, s16
	s_or_b32 s23, vcc_lo, s23
	s_waitcnt vmcnt(7)
	global_store_dwordx4 v[86:87], v[20:23], off glc slc
	s_waitcnt vmcnt(6)
	global_store_dwordx4 v[86:87], v[24:27], off offset:512 glc slc
	s_waitcnt vmcnt(5)
	global_store_dwordx4 v[86:87], v[28:31], off offset:1024 glc slc
	;; [unrolled: 2-line block ×3, first 2 shown]
	s_waitcnt vmcnt(3)
	global_store_dwordx4 v[98:99], v[36:39], off glc slc
	s_waitcnt vmcnt(2)
	global_store_dwordx4 v[98:99], v[48:51], off offset:512 glc slc
	s_waitcnt vmcnt(1)
	global_store_dwordx4 v[98:99], v[52:55], off offset:1024 glc slc
	;; [unrolled: 2-line block ×3, first 2 shown]
	s_andn2_b32 exec_lo, exec_lo, s23
	s_cbranch_execnz .LBB6_9226
; %bb.9227:                             ;   in Loop: Header=BB6_9149 Depth=2
	s_or_b32 exec_lo, exec_lo, s23
.LBB6_9228:                             ;   in Loop: Header=BB6_9149 Depth=2
	s_or_b32 exec_lo, exec_lo, s17
	v_lshlrev_b32_e32 v15, 12, v19
	v_mov_b32_e32 v12, 0
	s_mov_b32 s16, 0
	s_mov_b32 s23, exec_lo
                                        ; implicit-def: $vgpr13
                                        ; implicit-def: $vgpr14
                                        ; implicit-def: $vgpr22
	v_cmpx_ne_u32_e64 v17, v15
	s_cbranch_execz .LBB6_9236
; %bb.9229:                             ;   in Loop: Header=BB6_9149 Depth=2
	buffer_load_dword v13, off, s[0:3], s33 offset:200 ; 4-byte Folded Reload
	v_lshlrev_b32_e32 v12, 5, v18
	v_sub_nc_u32_e32 v14, v17, v15
	s_mov_b32 s61, exec_lo
	v_ashrrev_i32_e32 v18, 31, v14
	v_lshrrev_b32_e32 v18, 23, v18
	v_add_nc_u32_e32 v21, v14, v18
	v_and_b32_e32 v18, 0xfffffe00, v21
	v_ashrrev_i32_e32 v21, 9, v21
	v_sub_nc_u32_e32 v20, v14, v18
	v_cmp_lt_i32_e32 vcc_lo, 15, v20
	v_add_co_ci_u32_e64 v21, null, 0, v21, vcc_lo
	s_waitcnt vmcnt(0)
	v_sub_nc_u32_e32 v12, v13, v12
	v_ashrrev_i32_e32 v13, 31, v12
	v_lshrrev_b32_e32 v13, 27, v13
	v_add_nc_u32_e32 v13, v12, v13
	v_and_b32_e32 v19, 0xffffffe0, v13
	v_ashrrev_i32_e32 v22, 5, v13
	v_sub_nc_u32_e32 v19, v12, v19
	v_sub_nc_u32_e32 v21, v21, v22
	v_lshlrev_b32_e32 v12, 4, v19
	v_lshl_add_u32 v13, v22, 9, v12
	v_sub_nc_u32_e32 v12, v14, v13
	v_cmpx_lt_i32_e32 15, v12
	s_cbranch_execz .LBB6_9233
; %bb.9230:                             ;   in Loop: Header=BB6_9149 Depth=2
	v_add_nc_u32_e32 v13, v13, v15
	s_mov_b32 s62, 0
	v_ashrrev_i32_e32 v14, 31, v13
	.p2align	6
.LBB6_9231:                             ;   Parent Loop BB6_47 Depth=1
                                        ;     Parent Loop BB6_9149 Depth=2
                                        ; =>    This Inner Loop Header: Depth=3
	v_add_co_u32 v22, s16, v8, v13
	v_add_co_ci_u32_e64 v23, null, v9, v14, s16
	v_sub_nc_u32_e32 v12, v12, v75
	v_add_co_u32 v26, s16, v10, v13
	global_load_dwordx4 v[22:25], v[22:23], off slc
	v_add_co_ci_u32_e64 v27, null, v11, v14, s16
	v_cmp_gt_i32_e64 s16, 16, v12
	v_add_co_u32 v13, s17, v13, v75
	v_sub_nc_u32_e32 v21, v21, v47
	v_add_co_ci_u32_e64 v14, null, 0, v14, s17
	s_or_b32 s62, s16, s62
	s_waitcnt vmcnt(0)
	global_store_dwordx4 v[26:27], v[22:25], off glc slc
	s_andn2_b32 exec_lo, exec_lo, s62
	s_cbranch_execnz .LBB6_9231
; %bb.9232:                             ;   in Loop: Header=BB6_9149 Depth=2
	s_or_b32 exec_lo, exec_lo, s62
.LBB6_9233:                             ;   in Loop: Header=BB6_9149 Depth=2
	s_or_b32 exec_lo, exec_lo, s61
	v_and_b32_e32 v23, 15, v17
	v_mov_b32_e32 v12, 0
	s_mov_b32 s17, 0
	s_mov_b32 s61, exec_lo
                                        ; implicit-def: $vgpr14
                                        ; implicit-def: $vgpr22
	v_cndmask_b32_e32 v13, v20, v23, vcc_lo
	v_cmpx_ne_u32_e32 0, v13
	s_cbranch_execz .LBB6_9235
; %bb.9234:                             ;   in Loop: Header=BB6_9149 Depth=2
	v_cmp_lt_i32_e64 s16, 0, v21
	s_mov_b32 s17, exec_lo
	v_cndmask_b32_e64 v12, 0, v47, s16
	v_sub_nc_u32_e32 v12, v12, v21
	v_lshl_add_u32 v14, v12, 5, v19
	v_sub_nc_u32_e32 v19, v20, v23
	v_ashrrev_i32_e32 v12, 31, v14
	v_cndmask_b32_e32 v19, 0, v19, vcc_lo
	v_lshrrev_b32_e32 v12, 27, v12
	v_add_nc_u32_e32 v20, v14, v12
	v_add3_u32 v12, v18, v15, v19
	v_ashrrev_i32_e32 v22, 5, v20
.LBB6_9235:                             ;   in Loop: Header=BB6_9149 Depth=2
	s_or_b32 exec_lo, exec_lo, s61
	s_and_b32 s16, s17, exec_lo
.LBB6_9236:                             ;   in Loop: Header=BB6_9149 Depth=2
	s_or_b32 exec_lo, exec_lo, s23
	s_and_saveexec_b32 s17, s16
	s_cbranch_execz .LBB6_9245
.LBB6_9237:                             ;   in Loop: Header=BB6_9149 Depth=2
	v_ashrrev_i32_e32 v15, 31, v13
	v_ashrrev_i32_e32 v18, 31, v14
	s_mov_b32 s16, exec_lo
	v_lshrrev_b32_e32 v15, 22, v15
	v_lshrrev_b32_e32 v18, 27, v18
	v_add_nc_u32_e32 v15, v13, v15
	v_ashrrev_i32_e32 v19, 10, v15
	v_sub_nc_u32_e32 v15, v19, v22
	v_cmpx_lt_i32_e32 0, v15
	s_cbranch_execz .LBB6_9241
; %bb.9238:                             ;   in Loop: Header=BB6_9149 Depth=2
	v_add_nc_u32_e32 v20, v14, v18
	v_lshlrev_b32_e32 v21, 10, v22
	s_mov_b32 s23, 0
	v_and_b32_e32 v20, 0xffffffe0, v20
	v_sub_nc_u32_e32 v20, v14, v20
	v_add3_u32 v20, v12, v20, v21
	v_ashrrev_i32_e32 v21, 31, v20
.LBB6_9239:                             ;   Parent Loop BB6_47 Depth=1
                                        ;     Parent Loop BB6_9149 Depth=2
                                        ; =>    This Inner Loop Header: Depth=3
	v_add_co_u32 v22, vcc_lo, v20, v8
	v_add_co_ci_u32_e64 v23, null, v21, v9, vcc_lo
	v_sub_nc_u32_e32 v15, v15, v47
	s_clause 0x1f
	flat_load_ubyte v24, v[22:23] slc
	flat_load_ubyte v25, v[22:23] offset:32 slc
	flat_load_ubyte v26, v[22:23] offset:64 slc
	;; [unrolled: 1-line block ×31, first 2 shown]
	v_add_co_u32 v22, vcc_lo, v20, v10
	v_add_co_ci_u32_e64 v23, null, v21, v11, vcc_lo
	v_add_co_u32 v8, vcc_lo, v8, v76
	v_add_co_ci_u32_e64 v9, null, 0, v9, vcc_lo
	;; [unrolled: 2-line block ×3, first 2 shown]
	v_cmp_gt_i32_e32 vcc_lo, 1, v15
	s_waitcnt vmcnt(31) lgkmcnt(31)
	flat_store_byte v[22:23], v24 glc slc
	s_waitcnt vmcnt(30) lgkmcnt(31)
	flat_store_byte v[22:23], v25 offset:32 glc slc
	s_waitcnt vmcnt(29) lgkmcnt(31)
	flat_store_byte v[22:23], v26 offset:64 glc slc
	s_waitcnt vmcnt(28) lgkmcnt(31)
	flat_store_byte v[22:23], v27 offset:96 glc slc
	s_waitcnt vmcnt(27) lgkmcnt(31)
	flat_store_byte v[22:23], v28 offset:128 glc slc
	s_waitcnt vmcnt(26) lgkmcnt(31)
	flat_store_byte v[22:23], v29 offset:160 glc slc
	s_waitcnt vmcnt(25) lgkmcnt(31)
	flat_store_byte v[22:23], v30 offset:192 glc slc
	s_waitcnt vmcnt(24) lgkmcnt(31)
	flat_store_byte v[22:23], v31 offset:224 glc slc
	s_waitcnt vmcnt(23) lgkmcnt(31)
	flat_store_byte v[22:23], v32 offset:256 glc slc
	s_waitcnt vmcnt(22) lgkmcnt(31)
	flat_store_byte v[22:23], v33 offset:288 glc slc
	s_waitcnt vmcnt(21) lgkmcnt(31)
	flat_store_byte v[22:23], v34 offset:320 glc slc
	s_waitcnt vmcnt(20) lgkmcnt(31)
	flat_store_byte v[22:23], v35 offset:352 glc slc
	s_waitcnt vmcnt(19) lgkmcnt(31)
	flat_store_byte v[22:23], v36 offset:384 glc slc
	s_waitcnt vmcnt(18) lgkmcnt(31)
	flat_store_byte v[22:23], v37 offset:416 glc slc
	s_waitcnt vmcnt(17) lgkmcnt(31)
	flat_store_byte v[22:23], v38 offset:448 glc slc
	s_waitcnt vmcnt(16) lgkmcnt(31)
	flat_store_byte v[22:23], v39 offset:480 glc slc
	s_waitcnt vmcnt(15) lgkmcnt(31)
	flat_store_byte v[22:23], v48 offset:512 glc slc
	s_waitcnt vmcnt(14) lgkmcnt(31)
	flat_store_byte v[22:23], v49 offset:544 glc slc
	s_waitcnt vmcnt(13) lgkmcnt(31)
	flat_store_byte v[22:23], v50 offset:576 glc slc
	s_waitcnt vmcnt(12) lgkmcnt(31)
	flat_store_byte v[22:23], v51 offset:608 glc slc
	s_waitcnt vmcnt(11) lgkmcnt(31)
	flat_store_byte v[22:23], v52 offset:640 glc slc
	s_waitcnt vmcnt(10) lgkmcnt(31)
	flat_store_byte v[22:23], v53 offset:672 glc slc
	s_waitcnt vmcnt(9) lgkmcnt(31)
	flat_store_byte v[22:23], v54 offset:704 glc slc
	s_waitcnt vmcnt(8) lgkmcnt(31)
	flat_store_byte v[22:23], v55 offset:736 glc slc
	s_waitcnt vmcnt(7) lgkmcnt(31)
	flat_store_byte v[22:23], v82 offset:768 glc slc
	s_waitcnt vmcnt(6) lgkmcnt(31)
	flat_store_byte v[22:23], v83 offset:800 glc slc
	s_waitcnt vmcnt(5) lgkmcnt(31)
	flat_store_byte v[22:23], v84 offset:832 glc slc
	s_waitcnt vmcnt(4) lgkmcnt(31)
	flat_store_byte v[22:23], v85 offset:864 glc slc
	s_waitcnt vmcnt(3) lgkmcnt(31)
	flat_store_byte v[22:23], v86 offset:896 glc slc
	s_waitcnt vmcnt(2) lgkmcnt(31)
	flat_store_byte v[22:23], v87 offset:928 glc slc
	s_waitcnt vmcnt(1) lgkmcnt(31)
	flat_store_byte v[22:23], v98 offset:960 glc slc
	s_waitcnt vmcnt(0) lgkmcnt(31)
	flat_store_byte v[22:23], v99 offset:992 glc slc
	s_or_b32 s23, vcc_lo, s23
	s_andn2_b32 exec_lo, exec_lo, s23
	s_cbranch_execnz .LBB6_9239
; %bb.9240:                             ;   in Loop: Header=BB6_9149 Depth=2
	s_or_b32 exec_lo, exec_lo, s23
.LBB6_9241:                             ;   in Loop: Header=BB6_9149 Depth=2
	s_or_b32 exec_lo, exec_lo, s16
	v_lshlrev_b32_e32 v8, 10, v19
	v_cmp_ne_u32_e32 vcc_lo, v13, v8
	s_and_b32 exec_lo, exec_lo, vcc_lo
	s_cbranch_execz .LBB6_9245
; %bb.9242:                             ;   in Loop: Header=BB6_9149 Depth=2
	v_add_nc_u32_e32 v9, v14, v18
	v_lshlrev_b32_e32 v10, 5, v15
	v_and_b32_e32 v9, 0xffffffe0, v9
	v_sub_nc_u32_e32 v9, v14, v9
	v_sub_nc_u32_e32 v9, v9, v10
	v_add_nc_u32_e32 v11, v8, v9
	v_sub_nc_u32_e32 v10, v13, v11
	v_cmp_lt_i32_e32 vcc_lo, 0, v10
	s_and_b32 exec_lo, exec_lo, vcc_lo
	s_cbranch_execz .LBB6_9245
; %bb.9243:                             ;   in Loop: Header=BB6_9149 Depth=2
	s_trap 2
	ds_read_b64 v[8:9], v0
	v_add_nc_u32_e32 v11, v11, v12
	s_mov_b32 s23, 0
	v_ashrrev_i32_e32 v12, 31, v11
	.p2align	6
.LBB6_9244:                             ;   Parent Loop BB6_47 Depth=1
                                        ;     Parent Loop BB6_9149 Depth=2
                                        ; =>    This Inner Loop Header: Depth=3
	s_waitcnt lgkmcnt(0)
	v_add_co_u32 v13, vcc_lo, v8, v11
	v_add_co_ci_u32_e64 v14, null, v9, v12, vcc_lo
	v_sub_nc_u32_e32 v10, v10, v56
	v_add_co_u32 v11, s16, v11, v56
	flat_load_ubyte v15, v[13:14] slc
	v_add_co_ci_u32_e64 v12, null, 0, v12, s16
	v_cmp_gt_i32_e32 vcc_lo, 1, v10
	s_or_b32 s23, vcc_lo, s23
	s_waitcnt vmcnt(0) lgkmcnt(0)
	flat_store_byte v[13:14], v15 glc slc
	s_andn2_b32 exec_lo, exec_lo, s23
	s_cbranch_execnz .LBB6_9244
.LBB6_9245:                             ;   in Loop: Header=BB6_9149 Depth=2
	s_or_b32 exec_lo, exec_lo, s17
	v_cmp_lt_i32_e64 s16, 0, v17
	s_and_saveexec_b32 s17, s6
	s_cbranch_execz .LBB6_9220
.LBB6_9246:                             ;   in Loop: Header=BB6_9149 Depth=2
	s_and_saveexec_b32 s23, s29
	s_xor_b32 s23, exec_lo, s23
	s_cbranch_execz .LBB6_9261
; %bb.9247:                             ;   in Loop: Header=BB6_9149 Depth=2
	s_and_saveexec_b32 s61, s11
	s_cbranch_execz .LBB6_9260
; %bb.9248:                             ;   in Loop: Header=BB6_9149 Depth=2
	s_mov_b32 s63, exec_lo
	s_mov_b32 s62, exec_lo
	v_mbcnt_lo_u32_b32 v8, s63, 0
	s_waitcnt vmcnt(0) lgkmcnt(0)
	s_waitcnt_vscnt null, 0x0
	buffer_gl1_inv
	buffer_gl0_inv
	v_cmpx_eq_u32_e32 0, v8
	s_cbranch_execz .LBB6_9250
; %bb.9249:                             ;   in Loop: Header=BB6_9149 Depth=2
	s_bcnt1_i32_b32 s63, s63
	v_mov_b32_e32 v9, v2
	v_mov_b32_e32 v8, s63
	ds_add_u64 v0, v[8:9]
	s_trap 2
.LBB6_9250:                             ;   in Loop: Header=BB6_9149 Depth=2
	s_or_b32 exec_lo, exec_lo, s62
	s_trap 2
	ds_read_b64 v[8:9], v0
	s_waitcnt lgkmcnt(0)
	buffer_gl0_inv
	v_add_co_u32 v70, vcc_lo, v70, v47
	v_add_co_ci_u32_e64 v71, null, 0, v71, vcc_lo
	s_mov_b32 s62, exec_lo
	v_cmpx_lt_u64_e64 v[8:9], v[70:71]
	s_cbranch_execz .LBB6_9259
; %bb.9251:                             ;   in Loop: Header=BB6_9149 Depth=2
	s_mov_b32 s63, 0
	s_mov_b32 s74, 0
                                        ; implicit-def: $sgpr72
                                        ; implicit-def: $sgpr73
	s_inst_prefetch 0x1
	s_branch .LBB6_9253
	.p2align	6
.LBB6_9252:                             ;   in Loop: Header=BB6_9253 Depth=3
	s_or_b32 exec_lo, exec_lo, s76
	s_and_b32 s75, exec_lo, s77
	s_or_b32 s63, s75, s63
	s_andn2_b32 s72, s72, exec_lo
	s_and_b32 s75, s73, exec_lo
	s_or_b32 s72, s72, s75
	s_andn2_b32 exec_lo, exec_lo, s63
	s_cbranch_execz .LBB6_9257
.LBB6_9253:                             ;   Parent Loop BB6_47 Depth=1
                                        ;     Parent Loop BB6_9149 Depth=2
                                        ; =>    This Inner Loop Header: Depth=3
	s_add_i32 s74, s74, 1
	s_cmpk_lg_i32 s74, 0x2710
	s_cselect_b32 s75, -1, 0
	s_and_b32 vcc_lo, exec_lo, s75
	s_cbranch_vccz .LBB6_9255
; %bb.9254:                             ;   in Loop: Header=BB6_9253 Depth=3
	s_mov_b32 s77, -1
	s_or_b32 s73, s73, exec_lo
	s_and_saveexec_b32 s76, s75
	s_cbranch_execz .LBB6_9252
	s_branch .LBB6_9256
	.p2align	6
.LBB6_9255:                             ;   in Loop: Header=BB6_9253 Depth=3
	s_trap 2
	ds_read_b64 v[8:9], v0
	s_andn2_b32 s75, s75, exec_lo
	s_mov_b32 s74, 0
	s_waitcnt lgkmcnt(0)
	flat_load_dword v8, v[8:9] glc dlc
	s_waitcnt vmcnt(0) lgkmcnt(0)
	buffer_gl1_inv
	buffer_gl0_inv
	v_cmp_eq_u32_e32 vcc_lo, 0, v8
	s_and_b32 s76, vcc_lo, exec_lo
	s_or_b32 s75, s75, s76
	s_mov_b32 s77, -1
	s_or_b32 s73, s73, exec_lo
	s_and_saveexec_b32 s76, s75
	s_cbranch_execz .LBB6_9252
.LBB6_9256:                             ;   in Loop: Header=BB6_9253 Depth=3
	s_sleep 1
	s_trap 2
	ds_read_b64 v[8:9], v0
	s_waitcnt lgkmcnt(0)
	buffer_gl0_inv
	s_andn2_b32 s73, s73, exec_lo
	v_cmp_ge_u64_e32 vcc_lo, v[8:9], v[70:71]
	s_orn2_b32 s77, vcc_lo, exec_lo
	s_branch .LBB6_9252
.LBB6_9257:                             ;   in Loop: Header=BB6_9149 Depth=2
	s_inst_prefetch 0x2
	s_or_b32 exec_lo, exec_lo, s63
	s_and_saveexec_b32 s63, s72
	s_xor_b32 s63, exec_lo, s63
	s_cbranch_execz .LBB6_9259
; %bb.9258:                             ;   in Loop: Header=BB6_9149 Depth=2
	ds_write_b32 v0, v57
	s_trap 2
.LBB6_9259:                             ;   in Loop: Header=BB6_9149 Depth=2
	s_or_b32 exec_lo, exec_lo, s62
	;;#ASMSTART
	s_wakeup
	;;#ASMEND
.LBB6_9260:                             ;   in Loop: Header=BB6_9149 Depth=2
	s_or_b32 exec_lo, exec_lo, s61
.LBB6_9261:                             ;   in Loop: Header=BB6_9149 Depth=2
	s_andn2_saveexec_b32 s23, s23
	s_cbranch_execz .LBB6_9263
; %bb.9262:                             ;   in Loop: Header=BB6_9149 Depth=2
	s_waitcnt vmcnt(0) lgkmcnt(0)
	s_waitcnt_vscnt null, 0x0
	buffer_gl1_inv
	buffer_gl0_inv
	s_barrier
.LBB6_9263:                             ;   in Loop: Header=BB6_9149 Depth=2
	s_or_b32 exec_lo, exec_lo, s23
	s_or_b32 exec_lo, exec_lo, s17
	s_and_saveexec_b32 s17, s13
	s_xor_b32 s17, exec_lo, s17
	s_cbranch_execnz .LBB6_9221
.LBB6_9264:                             ;   in Loop: Header=BB6_9149 Depth=2
	s_andn2_saveexec_b32 s16, s17
	s_cbranch_execz .LBB6_9283
.LBB6_9265:                             ;   in Loop: Header=BB6_9149 Depth=2
	s_and_saveexec_b32 s17, s29
	s_xor_b32 s17, exec_lo, s17
	s_cbranch_execz .LBB6_9280
; %bb.9266:                             ;   in Loop: Header=BB6_9149 Depth=2
	s_and_saveexec_b32 s23, s11
	s_cbranch_execz .LBB6_9279
; %bb.9267:                             ;   in Loop: Header=BB6_9149 Depth=2
	s_mov_b32 s62, exec_lo
	s_mov_b32 s61, exec_lo
	v_mbcnt_lo_u32_b32 v8, s62, 0
	;;#ASMSTART
	s_waitcnt lgkmcnt(0) vmcnt(0)
	;;#ASMEND
	v_cmpx_eq_u32_e32 0, v8
	s_cbranch_execz .LBB6_9269
; %bb.9268:                             ;   in Loop: Header=BB6_9149 Depth=2
	s_bcnt1_i32_b32 s62, s62
	v_mov_b32_e32 v9, v2
	v_mov_b32_e32 v8, s62
	s_waitcnt vmcnt(0) lgkmcnt(0)
	s_waitcnt_vscnt null, 0x0
	ds_add_u64 v0, v[8:9]
	s_trap 2
.LBB6_9269:                             ;   in Loop: Header=BB6_9149 Depth=2
	s_or_b32 exec_lo, exec_lo, s61
	s_trap 2
	ds_read_b64 v[8:9], v0
	s_waitcnt vmcnt(0) lgkmcnt(0)
	buffer_gl0_inv
	v_add_co_u32 v70, vcc_lo, v70, v47
	v_add_co_ci_u32_e64 v71, null, 0, v71, vcc_lo
	s_mov_b32 s61, exec_lo
	v_cmpx_lt_u64_e64 v[8:9], v[70:71]
	s_cbranch_execz .LBB6_9278
; %bb.9270:                             ;   in Loop: Header=BB6_9149 Depth=2
	s_mov_b32 s62, 0
	s_mov_b32 s73, 0
                                        ; implicit-def: $sgpr63
                                        ; implicit-def: $sgpr72
	s_inst_prefetch 0x1
	s_branch .LBB6_9272
	.p2align	6
.LBB6_9271:                             ;   in Loop: Header=BB6_9272 Depth=3
	s_or_b32 exec_lo, exec_lo, s75
	s_and_b32 s74, exec_lo, s76
	s_or_b32 s62, s74, s62
	s_andn2_b32 s63, s63, exec_lo
	s_and_b32 s74, s72, exec_lo
	s_or_b32 s63, s63, s74
	s_andn2_b32 exec_lo, exec_lo, s62
	s_cbranch_execz .LBB6_9276
.LBB6_9272:                             ;   Parent Loop BB6_47 Depth=1
                                        ;     Parent Loop BB6_9149 Depth=2
                                        ; =>    This Inner Loop Header: Depth=3
	s_add_i32 s73, s73, 1
	s_cmpk_lg_i32 s73, 0x2710
	s_cselect_b32 s74, -1, 0
	s_and_b32 vcc_lo, exec_lo, s74
	s_cbranch_vccz .LBB6_9274
; %bb.9273:                             ;   in Loop: Header=BB6_9272 Depth=3
	s_mov_b32 s76, -1
	s_or_b32 s72, s72, exec_lo
	s_and_saveexec_b32 s75, s74
	s_cbranch_execz .LBB6_9271
	s_branch .LBB6_9275
	.p2align	6
.LBB6_9274:                             ;   in Loop: Header=BB6_9272 Depth=3
	s_trap 2
	ds_read_b64 v[8:9], v0
	s_andn2_b32 s74, s74, exec_lo
	s_mov_b32 s73, 0
	s_waitcnt lgkmcnt(0)
	s_waitcnt_vscnt null, 0x0
	flat_load_dword v8, v[8:9] glc dlc
	s_waitcnt vmcnt(0) lgkmcnt(0)
	buffer_gl1_inv
	buffer_gl0_inv
	v_cmp_eq_u32_e32 vcc_lo, 0, v8
	s_and_b32 s75, vcc_lo, exec_lo
	s_or_b32 s74, s74, s75
	s_mov_b32 s76, -1
	s_or_b32 s72, s72, exec_lo
	s_and_saveexec_b32 s75, s74
	s_cbranch_execz .LBB6_9271
.LBB6_9275:                             ;   in Loop: Header=BB6_9272 Depth=3
	s_sleep 1
	s_trap 2
	ds_read_b64 v[8:9], v0
	s_waitcnt lgkmcnt(0)
	buffer_gl0_inv
	s_andn2_b32 s72, s72, exec_lo
	v_cmp_ge_u64_e32 vcc_lo, v[8:9], v[70:71]
	s_orn2_b32 s76, vcc_lo, exec_lo
	s_branch .LBB6_9271
.LBB6_9276:                             ;   in Loop: Header=BB6_9149 Depth=2
	s_inst_prefetch 0x2
	s_or_b32 exec_lo, exec_lo, s62
	s_and_saveexec_b32 s62, s63
	s_xor_b32 s62, exec_lo, s62
	s_cbranch_execz .LBB6_9278
; %bb.9277:                             ;   in Loop: Header=BB6_9149 Depth=2
	ds_write_b32 v0, v57
	s_trap 2
.LBB6_9278:                             ;   in Loop: Header=BB6_9149 Depth=2
	s_or_b32 exec_lo, exec_lo, s61
	;;#ASMSTART
	s_wakeup
	;;#ASMEND
.LBB6_9279:                             ;   in Loop: Header=BB6_9149 Depth=2
	s_or_b32 exec_lo, exec_lo, s23
.LBB6_9280:                             ;   in Loop: Header=BB6_9149 Depth=2
	s_andn2_saveexec_b32 s17, s17
	s_cbranch_execz .LBB6_9282
; %bb.9281:                             ;   in Loop: Header=BB6_9149 Depth=2
	;;#ASMSTART
	s_waitcnt lgkmcnt(0) vmcnt(0)
	;;#ASMEND
	s_barrier
.LBB6_9282:                             ;   in Loop: Header=BB6_9149 Depth=2
	s_or_b32 exec_lo, exec_lo, s17
.LBB6_9283:                             ;   in Loop: Header=BB6_9149 Depth=2
	s_or_b32 exec_lo, exec_lo, s16
	v_and_b32_e32 v8, 32, v44
	s_mov_b32 s16, exec_lo
	v_cmpx_ne_u32_e32 0, v8
	s_cbranch_execz .LBB6_9148
; %bb.9284:                             ;   in Loop: Header=BB6_9149 Depth=2
	v_add_co_u32 v96, vcc_lo, v96, 2
	v_add_co_ci_u32_e64 v97, null, 0, v97, vcc_lo
	s_waitcnt vmcnt(0) lgkmcnt(0)
	s_waitcnt_vscnt null, 0x0
	flat_store_dwordx2 v[64:65], v[96:97]
	s_branch .LBB6_9148
.LBB6_9285:                             ;   in Loop: Header=BB6_47 Depth=1
	s_or_b32 exec_lo, exec_lo, s19
.LBB6_9286:                             ;   in Loop: Header=BB6_47 Depth=1
	s_or_b32 exec_lo, exec_lo, s18
	s_mov_b32 s17, exec_lo
	v_cmpx_gt_i32_e32 2, v10
	s_cbranch_execnz .LBB6_9287
; %bb.9419:                             ;   in Loop: Header=BB6_47 Depth=1
	s_getpc_b64 s[34:35]
.Lpost_getpc23:
	s_add_u32 s34, s34, (.LBB6_46-.Lpost_getpc23)&4294967295
	s_addc_u32 s35, s35, (.LBB6_46-.Lpost_getpc23)>>32
	s_setpc_b64 s[34:35]
.LBB6_9287:                             ;   in Loop: Header=BB6_47 Depth=1
	v_cmp_eq_u32_e64 s19, 0, v10
	s_mov_b32 s18, 0
	s_branch .LBB6_9289
.LBB6_9288:                             ;   in Loop: Header=BB6_9289 Depth=2
	s_or_b32 exec_lo, exec_lo, s16
	v_add_nc_u32_e32 v4, v3, v4
	s_mov_b32 s19, 0
	s_andn2_b32 exec_lo, exec_lo, s18
	s_cbranch_execnz .LBB6_9289
; %bb.9421:                             ;   in Loop: Header=BB6_47 Depth=1
	s_getpc_b64 s[34:35]
.Lpost_getpc24:
	s_add_u32 s34, s34, (.LBB6_45-.Lpost_getpc24)&4294967295
	s_addc_u32 s35, s35, (.LBB6_45-.Lpost_getpc24)>>32
	s_setpc_b64 s[34:35]
.LBB6_9289:                             ;   Parent Loop BB6_47 Depth=1
                                        ; =>  This Loop Header: Depth=2
                                        ;       Child Loop BB6_9295 Depth 3
                                        ;       Child Loop BB6_9319 Depth 3
                                        ;       Child Loop BB6_9342 Depth 3
	v_and_b32_e32 v5, 4, v44
	s_mov_b32 s21, exec_lo
	v_cmpx_ne_u32_e32 0, v5
	s_cbranch_execz .LBB6_9311
; %bb.9290:                             ;   in Loop: Header=BB6_9289 Depth=2
	v_add_co_u32 v8, vcc_lo, v96, 2
	v_add_co_ci_u32_e64 v9, null, 0, v97, vcc_lo
	s_mov_b32 s22, exec_lo
	s_waitcnt vmcnt(0) lgkmcnt(1)
	v_cmpx_lt_u64_e64 v[80:81], v[8:9]
	s_cbranch_execz .LBB6_9302
; %bb.9291:                             ;   in Loop: Header=BB6_9289 Depth=2
	v_and_b32_e32 v5, 64, v44
	s_mov_b32 s23, 0
	s_mov_b32 s72, 0
                                        ; implicit-def: $sgpr61
                                        ; implicit-def: $sgpr62
                                        ; implicit-def: $sgpr63
	v_cmp_eq_u32_e32 vcc_lo, 0, v5
	s_branch .LBB6_9295
.LBB6_9292:                             ;   in Loop: Header=BB6_9295 Depth=3
	s_waitcnt vmcnt(0) lgkmcnt(0)
	v_cmp_ge_u64_e64 s16, v[80:81], v[8:9]
	s_or_b32 s75, s75, exec_lo
	s_orn2_b32 s74, s16, exec_lo
.LBB6_9293:                             ;   in Loop: Header=BB6_9295 Depth=3
	s_or_b32 exec_lo, exec_lo, s77
	s_andn2_b32 s16, s63, exec_lo
	s_and_b32 s63, s75, exec_lo
	s_andn2_b32 s62, s62, exec_lo
	s_and_b32 s74, s74, exec_lo
	s_or_b32 s63, s16, s63
	s_or_b32 s62, s62, s74
.LBB6_9294:                             ;   in Loop: Header=BB6_9295 Depth=3
	s_or_b32 exec_lo, exec_lo, s73
	s_and_b32 s16, exec_lo, s62
	s_or_b32 s23, s16, s23
	s_andn2_b32 s16, s61, exec_lo
	s_and_b32 s61, s63, exec_lo
	s_or_b32 s61, s16, s61
	s_andn2_b32 exec_lo, exec_lo, s23
	s_cbranch_execz .LBB6_9299
.LBB6_9295:                             ;   Parent Loop BB6_47 Depth=1
                                        ;     Parent Loop BB6_9289 Depth=2
                                        ; =>    This Inner Loop Header: Depth=3
	s_sleep 1
	s_waitcnt vmcnt(0) lgkmcnt(0)
	flat_load_dwordx2 v[80:81], v[64:65] glc dlc
	s_or_b32 s63, s63, exec_lo
	s_or_b32 s62, s62, exec_lo
                                        ; implicit-def: $vgpr5
	s_and_saveexec_b32 s73, vcc_lo
	s_cbranch_execz .LBB6_9294
; %bb.9296:                             ;   in Loop: Header=BB6_9295 Depth=3
	s_cmpk_lt_i32 s72, 0x270f
	s_mov_b32 s74, -1
	s_cselect_b32 s76, -1, 0
	s_cmpk_gt_i32 s72, 0x270e
	s_cbranch_scc0 .LBB6_9298
; %bb.9297:                             ;   in Loop: Header=BB6_9295 Depth=3
	s_trap 2
	ds_read_b64 v[10:11], v0
	s_andn2_b32 s72, s76, exec_lo
	s_mov_b32 s75, 0
	s_waitcnt vmcnt(0) lgkmcnt(0)
	s_waitcnt_vscnt null, 0x0
	flat_load_dword v5, v[10:11] glc dlc
	s_waitcnt vmcnt(0) lgkmcnt(0)
	buffer_gl1_inv
	buffer_gl0_inv
	v_cmp_eq_u32_e64 s16, 0, v5
	s_and_b32 s16, s16, exec_lo
	s_or_b32 s76, s72, s16
	s_mov_b32 s72, 0
	s_and_saveexec_b32 s77, s76
	s_cbranch_execz .LBB6_9293
	s_branch .LBB6_9292
.LBB6_9298:                             ;   in Loop: Header=BB6_9295 Depth=3
	s_add_i32 s72, s72, 1
	s_mov_b32 s75, -1
                                        ; implicit-def: $vgpr5
	s_and_saveexec_b32 s77, s76
	s_cbranch_execz .LBB6_9293
	s_branch .LBB6_9292
.LBB6_9299:                             ;   in Loop: Header=BB6_9289 Depth=2
	s_or_b32 exec_lo, exec_lo, s23
	s_xor_b32 s16, s61, -1
	s_and_saveexec_b32 s23, s16
	s_xor_b32 s16, exec_lo, s23
	s_cbranch_execz .LBB6_9301
; %bb.9300:                             ;   in Loop: Header=BB6_9289 Depth=2
	v_or_b32_e32 v44, 64, v44
	s_waitcnt vmcnt(0) lgkmcnt(0)
	s_waitcnt_vscnt null, 0x0
	ds_write_b32 v0, v5
	s_trap 2
.LBB6_9301:                             ;   in Loop: Header=BB6_9289 Depth=2
	s_or_b32 exec_lo, exec_lo, s16
.LBB6_9302:                             ;   in Loop: Header=BB6_9289 Depth=2
	s_or_b32 exec_lo, exec_lo, s22
	v_and_b32_e32 v5, 0x100, v44
	s_mov_b32 s16, -1
	;;#ASMSTART
	s_wakeup
	;;#ASMEND
                                        ; implicit-def: $vgpr10_vgpr11
	v_cmp_ne_u32_e32 vcc_lo, 0, v5
	v_and_b32_e32 v5, 7, v96
	s_and_saveexec_b32 s22, vcc_lo
	s_cbranch_execz .LBB6_9306
; %bb.9303:                             ;   in Loop: Header=BB6_9289 Depth=2
	v_mad_u64_u32 v[12:13], null, v5, 24, v[6:7]
	flat_load_dword v10, v[12:13]
	s_waitcnt vmcnt(0) lgkmcnt(0)
	v_cmp_eq_u32_e64 s16, 1, v10
	v_cmp_ne_u32_e32 vcc_lo, 1, v10
                                        ; implicit-def: $vgpr10_vgpr11
	s_and_saveexec_b32 s23, s16
	s_cbranch_execz .LBB6_9305
; %bb.9304:                             ;   in Loop: Header=BB6_9289 Depth=2
	flat_load_dword v10, v[12:13] offset:4 glc dlc
	s_waitcnt vmcnt(0) lgkmcnt(0)
	v_ashrrev_i32_e32 v11, 31, v10
.LBB6_9305:                             ;   in Loop: Header=BB6_9289 Depth=2
	s_or_b32 exec_lo, exec_lo, s23
	s_orn2_b32 s16, vcc_lo, exec_lo
.LBB6_9306:                             ;   in Loop: Header=BB6_9289 Depth=2
	s_or_b32 exec_lo, exec_lo, s22
	s_and_saveexec_b32 s22, s16
; %bb.9307:                             ;   in Loop: Header=BB6_9289 Depth=2
	v_mad_i64_i32 v[10:11], null, v5, v45, 0
; %bb.9308:                             ;   in Loop: Header=BB6_9289 Depth=2
	s_or_b32 exec_lo, exec_lo, s22
	v_add_co_u32 v10, vcc_lo, v66, v10
	v_and_b32_e32 v5, 0x2000, v44
	v_add_co_ci_u32_e64 v11, null, v67, v11, vcc_lo
	s_mov_b32 s16, exec_lo
	ds_write_b64 v0, v[10:11] offset:720
	v_cmpx_ne_u32_e32 0, v5
	s_cbranch_execz .LBB6_9310
; %bb.9309:                             ;   in Loop: Header=BB6_9289 Depth=2
	ds_read_b64 v[10:11], v0 offset:872
	s_waitcnt lgkmcnt(0)
	v_add_co_u32 v10, vcc_lo, v10, 1
	v_add_co_ci_u32_e64 v11, null, 0, v11, vcc_lo
	ds_write_b64 v0, v[10:11] offset:872
.LBB6_9310:                             ;   in Loop: Header=BB6_9289 Depth=2
	s_or_b32 exec_lo, exec_lo, s16
	v_mov_b32_e32 v97, v9
	v_mov_b32_e32 v96, v8
.LBB6_9311:                             ;   in Loop: Header=BB6_9289 Depth=2
	s_or_b32 exec_lo, exec_lo, s21
	s_xor_b32 s16, s19, -1
	s_and_b32 s16, exec_lo, s16
	s_or_b32 s18, s16, s18
	s_and_saveexec_b32 s16, s6
	s_cbranch_execz .LBB6_9330
; %bb.9312:                             ;   in Loop: Header=BB6_9289 Depth=2
	s_and_saveexec_b32 s19, s29
	s_xor_b32 s19, exec_lo, s19
	s_cbranch_execz .LBB6_9327
; %bb.9313:                             ;   in Loop: Header=BB6_9289 Depth=2
	s_and_saveexec_b32 s21, s11
	s_cbranch_execz .LBB6_9326
; %bb.9314:                             ;   in Loop: Header=BB6_9289 Depth=2
	s_mov_b32 s23, exec_lo
	s_mov_b32 s22, exec_lo
	v_mbcnt_lo_u32_b32 v5, s23, 0
	s_waitcnt vmcnt(0) lgkmcnt(0)
	s_waitcnt_vscnt null, 0x0
	buffer_gl1_inv
	buffer_gl0_inv
	v_cmpx_eq_u32_e32 0, v5
	s_cbranch_execz .LBB6_9316
; %bb.9315:                             ;   in Loop: Header=BB6_9289 Depth=2
	s_bcnt1_i32_b32 s23, s23
	v_mov_b32_e32 v9, v2
	v_mov_b32_e32 v8, s23
	ds_add_u64 v0, v[8:9]
	s_trap 2
.LBB6_9316:                             ;   in Loop: Header=BB6_9289 Depth=2
	s_or_b32 exec_lo, exec_lo, s22
	s_trap 2
	ds_read_b64 v[8:9], v0
	s_waitcnt lgkmcnt(0)
	buffer_gl0_inv
	v_add_co_u32 v70, vcc_lo, v70, v47
	v_add_co_ci_u32_e64 v71, null, 0, v71, vcc_lo
	s_mov_b32 s22, exec_lo
	v_cmpx_lt_u64_e64 v[8:9], v[70:71]
	s_cbranch_execz .LBB6_9325
; %bb.9317:                             ;   in Loop: Header=BB6_9289 Depth=2
	s_mov_b32 s23, 0
	s_mov_b32 s63, 0
                                        ; implicit-def: $sgpr61
                                        ; implicit-def: $sgpr62
	s_inst_prefetch 0x1
	s_branch .LBB6_9319
	.p2align	6
.LBB6_9318:                             ;   in Loop: Header=BB6_9319 Depth=3
	s_or_b32 exec_lo, exec_lo, s73
	s_and_b32 s72, exec_lo, s74
	s_or_b32 s23, s72, s23
	s_andn2_b32 s61, s61, exec_lo
	s_and_b32 s72, s62, exec_lo
	s_or_b32 s61, s61, s72
	s_andn2_b32 exec_lo, exec_lo, s23
	s_cbranch_execz .LBB6_9323
.LBB6_9319:                             ;   Parent Loop BB6_47 Depth=1
                                        ;     Parent Loop BB6_9289 Depth=2
                                        ; =>    This Inner Loop Header: Depth=3
	s_add_i32 s63, s63, 1
	s_cmpk_lg_i32 s63, 0x2710
	s_cselect_b32 s72, -1, 0
	s_and_b32 vcc_lo, exec_lo, s72
	s_cbranch_vccz .LBB6_9321
; %bb.9320:                             ;   in Loop: Header=BB6_9319 Depth=3
	s_mov_b32 s74, -1
	s_or_b32 s62, s62, exec_lo
	s_and_saveexec_b32 s73, s72
	s_cbranch_execz .LBB6_9318
	s_branch .LBB6_9322
	.p2align	6
.LBB6_9321:                             ;   in Loop: Header=BB6_9319 Depth=3
	s_trap 2
	ds_read_b64 v[8:9], v0
	s_andn2_b32 s72, s72, exec_lo
	s_mov_b32 s63, 0
	s_waitcnt lgkmcnt(0)
	flat_load_dword v5, v[8:9] glc dlc
	s_waitcnt vmcnt(0) lgkmcnt(0)
	buffer_gl1_inv
	buffer_gl0_inv
	v_cmp_eq_u32_e32 vcc_lo, 0, v5
	s_and_b32 s73, vcc_lo, exec_lo
	s_or_b32 s72, s72, s73
	s_mov_b32 s74, -1
	s_or_b32 s62, s62, exec_lo
	s_and_saveexec_b32 s73, s72
	s_cbranch_execz .LBB6_9318
.LBB6_9322:                             ;   in Loop: Header=BB6_9319 Depth=3
	s_sleep 1
	s_trap 2
	ds_read_b64 v[8:9], v0
	s_waitcnt lgkmcnt(0)
	buffer_gl0_inv
	s_andn2_b32 s62, s62, exec_lo
	v_cmp_ge_u64_e32 vcc_lo, v[8:9], v[70:71]
	s_orn2_b32 s74, vcc_lo, exec_lo
	s_branch .LBB6_9318
.LBB6_9323:                             ;   in Loop: Header=BB6_9289 Depth=2
	s_inst_prefetch 0x2
	s_or_b32 exec_lo, exec_lo, s23
	s_and_saveexec_b32 s23, s61
	s_xor_b32 s23, exec_lo, s23
	s_cbranch_execz .LBB6_9325
; %bb.9324:                             ;   in Loop: Header=BB6_9289 Depth=2
	ds_write_b32 v0, v57
	s_trap 2
.LBB6_9325:                             ;   in Loop: Header=BB6_9289 Depth=2
	s_or_b32 exec_lo, exec_lo, s22
	;;#ASMSTART
	s_wakeup
	;;#ASMEND
.LBB6_9326:                             ;   in Loop: Header=BB6_9289 Depth=2
	s_or_b32 exec_lo, exec_lo, s21
.LBB6_9327:                             ;   in Loop: Header=BB6_9289 Depth=2
	s_andn2_saveexec_b32 s19, s19
	s_cbranch_execz .LBB6_9329
; %bb.9328:                             ;   in Loop: Header=BB6_9289 Depth=2
	s_waitcnt vmcnt(0) lgkmcnt(0)
	s_waitcnt_vscnt null, 0x0
	buffer_gl1_inv
	buffer_gl0_inv
	s_barrier
.LBB6_9329:                             ;   in Loop: Header=BB6_9289 Depth=2
	s_or_b32 exec_lo, exec_lo, s19
.LBB6_9330:                             ;   in Loop: Header=BB6_9289 Depth=2
	s_or_b32 exec_lo, exec_lo, s16
	v_sub_nc_u32_e32 v5, v1, v4
	v_min_i32_e32 v3, v3, v5
	s_and_saveexec_b32 s16, s13
	s_xor_b32 s19, exec_lo, s16
	s_cbranch_execz .LBB6_9334
; %bb.9331:                             ;   in Loop: Header=BB6_9289 Depth=2
	s_trap 2
	ds_read_b32 v5, v0
	v_cmp_lt_i32_e32 vcc_lo, 0, v3
	s_waitcnt lgkmcnt(0)
	v_readfirstlane_b32 s16, v5
	v_and_b32_e32 v5, 16, v44
	s_cmp_eq_u32 s16, 0
	v_cmp_ne_u32_e64 s16, 0, v5
	s_cselect_b32 s21, -1, 0
	s_and_b32 s21, vcc_lo, s21
	s_and_b32 s21, s16, s21
	s_and_saveexec_b32 s16, s21
	s_cbranch_execz .LBB6_9333
; %bb.9332:                             ;   in Loop: Header=BB6_9289 Depth=2
	s_waitcnt vmcnt(0)
	s_waitcnt_vscnt null, 0x0
	buffer_gl1_inv
	buffer_gl0_inv
.LBB6_9333:                             ;   in Loop: Header=BB6_9289 Depth=2
	s_or_b32 exec_lo, exec_lo, s16
.LBB6_9334:                             ;   in Loop: Header=BB6_9289 Depth=2
	s_andn2_saveexec_b32 s16, s19
	s_cbranch_execz .LBB6_9353
; %bb.9335:                             ;   in Loop: Header=BB6_9289 Depth=2
	s_and_saveexec_b32 s19, s29
	s_xor_b32 s19, exec_lo, s19
	s_cbranch_execz .LBB6_9350
; %bb.9336:                             ;   in Loop: Header=BB6_9289 Depth=2
	s_and_saveexec_b32 s21, s11
	s_cbranch_execz .LBB6_9349
; %bb.9337:                             ;   in Loop: Header=BB6_9289 Depth=2
	s_mov_b32 s23, exec_lo
	s_mov_b32 s22, exec_lo
	v_mbcnt_lo_u32_b32 v5, s23, 0
	;;#ASMSTART
	s_waitcnt lgkmcnt(0) vmcnt(0)
	;;#ASMEND
	v_cmpx_eq_u32_e32 0, v5
	s_cbranch_execz .LBB6_9339
; %bb.9338:                             ;   in Loop: Header=BB6_9289 Depth=2
	s_bcnt1_i32_b32 s23, s23
	v_mov_b32_e32 v9, v2
	v_mov_b32_e32 v8, s23
	s_waitcnt vmcnt(0) lgkmcnt(0)
	s_waitcnt_vscnt null, 0x0
	ds_add_u64 v0, v[8:9]
	s_trap 2
.LBB6_9339:                             ;   in Loop: Header=BB6_9289 Depth=2
	s_or_b32 exec_lo, exec_lo, s22
	s_trap 2
	ds_read_b64 v[8:9], v0
	s_waitcnt vmcnt(0) lgkmcnt(0)
	buffer_gl0_inv
	v_add_co_u32 v70, vcc_lo, v70, v47
	v_add_co_ci_u32_e64 v71, null, 0, v71, vcc_lo
	s_mov_b32 s22, exec_lo
	v_cmpx_lt_u64_e64 v[8:9], v[70:71]
	s_cbranch_execz .LBB6_9348
; %bb.9340:                             ;   in Loop: Header=BB6_9289 Depth=2
	s_mov_b32 s23, 0
	s_mov_b32 s63, 0
                                        ; implicit-def: $sgpr61
                                        ; implicit-def: $sgpr62
	s_inst_prefetch 0x1
	s_branch .LBB6_9342
	.p2align	6
.LBB6_9341:                             ;   in Loop: Header=BB6_9342 Depth=3
	s_or_b32 exec_lo, exec_lo, s73
	s_and_b32 s72, exec_lo, s74
	s_or_b32 s23, s72, s23
	s_andn2_b32 s61, s61, exec_lo
	s_and_b32 s72, s62, exec_lo
	s_or_b32 s61, s61, s72
	s_andn2_b32 exec_lo, exec_lo, s23
	s_cbranch_execz .LBB6_9346
.LBB6_9342:                             ;   Parent Loop BB6_47 Depth=1
                                        ;     Parent Loop BB6_9289 Depth=2
                                        ; =>    This Inner Loop Header: Depth=3
	s_add_i32 s63, s63, 1
	s_cmpk_lg_i32 s63, 0x2710
	s_cselect_b32 s72, -1, 0
	s_and_b32 vcc_lo, exec_lo, s72
	s_cbranch_vccz .LBB6_9344
; %bb.9343:                             ;   in Loop: Header=BB6_9342 Depth=3
	s_mov_b32 s74, -1
	s_or_b32 s62, s62, exec_lo
	s_and_saveexec_b32 s73, s72
	s_cbranch_execz .LBB6_9341
	s_branch .LBB6_9345
	.p2align	6
.LBB6_9344:                             ;   in Loop: Header=BB6_9342 Depth=3
	s_trap 2
	ds_read_b64 v[8:9], v0
	s_andn2_b32 s72, s72, exec_lo
	s_mov_b32 s63, 0
	s_waitcnt lgkmcnt(0)
	s_waitcnt_vscnt null, 0x0
	flat_load_dword v5, v[8:9] glc dlc
	s_waitcnt vmcnt(0) lgkmcnt(0)
	buffer_gl1_inv
	buffer_gl0_inv
	v_cmp_eq_u32_e32 vcc_lo, 0, v5
	s_and_b32 s73, vcc_lo, exec_lo
	s_or_b32 s72, s72, s73
	s_mov_b32 s74, -1
	s_or_b32 s62, s62, exec_lo
	s_and_saveexec_b32 s73, s72
	s_cbranch_execz .LBB6_9341
.LBB6_9345:                             ;   in Loop: Header=BB6_9342 Depth=3
	s_sleep 1
	s_trap 2
	ds_read_b64 v[8:9], v0
	s_waitcnt lgkmcnt(0)
	buffer_gl0_inv
	s_andn2_b32 s62, s62, exec_lo
	v_cmp_ge_u64_e32 vcc_lo, v[8:9], v[70:71]
	s_orn2_b32 s74, vcc_lo, exec_lo
	s_branch .LBB6_9341
.LBB6_9346:                             ;   in Loop: Header=BB6_9289 Depth=2
	s_inst_prefetch 0x2
	s_or_b32 exec_lo, exec_lo, s23
	s_and_saveexec_b32 s23, s61
	s_xor_b32 s23, exec_lo, s23
	s_cbranch_execz .LBB6_9348
; %bb.9347:                             ;   in Loop: Header=BB6_9289 Depth=2
	ds_write_b32 v0, v57
	s_trap 2
.LBB6_9348:                             ;   in Loop: Header=BB6_9289 Depth=2
	s_or_b32 exec_lo, exec_lo, s22
	;;#ASMSTART
	s_wakeup
	;;#ASMEND
.LBB6_9349:                             ;   in Loop: Header=BB6_9289 Depth=2
	s_or_b32 exec_lo, exec_lo, s21
.LBB6_9350:                             ;   in Loop: Header=BB6_9289 Depth=2
	s_andn2_saveexec_b32 s19, s19
	s_cbranch_execz .LBB6_9352
; %bb.9351:                             ;   in Loop: Header=BB6_9289 Depth=2
	;;#ASMSTART
	s_waitcnt lgkmcnt(0) vmcnt(0)
	;;#ASMEND
	s_barrier
.LBB6_9352:                             ;   in Loop: Header=BB6_9289 Depth=2
	s_or_b32 exec_lo, exec_lo, s19
.LBB6_9353:                             ;   in Loop: Header=BB6_9289 Depth=2
	s_or_b32 exec_lo, exec_lo, s16
	v_and_b32_e32 v5, 32, v44
	s_mov_b32 s16, exec_lo
	v_cmpx_ne_u32_e32 0, v5
	s_cbranch_execz .LBB6_9288
; %bb.9354:                             ;   in Loop: Header=BB6_9289 Depth=2
	v_add_co_u32 v96, vcc_lo, v96, 2
	v_add_co_ci_u32_e64 v97, null, 0, v97, vcc_lo
	s_waitcnt vmcnt(0) lgkmcnt(0)
	s_waitcnt_vscnt null, 0x0
	flat_store_dwordx2 v[64:65], v[96:97]
	s_branch .LBB6_9288
.LBB6_9355:
	s_or_b32 exec_lo, exec_lo, s27
	s_clause 0x4
	buffer_load_dword v19, off, s[0:3], s33 offset:292
	buffer_load_dword v31, off, s[0:3], s33 offset:296
	;; [unrolled: 1-line block ×5, first 2 shown]
.LBB6_9356:
	s_or_b32 exec_lo, exec_lo, s26
	v_and_b32_e32 v0, 0x800, v44
	s_mov_b32 s5, exec_lo
	v_cmpx_eq_u32_e32 0, v0
	s_cbranch_execz .LBB6_9389
; %bb.9357:
	v_and_b32_e32 v0, 48, v44
	s_mov_b32 s4, exec_lo
	v_cmpx_ne_u32_e32 0, v0
	s_cbranch_execz .LBB6_9359
; %bb.9358:
	s_waitcnt vmcnt(0)
	flat_store_dwordx2 v[21:22], v[96:97] offset:104
.LBB6_9359:
	s_or_b32 exec_lo, exec_lo, s4
	v_and_b32_e32 v0, 0x88, v44
	s_mov_b32 s6, exec_lo
	v_cmpx_eq_u32_e32 0x88, v0
	s_cbranch_execz .LBB6_9369
; %bb.9360:
	v_add_nc_u32_e32 v0, 6, v96
	v_and_b32_e32 v4, 64, v44
	s_mov_b32 s7, 0
	v_and_b32_e32 v0, 7, v0
	v_cmp_eq_u32_e64 s4, 0, v4
	v_mad_u64_u32 v[2:3], null, v0, 24, v[6:7]
	flat_load_dwordx2 v[0:1], v[2:3] offset:8 glc dlc
	s_waitcnt vmcnt(0) lgkmcnt(0)
	v_cmp_ne_u64_e32 vcc_lo, -1, v[0:1]
	s_and_b32 s4, vcc_lo, s4
	s_and_b32 exec_lo, exec_lo, s4
	s_cbranch_execz .LBB6_9369
; %bb.9361:
	s_mov_b32 s11, 0
                                        ; implicit-def: $sgpr4
                                        ; implicit-def: $sgpr10
	s_inst_prefetch 0x1
	s_branch .LBB6_9364
	.p2align	6
.LBB6_9362:                             ;   in Loop: Header=BB6_9364 Depth=1
	flat_load_dwordx2 v[4:5], v[2:3] offset:8 glc dlc
	s_waitcnt vmcnt(0)
	s_andn2_b32 s10, s10, exec_lo
	s_waitcnt lgkmcnt(0)
	v_cmp_eq_u64_e32 vcc_lo, -1, v[4:5]
	s_orn2_b32 s13, vcc_lo, exec_lo
.LBB6_9363:                             ;   in Loop: Header=BB6_9364 Depth=1
	s_or_b32 exec_lo, exec_lo, s14
	s_and_b32 s12, exec_lo, s13
	s_or_b32 s7, s12, s7
	s_andn2_b32 s4, s4, exec_lo
	s_and_b32 s12, s10, exec_lo
	s_or_b32 s4, s4, s12
	s_andn2_b32 exec_lo, exec_lo, s7
	s_cbranch_execz .LBB6_9367
.LBB6_9364:                             ; =>This Inner Loop Header: Depth=1
	s_cmpk_lt_i32 s11, 0x270f
	s_cselect_b32 s12, -1, 0
	s_and_b32 vcc_lo, exec_lo, s12
	s_cbranch_vccnz .LBB6_9366
; %bb.9365:                             ;   in Loop: Header=BB6_9364 Depth=1
	s_trap 2
	ds_read_b64 v[0:1], v0
	s_andn2_b32 s12, s12, exec_lo
	s_mov_b32 s11, 0
	s_waitcnt lgkmcnt(0)
	s_waitcnt_vscnt null, 0x0
	flat_load_dword v0, v[0:1] glc dlc
	s_waitcnt vmcnt(0) lgkmcnt(0)
	buffer_gl1_inv
	buffer_gl0_inv
	v_cmp_eq_u32_e32 vcc_lo, 0, v0
	s_and_b32 s13, vcc_lo, exec_lo
	s_or_b32 s12, s12, s13
	s_mov_b32 s13, -1
	s_or_b32 s10, s10, exec_lo
	s_and_saveexec_b32 s14, s12
	s_cbranch_execz .LBB6_9363
	s_branch .LBB6_9362
	.p2align	6
.LBB6_9366:                             ;   in Loop: Header=BB6_9364 Depth=1
	s_add_i32 s11, s11, 1
                                        ; implicit-def: $vgpr0
	s_mov_b32 s13, -1
	s_or_b32 s10, s10, exec_lo
	s_and_saveexec_b32 s14, s12
	s_cbranch_execz .LBB6_9363
	s_branch .LBB6_9362
.LBB6_9367:
	s_inst_prefetch 0x2
	s_or_b32 exec_lo, exec_lo, s7
	s_and_saveexec_b32 s7, s4
	s_xor_b32 s7, exec_lo, s7
	s_cbranch_execz .LBB6_9369
; %bb.9368:
	s_waitcnt_vscnt null, 0x0
	ds_write_b32 v0, v0
	s_trap 2
.LBB6_9369:
	s_or_b32 exec_lo, exec_lo, s6
	v_and_b32_e32 v0, 0x2000, v44
	s_mov_b32 s4, exec_lo
	v_cmpx_ne_u32_e32 0, v0
	s_cbranch_execz .LBB6_9371
; %bb.9370:
	s_trap 2
	ds_read_b64 v[0:1], v0
	s_clause 0x1
	buffer_load_dword v2, off, s[0:3], s33 offset:312
	buffer_load_dword v3, off, s[0:3], s33 offset:316
	s_waitcnt vmcnt(0) lgkmcnt(0)
	flat_store_dwordx2 v[2:3], v[0:1] offset:16
.LBB6_9371:
	s_or_b32 exec_lo, exec_lo, s4
	s_waitcnt vmcnt(4)
	v_cmp_ne_u32_e32 vcc_lo, 32, v19
	s_and_b32 exec_lo, exec_lo, vcc_lo
	s_cbranch_execz .LBB6_9389
; %bb.9372:
	s_waitcnt vmcnt(2)
	v_cmp_ne_u32_sdwa s4, v19, v20 src0_sel:DWORD src1_sel:WORD_0
	s_and_saveexec_b32 s6, s4
	s_xor_b32 s4, exec_lo, s6
	s_cbranch_execz .LBB6_9387
; %bb.9373:
	v_and_b32_e32 v0, 31, v31
	s_mov_b32 s6, exec_lo
	v_cmpx_eq_u32_e32 0, v0
	s_cbranch_execz .LBB6_9386
; %bb.9374:
	s_mov_b32 s10, exec_lo
	s_mov_b32 s7, exec_lo
	v_mbcnt_lo_u32_b32 v0, s10, 0
	s_waitcnt vmcnt(0) lgkmcnt(0)
	s_waitcnt_vscnt null, 0x0
	buffer_gl1_inv
	buffer_gl0_inv
	v_cmpx_eq_u32_e32 0, v0
	s_cbranch_execz .LBB6_9376
; %bb.9375:
	s_bcnt1_i32_b32 s10, s10
	v_mov_b32_e32 v1, 0
	v_mov_b32_e32 v0, s10
	ds_add_u64 v0, v[0:1]
	s_trap 2
.LBB6_9376:
	s_or_b32 exec_lo, exec_lo, s7
	s_trap 2
	ds_read_b64 v[2:3], v0
	s_waitcnt lgkmcnt(0)
	buffer_gl0_inv
	v_lshrrev_b32_e32 v0, 5, v19
	s_mov_b32 s7, exec_lo
	v_add_co_u32 v0, vcc_lo, v70, v0
	v_add_co_ci_u32_e64 v1, null, 0, v71, vcc_lo
	v_cmpx_lt_u64_e64 v[2:3], v[0:1]
	s_cbranch_execz .LBB6_9385
; %bb.9377:
	s_mov_b32 s10, 0
	s_mov_b32 s13, 0
                                        ; implicit-def: $sgpr11
                                        ; implicit-def: $sgpr12
	s_inst_prefetch 0x1
	s_branch .LBB6_9379
	.p2align	6
.LBB6_9378:                             ;   in Loop: Header=BB6_9379 Depth=1
	s_or_b32 exec_lo, exec_lo, s15
	s_and_b32 s14, exec_lo, s16
	s_or_b32 s10, s14, s10
	s_andn2_b32 s11, s11, exec_lo
	s_and_b32 s14, s12, exec_lo
	s_or_b32 s11, s11, s14
	s_andn2_b32 exec_lo, exec_lo, s10
	s_cbranch_execz .LBB6_9383
.LBB6_9379:                             ; =>This Inner Loop Header: Depth=1
	s_add_i32 s13, s13, 1
	s_cmpk_lg_i32 s13, 0x2710
	s_cselect_b32 s14, -1, 0
	s_and_b32 vcc_lo, exec_lo, s14
	s_cbranch_vccz .LBB6_9381
; %bb.9380:                             ;   in Loop: Header=BB6_9379 Depth=1
	s_mov_b32 s16, -1
	s_or_b32 s12, s12, exec_lo
	s_and_saveexec_b32 s15, s14
	s_cbranch_execz .LBB6_9378
	s_branch .LBB6_9382
.LBB6_9381:                             ;   in Loop: Header=BB6_9379 Depth=1
	s_trap 2
	ds_read_b64 v[2:3], v0
	s_andn2_b32 s14, s14, exec_lo
	s_mov_b32 s13, 0
	s_waitcnt lgkmcnt(0)
	flat_load_dword v2, v[2:3] glc dlc
	s_waitcnt vmcnt(0) lgkmcnt(0)
	buffer_gl1_inv
	buffer_gl0_inv
	v_cmp_eq_u32_e32 vcc_lo, 0, v2
	s_and_b32 s15, vcc_lo, exec_lo
	s_or_b32 s14, s14, s15
	s_mov_b32 s16, -1
	s_or_b32 s12, s12, exec_lo
	s_and_saveexec_b32 s15, s14
	s_cbranch_execz .LBB6_9378
.LBB6_9382:                             ;   in Loop: Header=BB6_9379 Depth=1
	s_sleep 1
	s_trap 2
	ds_read_b64 v[2:3], v0
	s_waitcnt lgkmcnt(0)
	buffer_gl0_inv
	s_andn2_b32 s12, s12, exec_lo
	v_cmp_ge_u64_e32 vcc_lo, v[2:3], v[0:1]
	s_orn2_b32 s16, vcc_lo, exec_lo
	s_branch .LBB6_9378
.LBB6_9383:
	s_inst_prefetch 0x2
	s_or_b32 exec_lo, exec_lo, s10
	s_and_saveexec_b32 s10, s11
	s_xor_b32 s10, exec_lo, s10
	s_cbranch_execz .LBB6_9385
; %bb.9384:
	v_mov_b32_e32 v0, 1
	ds_write_b32 v0, v0
	s_trap 2
.LBB6_9385:
	s_or_b32 exec_lo, exec_lo, s7
	;;#ASMSTART
	s_wakeup
	;;#ASMEND
.LBB6_9386:
	s_or_b32 exec_lo, exec_lo, s6
.LBB6_9387:
	s_andn2_saveexec_b32 s4, s4
	s_cbranch_execz .LBB6_9389
; %bb.9388:
	s_waitcnt vmcnt(0) lgkmcnt(0)
	s_waitcnt_vscnt null, 0x0
	buffer_gl1_inv
	buffer_gl0_inv
	s_barrier
.LBB6_9389:
	s_or_b32 exec_lo, exec_lo, s5
.LBB6_9390:
	s_andn2_saveexec_b32 s25, s24
	s_cbranch_execz .LBB6_9392
; %bb.9391:
	s_getpc_b64 s[4:5]
	s_add_u32 s4, s4, __PRETTY_FUNCTION__._ZN10PrimitivesI12rccl_bfloat88FuncProdIS0_E12FanSymmetricILi1EELi0E11ProtoSimpleILi2ELi2ELi0ELi4ELi0ELi0EELi0ELb0ELi0ELi0ELi0EEC2EiiPKiS9_PKvPvmhhhP15ncclDevWorkCollP14ncclDevWorkP2pii@rel32@lo+4
	s_addc_u32 s5, s5, __PRETTY_FUNCTION__._ZN10PrimitivesI12rccl_bfloat88FuncProdIS0_E12FanSymmetricILi1EELi0E11ProtoSimpleILi2ELi2ELi0ELi4ELi0ELi0EELi0ELb0ELi0ELi0ELi0EEC2EiiPKiS9_PKvPvmhhhP15ncclDevWorkCollP14ncclDevWorkP2pii@rel32@hi+12
	v_mov_b32_e32 v0, s4
	v_mov_b32_e32 v1, s5
	s_getpc_b64 s[6:7]
	s_add_u32 s6, s6, __assert_fail@rel32@lo+4
	s_addc_u32 s7, s7, __assert_fail@rel32@hi+12
	s_swappc_b64 s[30:31], s[6:7]
	; divergent unreachable
.LBB6_9392:
	s_or_b32 exec_lo, exec_lo, s25
	s_clause 0x2e
	buffer_load_dword v126, off, s[0:3], s33
	buffer_load_dword v125, off, s[0:3], s33 offset:4
	buffer_load_dword v124, off, s[0:3], s33 offset:8
	;; [unrolled: 1-line block ×46, first 2 shown]
	v_readlane_b32 s30, v127, 0
	v_readlane_b32 s31, v127, 1
	s_mov_b32 s32, s33
	s_or_saveexec_b32 s4, -1
	buffer_load_dword v127, off, s[0:3], s33 offset:320 ; 4-byte Folded Reload
	s_mov_b32 exec_lo, s4
	s_mov_b32 s33, s88
	s_waitcnt vmcnt(0) lgkmcnt(0)
	s_setpc_b64 s[30:31]
.Lfunc_end6:
	.size	_ZN12_GLOBAL__N_17runRingI12rccl_bfloat88FuncProdIS1_E11ProtoSimpleILi2ELi2ELi0ELi4ELi0ELi0EELi0ELi0ELi4ELi0EEEviiP15ncclDevWorkColl, .Lfunc_end6-_ZN12_GLOBAL__N_17runRingI12rccl_bfloat88FuncProdIS1_E11ProtoSimpleILi2ELi2ELi0ELi4ELi0ELi0EELi0ELi0ELi4ELi0EEEviiP15ncclDevWorkColl
                                        ; -- End function
	.set .L_ZN12_GLOBAL__N_17runRingI12rccl_bfloat88FuncProdIS1_E11ProtoSimpleILi2ELi2ELi0ELi4ELi0ELi0EELi0ELi0ELi4ELi0EEEviiP15ncclDevWorkColl.num_vgpr, max(128, .L__assert_fail.num_vgpr)
	.set .L_ZN12_GLOBAL__N_17runRingI12rccl_bfloat88FuncProdIS1_E11ProtoSimpleILi2ELi2ELi0ELi4ELi0ELi0EELi0ELi0ELi4ELi0EEEviiP15ncclDevWorkColl.num_agpr, max(0, .L__assert_fail.num_agpr)
	.set .L_ZN12_GLOBAL__N_17runRingI12rccl_bfloat88FuncProdIS1_E11ProtoSimpleILi2ELi2ELi0ELi4ELi0ELi0EELi0ELi0ELi4ELi0EEEviiP15ncclDevWorkColl.numbered_sgpr, max(89, .L__assert_fail.numbered_sgpr)
	.set .L_ZN12_GLOBAL__N_17runRingI12rccl_bfloat88FuncProdIS1_E11ProtoSimpleILi2ELi2ELi0ELi4ELi0ELi0EELi0ELi0ELi4ELi0EEEviiP15ncclDevWorkColl.num_named_barrier, max(0, .L__assert_fail.num_named_barrier)
	.set .L_ZN12_GLOBAL__N_17runRingI12rccl_bfloat88FuncProdIS1_E11ProtoSimpleILi2ELi2ELi0ELi4ELi0ELi0EELi0ELi0ELi4ELi0EEEviiP15ncclDevWorkColl.private_seg_size, 336+max(.L__assert_fail.private_seg_size)
	.set .L_ZN12_GLOBAL__N_17runRingI12rccl_bfloat88FuncProdIS1_E11ProtoSimpleILi2ELi2ELi0ELi4ELi0ELi0EELi0ELi0ELi4ELi0EEEviiP15ncclDevWorkColl.uses_vcc, or(1, .L__assert_fail.uses_vcc)
	.set .L_ZN12_GLOBAL__N_17runRingI12rccl_bfloat88FuncProdIS1_E11ProtoSimpleILi2ELi2ELi0ELi4ELi0ELi0EELi0ELi0ELi4ELi0EEEviiP15ncclDevWorkColl.uses_flat_scratch, or(1, .L__assert_fail.uses_flat_scratch)
	.set .L_ZN12_GLOBAL__N_17runRingI12rccl_bfloat88FuncProdIS1_E11ProtoSimpleILi2ELi2ELi0ELi4ELi0ELi0EELi0ELi0ELi4ELi0EEEviiP15ncclDevWorkColl.has_dyn_sized_stack, or(0, .L__assert_fail.has_dyn_sized_stack)
	.set .L_ZN12_GLOBAL__N_17runRingI12rccl_bfloat88FuncProdIS1_E11ProtoSimpleILi2ELi2ELi0ELi4ELi0ELi0EELi0ELi0ELi4ELi0EEEviiP15ncclDevWorkColl.has_recursion, or(1, .L__assert_fail.has_recursion)
	.set .L_ZN12_GLOBAL__N_17runRingI12rccl_bfloat88FuncProdIS1_E11ProtoSimpleILi2ELi2ELi0ELi4ELi0ELi0EELi0ELi0ELi4ELi0EEEviiP15ncclDevWorkColl.has_indirect_call, or(0, .L__assert_fail.has_indirect_call)
	.section	.AMDGPU.csdata,"",@progbits
; Function info:
; codeLenInByte = 340120
; TotalNumSgprs: 91
; NumVgprs: 128
; ScratchSize: 400
; MemoryBound: 1
	.text
	.p2align	2                               ; -- Begin function _Z51ncclDevFunc_AllReduce_RING_SIMPLE_Prod_f8e5m2_0_0_4v
	.type	_Z51ncclDevFunc_AllReduce_RING_SIMPLE_Prod_f8e5m2_0_0_4v,@function
_Z51ncclDevFunc_AllReduce_RING_SIMPLE_Prod_f8e5m2_0_0_4v: ; @_Z51ncclDevFunc_AllReduce_RING_SIMPLE_Prod_f8e5m2_0_0_4v
; %bb.0:
	s_waitcnt vmcnt(0) expcnt(0) lgkmcnt(0)
	s_mov_b32 s94, s33
	s_mov_b32 s33, s32
	s_or_saveexec_b32 s4, -1
	buffer_store_dword v43, off, s[0:3], s33 offset:16 ; 4-byte Folded Spill
	s_mov_b32 exec_lo, s4
	s_addk_i32 s32, 0x400
	buffer_store_dword v40, off, s[0:3], s33 offset:12 ; 4-byte Folded Spill
	buffer_store_dword v41, off, s[0:3], s33 offset:8 ; 4-byte Folded Spill
	;; [unrolled: 1-line block ×3, first 2 shown]
	buffer_store_dword v127, off, s[0:3], s33 ; 4-byte Folded Spill
	v_writelane_b32 v43, s34, 0
	v_writelane_b32 v43, s35, 1
	;; [unrolled: 1-line block ×4, first 2 shown]
	s_trap 2
	ds_read_b32 v0, v0
	v_mov_b32_e32 v40, v31
	s_waitcnt lgkmcnt(0)
	v_cmp_gt_i32_e32 vcc_lo, 1, v0
	s_cbranch_vccnz .LBB7_8
; %bb.1:
	v_and_b32_e32 v41, 0x3ff, v40
	v_mov_b32_e32 v42, 5
	s_mov_b32 s89, s12
	s_mov_b64 s[90:91], s[8:9]
	s_mov_b32 s92, 0
	s_inst_prefetch 0x1
	s_branch .LBB7_3
	.p2align	6
.LBB7_2:                                ;   in Loop: Header=BB7_3 Depth=1
	s_or_b32 exec_lo, exec_lo, s93
	s_trap 2
	ds_read_b32 v0, v0
	s_add_i32 s92, s92, 1
	s_waitcnt lgkmcnt(0)
	v_cmp_lt_i32_e32 vcc_lo, s92, v0
	s_cbranch_vccz .LBB7_8
.LBB7_3:                                ; =>This Inner Loop Header: Depth=1
	s_trap 2
	ds_read_b32 v0, v0
	s_cmp_eq_u32 s92, 0
	s_cbranch_scc1 .LBB7_6
; %bb.4:                                ;   in Loop: Header=BB7_3 Depth=1
	s_trap 2
	s_waitcnt lgkmcnt(0)
	ds_read_b32 v1, v0
	s_waitcnt lgkmcnt(0)
	v_xor_b32_e32 v1, v1, v0
	v_and_b32_e32 v1, 0xff0000, v1
	v_cmp_eq_u32_e32 vcc_lo, 0, v1
	s_cbranch_vccnz .LBB7_6
; %bb.5:                                ;   in Loop: Header=BB7_3 Depth=1
	s_waitcnt_vscnt null, 0x0
	s_barrier
	buffer_gl0_inv
	ds_read_b32 v0, v0
.LBB7_6:                                ;   in Loop: Header=BB7_3 Depth=1
	s_waitcnt lgkmcnt(0)
	v_lshlrev_b32_sdwa v1, v42, v0 dst_sel:DWORD dst_unused:UNUSED_PAD src0_sel:DWORD src1_sel:BYTE_2
	s_mov_b32 s93, exec_lo
	v_cmpx_lt_u32_e64 v41, v1
	s_cbranch_execz .LBB7_2
; %bb.7:                                ;   in Loop: Header=BB7_3 Depth=1
	s_mov_b64 s[4:5], src_shared_base
	v_mov_b32_e32 v31, v40
	v_mov_b32_e32 v0, v41
	;; [unrolled: 1-line block ×3, first 2 shown]
	s_getpc_b64 s[6:7]
	s_add_u32 s6, s6, _ZN12_GLOBAL__N_17runRingI12rccl_bfloat88FuncProdIS1_E11ProtoSimpleILi2ELi2ELi0ELi4ELi0ELi0EELi0ELi0ELi4ELi0EEEviiP15ncclDevWorkColl@rel32@lo+4
	s_addc_u32 s7, s7, _ZN12_GLOBAL__N_17runRingI12rccl_bfloat88FuncProdIS1_E11ProtoSimpleILi2ELi2ELi0ELi4ELi0ELi0EELi0ELi0ELi4ELi0EEEviiP15ncclDevWorkColl@rel32@hi+12
	s_mov_b64 s[8:9], s[90:91]
	s_mov_b32 s12, s89
	s_swappc_b64 s[30:31], s[6:7]
	s_branch .LBB7_2
.LBB7_8:
	s_inst_prefetch 0x2
	s_clause 0x3
	buffer_load_dword v127, off, s[0:3], s33
	buffer_load_dword v42, off, s[0:3], s33 offset:4
	buffer_load_dword v41, off, s[0:3], s33 offset:8
	;; [unrolled: 1-line block ×3, first 2 shown]
	v_readlane_b32 s30, v43, 2
	v_readlane_b32 s31, v43, 3
	;; [unrolled: 1-line block ×4, first 2 shown]
	s_mov_b32 s32, s33
	s_or_saveexec_b32 s4, -1
	buffer_load_dword v43, off, s[0:3], s33 offset:16 ; 4-byte Folded Reload
	s_mov_b32 exec_lo, s4
	s_mov_b32 s33, s94
	s_waitcnt vmcnt(0)
	s_setpc_b64 s[30:31]
.Lfunc_end7:
	.size	_Z51ncclDevFunc_AllReduce_RING_SIMPLE_Prod_f8e5m2_0_0_4v, .Lfunc_end7-_Z51ncclDevFunc_AllReduce_RING_SIMPLE_Prod_f8e5m2_0_0_4v
                                        ; -- End function
	.set .L_Z51ncclDevFunc_AllReduce_RING_SIMPLE_Prod_f8e5m2_0_0_4v.num_vgpr, max(128, .L_ZN12_GLOBAL__N_17runRingI12rccl_bfloat88FuncProdIS1_E11ProtoSimpleILi2ELi2ELi0ELi4ELi0ELi0EELi0ELi0ELi4ELi0EEEviiP15ncclDevWorkColl.num_vgpr)
	.set .L_Z51ncclDevFunc_AllReduce_RING_SIMPLE_Prod_f8e5m2_0_0_4v.num_agpr, max(0, .L_ZN12_GLOBAL__N_17runRingI12rccl_bfloat88FuncProdIS1_E11ProtoSimpleILi2ELi2ELi0ELi4ELi0ELi0EELi0ELi0ELi4ELi0EEEviiP15ncclDevWorkColl.num_agpr)
	.set .L_Z51ncclDevFunc_AllReduce_RING_SIMPLE_Prod_f8e5m2_0_0_4v.numbered_sgpr, max(95, .L_ZN12_GLOBAL__N_17runRingI12rccl_bfloat88FuncProdIS1_E11ProtoSimpleILi2ELi2ELi0ELi4ELi0ELi0EELi0ELi0ELi4ELi0EEEviiP15ncclDevWorkColl.numbered_sgpr)
	.set .L_Z51ncclDevFunc_AllReduce_RING_SIMPLE_Prod_f8e5m2_0_0_4v.num_named_barrier, max(0, .L_ZN12_GLOBAL__N_17runRingI12rccl_bfloat88FuncProdIS1_E11ProtoSimpleILi2ELi2ELi0ELi4ELi0ELi0EELi0ELi0ELi4ELi0EEEviiP15ncclDevWorkColl.num_named_barrier)
	.set .L_Z51ncclDevFunc_AllReduce_RING_SIMPLE_Prod_f8e5m2_0_0_4v.private_seg_size, 32+max(.L_ZN12_GLOBAL__N_17runRingI12rccl_bfloat88FuncProdIS1_E11ProtoSimpleILi2ELi2ELi0ELi4ELi0ELi0EELi0ELi0ELi4ELi0EEEviiP15ncclDevWorkColl.private_seg_size)
	.set .L_Z51ncclDevFunc_AllReduce_RING_SIMPLE_Prod_f8e5m2_0_0_4v.uses_vcc, or(1, .L_ZN12_GLOBAL__N_17runRingI12rccl_bfloat88FuncProdIS1_E11ProtoSimpleILi2ELi2ELi0ELi4ELi0ELi0EELi0ELi0ELi4ELi0EEEviiP15ncclDevWorkColl.uses_vcc)
	.set .L_Z51ncclDevFunc_AllReduce_RING_SIMPLE_Prod_f8e5m2_0_0_4v.uses_flat_scratch, or(0, .L_ZN12_GLOBAL__N_17runRingI12rccl_bfloat88FuncProdIS1_E11ProtoSimpleILi2ELi2ELi0ELi4ELi0ELi0EELi0ELi0ELi4ELi0EEEviiP15ncclDevWorkColl.uses_flat_scratch)
	.set .L_Z51ncclDevFunc_AllReduce_RING_SIMPLE_Prod_f8e5m2_0_0_4v.has_dyn_sized_stack, or(0, .L_ZN12_GLOBAL__N_17runRingI12rccl_bfloat88FuncProdIS1_E11ProtoSimpleILi2ELi2ELi0ELi4ELi0ELi0EELi0ELi0ELi4ELi0EEEviiP15ncclDevWorkColl.has_dyn_sized_stack)
	.set .L_Z51ncclDevFunc_AllReduce_RING_SIMPLE_Prod_f8e5m2_0_0_4v.has_recursion, or(1, .L_ZN12_GLOBAL__N_17runRingI12rccl_bfloat88FuncProdIS1_E11ProtoSimpleILi2ELi2ELi0ELi4ELi0ELi0EELi0ELi0ELi4ELi0EEEviiP15ncclDevWorkColl.has_recursion)
	.set .L_Z51ncclDevFunc_AllReduce_RING_SIMPLE_Prod_f8e5m2_0_0_4v.has_indirect_call, or(0, .L_ZN12_GLOBAL__N_17runRingI12rccl_bfloat88FuncProdIS1_E11ProtoSimpleILi2ELi2ELi0ELi4ELi0ELi0EELi0ELi0ELi4ELi0EEEviiP15ncclDevWorkColl.has_indirect_call)
	.section	.AMDGPU.csdata,"",@progbits
; Function info:
; codeLenInByte = 492
; TotalNumSgprs: 97
; NumVgprs: 128
; ScratchSize: 432
; MemoryBound: 0
	.text
	.p2alignl 6, 3214868480
	.fill 48, 4, 3214868480
	.section	.AMDGPU.gpr_maximums,"",@progbits
	.set amdgpu.max_num_vgpr, 128
	.set amdgpu.max_num_agpr, 0
	.set amdgpu.max_num_sgpr, 95
	.text
	.type	__const.__assert_fail.fmt,@object ; @__const.__assert_fail.fmt
	.section	.rodata.str1.16,"aMS",@progbits,1
	.p2align	4, 0x0
__const.__assert_fail.fmt:
	.asciz	"%s:%u: %s: Device-side assertion `%s' failed.\n"
	.size	__const.__assert_fail.fmt, 47

	.type	.str.3,@object                  ; @.str.3
	.section	.rodata.str1.1,"aMS",@progbits,1
.str.3:
	.asciz	"2*(nrecv+nsend) <= nthreads"
	.size	.str.3, 28

	.type	.str.4,@object                  ; @.str.4
.str.4:
	.asciz	"/root/src/amdgpu-assembly/repos/ROCm__rccl/hipify/src/device/prims_simple.h"
	.size	.str.4, 76

	.type	__PRETTY_FUNCTION__._ZN10PrimitivesI12rccl_bfloat88FuncProdIS0_E12FanSymmetricILi1EELi0E11ProtoSimpleILi2ELi2ELi0ELi1ELi0ELi0EELi0ELb0ELi0ELi0ELi0EEC2EiiPKiS9_PKvPvmhhhP15ncclDevWorkCollP14ncclDevWorkP2pii,@object ; @__PRETTY_FUNCTION__._ZN10PrimitivesI12rccl_bfloat88FuncProdIS0_E12FanSymmetricILi1EELi0E11ProtoSimpleILi2ELi2ELi0ELi1ELi0ELi0EELi0ELb0ELi0ELi0ELi0EEC2EiiPKiS9_PKvPvmhhhP15ncclDevWorkCollP14ncclDevWorkP2pii
__PRETTY_FUNCTION__._ZN10PrimitivesI12rccl_bfloat88FuncProdIS0_E12FanSymmetricILi1EELi0E11ProtoSimpleILi2ELi2ELi0ELi1ELi0ELi0EELi0ELb0ELi0ELi0ELi0EEC2EiiPKiS9_PKvPvmhhhP15ncclDevWorkCollP14ncclDevWorkP2pii:
	.asciz	"Primitives<rccl_bfloat8, FuncProd<rccl_bfloat8>, FanSymmetric<1>, 0, ProtoSimple<2, 2, 0, 1>, 0>::Primitives(int, int, const int *, const int *, const void *, void *, uint64_t, uint8_t, uint8_t, uint8_t, struct ncclDevWorkColl *, struct ncclDevWorkP2p *, int, int) [T = rccl_bfloat8, RedOp = FuncProd<rccl_bfloat8>, Fan = FanSymmetric<1>, Direct = 0, Proto = ProtoSimple<2, 2, 0, 1>, P2p = 0, isNetOffload = false, Metadata = 0, Pipeline = 0, useAcc = 0]"
	.size	__PRETTY_FUNCTION__._ZN10PrimitivesI12rccl_bfloat88FuncProdIS0_E12FanSymmetricILi1EELi0E11ProtoSimpleILi2ELi2ELi0ELi1ELi0ELi0EELi0ELb0ELi0ELi0ELi0EEC2EiiPKiS9_PKvPvmhhhP15ncclDevWorkCollP14ncclDevWorkP2pii, 455

	.type	__PRETTY_FUNCTION__._ZN10PrimitivesI12rccl_bfloat88FuncProdIS0_E12FanSymmetricILi1EELi0E11ProtoSimpleILi2ELi2ELi0ELi2ELi0ELi0EELi0ELb0ELi0ELi0ELi0EEC2EiiPKiS9_PKvPvmhhhP15ncclDevWorkCollP14ncclDevWorkP2pii,@object ; @__PRETTY_FUNCTION__._ZN10PrimitivesI12rccl_bfloat88FuncProdIS0_E12FanSymmetricILi1EELi0E11ProtoSimpleILi2ELi2ELi0ELi2ELi0ELi0EELi0ELb0ELi0ELi0ELi0EEC2EiiPKiS9_PKvPvmhhhP15ncclDevWorkCollP14ncclDevWorkP2pii
__PRETTY_FUNCTION__._ZN10PrimitivesI12rccl_bfloat88FuncProdIS0_E12FanSymmetricILi1EELi0E11ProtoSimpleILi2ELi2ELi0ELi2ELi0ELi0EELi0ELb0ELi0ELi0ELi0EEC2EiiPKiS9_PKvPvmhhhP15ncclDevWorkCollP14ncclDevWorkP2pii:
	.asciz	"Primitives<rccl_bfloat8, FuncProd<rccl_bfloat8>, FanSymmetric<1>, 0, ProtoSimple<2, 2, 0, 2>, 0>::Primitives(int, int, const int *, const int *, const void *, void *, uint64_t, uint8_t, uint8_t, uint8_t, struct ncclDevWorkColl *, struct ncclDevWorkP2p *, int, int) [T = rccl_bfloat8, RedOp = FuncProd<rccl_bfloat8>, Fan = FanSymmetric<1>, Direct = 0, Proto = ProtoSimple<2, 2, 0, 2>, P2p = 0, isNetOffload = false, Metadata = 0, Pipeline = 0, useAcc = 0]"
	.size	__PRETTY_FUNCTION__._ZN10PrimitivesI12rccl_bfloat88FuncProdIS0_E12FanSymmetricILi1EELi0E11ProtoSimpleILi2ELi2ELi0ELi2ELi0ELi0EELi0ELb0ELi0ELi0ELi0EEC2EiiPKiS9_PKvPvmhhhP15ncclDevWorkCollP14ncclDevWorkP2pii, 455

	.type	__PRETTY_FUNCTION__._ZN10PrimitivesI12rccl_bfloat88FuncProdIS0_E12FanSymmetricILi1EELi0E11ProtoSimpleILi2ELi2ELi0ELi4ELi0ELi0EELi0ELb0ELi0ELi0ELi0EEC2EiiPKiS9_PKvPvmhhhP15ncclDevWorkCollP14ncclDevWorkP2pii,@object ; @__PRETTY_FUNCTION__._ZN10PrimitivesI12rccl_bfloat88FuncProdIS0_E12FanSymmetricILi1EELi0E11ProtoSimpleILi2ELi2ELi0ELi4ELi0ELi0EELi0ELb0ELi0ELi0ELi0EEC2EiiPKiS9_PKvPvmhhhP15ncclDevWorkCollP14ncclDevWorkP2pii
__PRETTY_FUNCTION__._ZN10PrimitivesI12rccl_bfloat88FuncProdIS0_E12FanSymmetricILi1EELi0E11ProtoSimpleILi2ELi2ELi0ELi4ELi0ELi0EELi0ELb0ELi0ELi0ELi0EEC2EiiPKiS9_PKvPvmhhhP15ncclDevWorkCollP14ncclDevWorkP2pii:
	.asciz	"Primitives<rccl_bfloat8, FuncProd<rccl_bfloat8>, FanSymmetric<1>, 0, ProtoSimple<2, 2, 0, 4>, 0>::Primitives(int, int, const int *, const int *, const void *, void *, uint64_t, uint8_t, uint8_t, uint8_t, struct ncclDevWorkColl *, struct ncclDevWorkP2p *, int, int) [T = rccl_bfloat8, RedOp = FuncProd<rccl_bfloat8>, Fan = FanSymmetric<1>, Direct = 0, Proto = ProtoSimple<2, 2, 0, 4>, P2p = 0, isNetOffload = false, Metadata = 0, Pipeline = 0, useAcc = 0]"
	.size	__PRETTY_FUNCTION__._ZN10PrimitivesI12rccl_bfloat88FuncProdIS0_E12FanSymmetricILi1EELi0E11ProtoSimpleILi2ELi2ELi0ELi4ELi0ELi0EELi0ELb0ELi0ELi0ELi0EEC2EiiPKiS9_PKvPvmhhhP15ncclDevWorkCollP14ncclDevWorkP2pii, 455

	.type	__hip_cuid_f5725b8d64c91631,@object ; @__hip_cuid_f5725b8d64c91631
	.section	.bss,"aw",@nobits
	.globl	__hip_cuid_f5725b8d64c91631
__hip_cuid_f5725b8d64c91631:
	.byte	0                               ; 0x0
	.size	__hip_cuid_f5725b8d64c91631, 1

	.ident	"AMD clang version 22.0.0git (https://github.com/RadeonOpenCompute/llvm-project roc-7.2.4 26084 f58b06dce1f9c15707c5f808fd002e18c2accf7e)"
	.section	".note.GNU-stack","",@progbits
	.addrsig
	.addrsig_sym _Z51ncclDevFunc_AllReduce_RING_SIMPLE_Prod_f8e5m2_0_0_1v
	.addrsig_sym _Z51ncclDevFunc_AllReduce_RING_SIMPLE_Prod_f8e5m2_0_0_2v
	.addrsig_sym _Z51ncclDevFunc_AllReduce_RING_SIMPLE_Prod_f8e5m2_0_0_4v
	.addrsig_sym ncclShmem
	.addrsig_sym __hip_cuid_f5725b8d64c91631
	.amdgpu_metadata
---
amdhsa.kernels:  []
amdhsa.target:   amdgcn-amd-amdhsa--gfx1030
amdhsa.version:
  - 1
  - 2
...

	.end_amdgpu_metadata
